;; amdgpu-corpus repo=ROCm/hipCUB kind=compiled arch=gfx1100 opt=O3
	.text
	.amdgcn_target "amdgcn-amd-amdhsa--gfx1100"
	.amdhsa_code_object_version 6
	.section	.text._Z9sort_keysILj256ELj4ELj1EiN10test_utils4lessEEvPKT2_PS2_T3_,"axG",@progbits,_Z9sort_keysILj256ELj4ELj1EiN10test_utils4lessEEvPKT2_PS2_T3_,comdat
	.protected	_Z9sort_keysILj256ELj4ELj1EiN10test_utils4lessEEvPKT2_PS2_T3_ ; -- Begin function _Z9sort_keysILj256ELj4ELj1EiN10test_utils4lessEEvPKT2_PS2_T3_
	.globl	_Z9sort_keysILj256ELj4ELj1EiN10test_utils4lessEEvPKT2_PS2_T3_
	.p2align	8
	.type	_Z9sort_keysILj256ELj4ELj1EiN10test_utils4lessEEvPKT2_PS2_T3_,@function
_Z9sort_keysILj256ELj4ELj1EiN10test_utils4lessEEvPKT2_PS2_T3_: ; @_Z9sort_keysILj256ELj4ELj1EiN10test_utils4lessEEvPKT2_PS2_T3_
; %bb.0:
	s_load_b128 s[0:3], s[0:1], 0x0
	s_mov_b32 s7, 0
	s_lshl_b32 s6, s15, 8
	v_lshlrev_b32_e32 v1, 2, v0
	s_lshl_b64 s[4:5], s[6:7], 2
	v_mbcnt_lo_u32_b32 v2, -1, 0
	v_lshrrev_b32_e32 v0, 2, v0
	s_delay_alu instid0(VALU_DEP_2) | instskip(SKIP_2) | instid1(VALU_DEP_3)
	v_and_b32_e32 v6, 2, v2
	v_and_b32_e32 v5, 1, v2
	;; [unrolled: 1-line block ×3, first 2 shown]
	v_or_b32_e32 v4, 1, v6
	s_delay_alu instid0(VALU_DEP_2) | instskip(NEXT) | instid1(VALU_DEP_2)
	v_lshlrev_b32_e32 v11, 2, v2
	v_sub_nc_u32_e32 v3, v6, v4
	s_waitcnt lgkmcnt(0)
	s_add_u32 s0, s0, s4
	s_addc_u32 s1, s1, s5
	v_sub_nc_u32_e32 v7, v4, v6
	global_load_b32 v9, v1, s[0:1]
	v_add_nc_u32_e32 v3, 2, v3
	s_mov_b32 s0, exec_lo
	v_min_i32_e32 v8, v5, v7
	; wave barrier
	s_delay_alu instid0(VALU_DEP_2) | instskip(SKIP_3) | instid1(VALU_DEP_4)
	v_sub_nc_u32_e32 v10, v5, v3
	v_cmp_ge_i32_e32 vcc_lo, v5, v3
	v_mad_u32_u24 v3, v0, 20, v11
	v_mul_u32_u24_e32 v0, 20, v0
	v_cndmask_b32_e32 v7, 0, v10, vcc_lo
	s_waitcnt vmcnt(0)
	ds_store_b32 v3, v9
	; wave barrier
	v_cmpx_lt_i32_e64 v7, v8
	s_cbranch_execz .LBB0_4
; %bb.1:
	v_lshl_add_u32 v9, v6, 2, v0
	v_lshlrev_b32_e32 v10, 2, v5
	s_delay_alu instid0(VALU_DEP_1)
	v_add3_u32 v10, v9, v10, 4
	.p2align	6
.LBB0_2:                                ; =>This Inner Loop Header: Depth=1
	v_sub_nc_u32_e32 v11, v8, v7
	s_delay_alu instid0(VALU_DEP_1) | instskip(NEXT) | instid1(VALU_DEP_1)
	v_lshrrev_b32_e32 v12, 31, v11
	v_add_nc_u32_e32 v11, v11, v12
	s_delay_alu instid0(VALU_DEP_1) | instskip(NEXT) | instid1(VALU_DEP_1)
	v_ashrrev_i32_e32 v11, 1, v11
	v_add_nc_u32_e32 v11, v11, v7
	s_delay_alu instid0(VALU_DEP_1) | instskip(SKIP_2) | instid1(VALU_DEP_3)
	v_not_b32_e32 v12, v11
	v_lshl_add_u32 v13, v11, 2, v9
	v_add_nc_u32_e32 v14, 1, v11
	v_lshl_add_u32 v12, v12, 2, v10
	ds_load_b32 v13, v13
	ds_load_b32 v12, v12
	s_waitcnt lgkmcnt(0)
	v_cmp_lt_i32_e32 vcc_lo, v12, v13
	v_cndmask_b32_e32 v8, v8, v11, vcc_lo
	v_cndmask_b32_e32 v7, v14, v7, vcc_lo
	s_delay_alu instid0(VALU_DEP_1) | instskip(SKIP_1) | instid1(SALU_CYCLE_1)
	v_cmp_ge_i32_e32 vcc_lo, v7, v8
	s_or_b32 s7, vcc_lo, s7
	s_and_not1_b32 exec_lo, exec_lo, s7
	s_cbranch_execnz .LBB0_2
; %bb.3:
	s_or_b32 exec_lo, exec_lo, s7
.LBB0_4:
	s_delay_alu instid0(SALU_CYCLE_1)
	s_or_b32 exec_lo, exec_lo, s0
	v_add_nc_u32_e32 v8, v6, v5
	v_lshlrev_b32_e32 v9, 2, v7
	v_lshlrev_b32_e32 v6, 2, v6
	v_add_nc_u32_e32 v5, v4, v5
	v_cmp_lt_i32_e32 vcc_lo, 0, v7
	v_sub_nc_u32_e32 v8, v8, v7
	s_delay_alu instid0(VALU_DEP_4) | instskip(NEXT) | instid1(VALU_DEP_4)
	v_add3_u32 v6, v0, v9, v6
	v_sub_nc_u32_e32 v5, v5, v7
	s_delay_alu instid0(VALU_DEP_3)
	v_lshl_add_u32 v8, v8, 2, v0
	ds_load_b32 v6, v6
	ds_load_b32 v8, v8 offset:4
	v_cmp_ge_i32_e64 s1, v4, v5
	v_sub_nc_u32_e64 v4, v2, 2 clamp
	v_min_i32_e32 v5, 2, v2
	; wave barrier
	s_waitcnt lgkmcnt(0)
	v_cmp_lt_i32_e64 s0, v8, v6
	s_delay_alu instid0(VALU_DEP_1) | instskip(NEXT) | instid1(SALU_CYCLE_1)
	s_or_b32 s0, vcc_lo, s0
	s_and_b32 vcc_lo, s1, s0
	s_mov_b32 s0, 0
	v_cndmask_b32_e32 v6, v6, v8, vcc_lo
	s_mov_b32 s1, exec_lo
	ds_store_b32 v3, v6
	; wave barrier
	v_cmpx_lt_u32_e64 v4, v5
	s_cbranch_execz .LBB0_8
; %bb.5:
	v_add_nc_u32_e32 v3, 8, v3
	.p2align	6
.LBB0_6:                                ; =>This Inner Loop Header: Depth=1
	v_sub_nc_u32_e32 v6, v5, v4
	s_delay_alu instid0(VALU_DEP_1) | instskip(NEXT) | instid1(VALU_DEP_1)
	v_lshrrev_b32_e32 v7, 31, v6
	v_add_nc_u32_e32 v6, v6, v7
	s_delay_alu instid0(VALU_DEP_1) | instskip(NEXT) | instid1(VALU_DEP_1)
	v_ashrrev_i32_e32 v6, 1, v6
	v_add_nc_u32_e32 v6, v6, v4
	s_delay_alu instid0(VALU_DEP_1) | instskip(SKIP_2) | instid1(VALU_DEP_3)
	v_not_b32_e32 v7, v6
	v_lshl_add_u32 v8, v6, 2, v0
	v_add_nc_u32_e32 v9, 1, v6
	v_lshl_add_u32 v7, v7, 2, v3
	ds_load_b32 v8, v8
	ds_load_b32 v7, v7
	s_waitcnt lgkmcnt(0)
	v_cmp_lt_i32_e32 vcc_lo, v7, v8
	v_cndmask_b32_e32 v5, v5, v6, vcc_lo
	v_cndmask_b32_e32 v4, v9, v4, vcc_lo
	s_delay_alu instid0(VALU_DEP_1) | instskip(SKIP_1) | instid1(SALU_CYCLE_1)
	v_cmp_ge_i32_e32 vcc_lo, v4, v5
	s_or_b32 s0, vcc_lo, s0
	s_and_not1_b32 exec_lo, exec_lo, s0
	s_cbranch_execnz .LBB0_6
; %bb.7:
	s_or_b32 exec_lo, exec_lo, s0
.LBB0_8:
	s_delay_alu instid0(SALU_CYCLE_1) | instskip(SKIP_3) | instid1(VALU_DEP_3)
	s_or_b32 exec_lo, exec_lo, s1
	v_sub_nc_u32_e32 v2, v2, v4
	v_lshl_add_u32 v3, v4, 2, v0
	v_cmp_lt_i32_e32 vcc_lo, 1, v4
	v_lshl_add_u32 v0, v2, 2, v0
	v_add_nc_u32_e32 v2, 2, v2
	ds_load_b32 v3, v3
	ds_load_b32 v0, v0 offset:8
	v_cmp_gt_i32_e64 s1, 4, v2
	s_waitcnt lgkmcnt(0)
	v_cmp_lt_i32_e64 s0, v0, v3
	s_delay_alu instid0(VALU_DEP_1)
	s_or_b32 s0, vcc_lo, s0
	s_delay_alu instid0(VALU_DEP_2) | instid1(SALU_CYCLE_1)
	s_and_b32 vcc_lo, s1, s0
	s_add_u32 s0, s2, s4
	v_cndmask_b32_e32 v0, v3, v0, vcc_lo
	s_addc_u32 s1, s3, s5
	global_store_b32 v1, v0, s[0:1]
	s_nop 0
	s_sendmsg sendmsg(MSG_DEALLOC_VGPRS)
	s_endpgm
	.section	.rodata,"a",@progbits
	.p2align	6, 0x0
	.amdhsa_kernel _Z9sort_keysILj256ELj4ELj1EiN10test_utils4lessEEvPKT2_PS2_T3_
		.amdhsa_group_segment_fixed_size 1280
		.amdhsa_private_segment_fixed_size 0
		.amdhsa_kernarg_size 20
		.amdhsa_user_sgpr_count 15
		.amdhsa_user_sgpr_dispatch_ptr 0
		.amdhsa_user_sgpr_queue_ptr 0
		.amdhsa_user_sgpr_kernarg_segment_ptr 1
		.amdhsa_user_sgpr_dispatch_id 0
		.amdhsa_user_sgpr_private_segment_size 0
		.amdhsa_wavefront_size32 1
		.amdhsa_uses_dynamic_stack 0
		.amdhsa_enable_private_segment 0
		.amdhsa_system_sgpr_workgroup_id_x 1
		.amdhsa_system_sgpr_workgroup_id_y 0
		.amdhsa_system_sgpr_workgroup_id_z 0
		.amdhsa_system_sgpr_workgroup_info 0
		.amdhsa_system_vgpr_workitem_id 0
		.amdhsa_next_free_vgpr 15
		.amdhsa_next_free_sgpr 16
		.amdhsa_reserve_vcc 1
		.amdhsa_float_round_mode_32 0
		.amdhsa_float_round_mode_16_64 0
		.amdhsa_float_denorm_mode_32 3
		.amdhsa_float_denorm_mode_16_64 3
		.amdhsa_dx10_clamp 1
		.amdhsa_ieee_mode 1
		.amdhsa_fp16_overflow 0
		.amdhsa_workgroup_processor_mode 1
		.amdhsa_memory_ordered 1
		.amdhsa_forward_progress 0
		.amdhsa_shared_vgpr_count 0
		.amdhsa_exception_fp_ieee_invalid_op 0
		.amdhsa_exception_fp_denorm_src 0
		.amdhsa_exception_fp_ieee_div_zero 0
		.amdhsa_exception_fp_ieee_overflow 0
		.amdhsa_exception_fp_ieee_underflow 0
		.amdhsa_exception_fp_ieee_inexact 0
		.amdhsa_exception_int_div_zero 0
	.end_amdhsa_kernel
	.section	.text._Z9sort_keysILj256ELj4ELj1EiN10test_utils4lessEEvPKT2_PS2_T3_,"axG",@progbits,_Z9sort_keysILj256ELj4ELj1EiN10test_utils4lessEEvPKT2_PS2_T3_,comdat
.Lfunc_end0:
	.size	_Z9sort_keysILj256ELj4ELj1EiN10test_utils4lessEEvPKT2_PS2_T3_, .Lfunc_end0-_Z9sort_keysILj256ELj4ELj1EiN10test_utils4lessEEvPKT2_PS2_T3_
                                        ; -- End function
	.section	.AMDGPU.csdata,"",@progbits
; Kernel info:
; codeLenInByte = 680
; NumSgprs: 18
; NumVgprs: 15
; ScratchSize: 0
; MemoryBound: 0
; FloatMode: 240
; IeeeMode: 1
; LDSByteSize: 1280 bytes/workgroup (compile time only)
; SGPRBlocks: 2
; VGPRBlocks: 1
; NumSGPRsForWavesPerEU: 18
; NumVGPRsForWavesPerEU: 15
; Occupancy: 16
; WaveLimiterHint : 0
; COMPUTE_PGM_RSRC2:SCRATCH_EN: 0
; COMPUTE_PGM_RSRC2:USER_SGPR: 15
; COMPUTE_PGM_RSRC2:TRAP_HANDLER: 0
; COMPUTE_PGM_RSRC2:TGID_X_EN: 1
; COMPUTE_PGM_RSRC2:TGID_Y_EN: 0
; COMPUTE_PGM_RSRC2:TGID_Z_EN: 0
; COMPUTE_PGM_RSRC2:TIDIG_COMP_CNT: 0
	.section	.text._Z10sort_pairsILj256ELj4ELj1EiN10test_utils4lessEEvPKT2_PS2_T3_,"axG",@progbits,_Z10sort_pairsILj256ELj4ELj1EiN10test_utils4lessEEvPKT2_PS2_T3_,comdat
	.protected	_Z10sort_pairsILj256ELj4ELj1EiN10test_utils4lessEEvPKT2_PS2_T3_ ; -- Begin function _Z10sort_pairsILj256ELj4ELj1EiN10test_utils4lessEEvPKT2_PS2_T3_
	.globl	_Z10sort_pairsILj256ELj4ELj1EiN10test_utils4lessEEvPKT2_PS2_T3_
	.p2align	8
	.type	_Z10sort_pairsILj256ELj4ELj1EiN10test_utils4lessEEvPKT2_PS2_T3_,@function
_Z10sort_pairsILj256ELj4ELj1EiN10test_utils4lessEEvPKT2_PS2_T3_: ; @_Z10sort_pairsILj256ELj4ELj1EiN10test_utils4lessEEvPKT2_PS2_T3_
; %bb.0:
	s_load_b128 s[0:3], s[0:1], 0x0
	s_mov_b32 s7, 0
	s_lshl_b32 s6, s15, 8
	v_lshlrev_b32_e32 v1, 2, v0
	s_lshl_b64 s[4:5], s[6:7], 2
	v_mbcnt_lo_u32_b32 v2, -1, 0
	s_delay_alu instid0(VALU_DEP_1) | instskip(SKIP_2) | instid1(VALU_DEP_3)
	v_and_b32_e32 v5, 2, v2
	v_and_b32_e32 v7, 1, v2
	;; [unrolled: 1-line block ×3, first 2 shown]
	v_or_b32_e32 v6, 1, v5
	s_delay_alu instid0(VALU_DEP_2) | instskip(NEXT) | instid1(VALU_DEP_2)
	v_lshlrev_b32_e32 v11, 2, v2
	v_sub_nc_u32_e32 v3, v5, v6
	s_waitcnt lgkmcnt(0)
	s_add_u32 s0, s0, s4
	s_addc_u32 s1, s1, s5
	global_load_b32 v4, v1, s[0:1]
	v_add_nc_u32_e32 v8, 2, v3
	v_lshrrev_b32_e32 v3, 2, v0
	s_mov_b32 s0, exec_lo
	; wave barrier
	s_delay_alu instid0(VALU_DEP_2) | instskip(SKIP_1) | instid1(VALU_DEP_2)
	v_sub_nc_u32_e32 v0, v7, v8
	v_cmp_ge_i32_e32 vcc_lo, v7, v8
	v_cndmask_b32_e32 v8, 0, v0, vcc_lo
	v_sub_nc_u32_e32 v9, v6, v5
	v_lshlrev_b32_e32 v12, 2, v5
	v_mad_u32_u24 v0, v3, 20, v11
	s_delay_alu instid0(VALU_DEP_3) | instskip(NEXT) | instid1(VALU_DEP_3)
	v_min_i32_e32 v10, v7, v9
	v_mad_u32_u24 v9, v3, 20, v12
	s_waitcnt vmcnt(0)
	ds_store_b32 v0, v4
	; wave barrier
	v_cmpx_lt_i32_e64 v8, v10
	s_cbranch_execz .LBB1_4
; %bb.1:
	v_lshlrev_b32_e32 v11, 2, v7
	s_delay_alu instid0(VALU_DEP_1)
	v_add3_u32 v11, v9, v11, 4
	.p2align	6
.LBB1_2:                                ; =>This Inner Loop Header: Depth=1
	v_sub_nc_u32_e32 v12, v10, v8
	s_delay_alu instid0(VALU_DEP_1) | instskip(NEXT) | instid1(VALU_DEP_1)
	v_lshrrev_b32_e32 v13, 31, v12
	v_add_nc_u32_e32 v12, v12, v13
	s_delay_alu instid0(VALU_DEP_1) | instskip(NEXT) | instid1(VALU_DEP_1)
	v_ashrrev_i32_e32 v12, 1, v12
	v_add_nc_u32_e32 v12, v12, v8
	s_delay_alu instid0(VALU_DEP_1) | instskip(SKIP_2) | instid1(VALU_DEP_3)
	v_not_b32_e32 v13, v12
	v_lshl_add_u32 v14, v12, 2, v9
	v_add_nc_u32_e32 v15, 1, v12
	v_lshl_add_u32 v13, v13, 2, v11
	ds_load_b32 v14, v14
	ds_load_b32 v13, v13
	s_waitcnt lgkmcnt(0)
	v_cmp_lt_i32_e32 vcc_lo, v13, v14
	v_cndmask_b32_e32 v10, v10, v12, vcc_lo
	v_cndmask_b32_e32 v8, v15, v8, vcc_lo
	s_delay_alu instid0(VALU_DEP_1) | instskip(SKIP_1) | instid1(SALU_CYCLE_1)
	v_cmp_ge_i32_e32 vcc_lo, v8, v10
	s_or_b32 s7, vcc_lo, s7
	s_and_not1_b32 exec_lo, exec_lo, s7
	s_cbranch_execnz .LBB1_2
; %bb.3:
	s_or_b32 exec_lo, exec_lo, s7
.LBB1_4:
	s_delay_alu instid0(SALU_CYCLE_1)
	s_or_b32 exec_lo, exec_lo, s0
	v_add_nc_u32_e32 v10, v5, v7
	v_mul_u32_u24_e32 v3, 20, v3
	v_lshl_add_u32 v9, v8, 2, v9
	v_cmp_lt_i32_e32 vcc_lo, 0, v8
	v_add_nc_u32_e32 v5, v8, v5
	v_sub_nc_u32_e32 v10, v10, v8
	v_add_nc_u32_e32 v4, 1, v4
	s_delay_alu instid0(VALU_DEP_2)
	v_lshl_add_u32 v10, v10, 2, v3
	ds_load_b32 v9, v9
	ds_load_b32 v10, v10 offset:4
	v_add_nc_u32_e32 v7, v6, v7
	; wave barrier
	ds_store_b32 v0, v4
	v_sub_nc_u32_e32 v7, v7, v8
	; wave barrier
	s_delay_alu instid0(VALU_DEP_1) | instskip(SKIP_3) | instid1(VALU_DEP_1)
	v_cmp_ge_i32_e64 s1, v6, v7
	v_min_i32_e32 v6, 2, v2
	s_waitcnt lgkmcnt(1)
	v_cmp_lt_i32_e64 s0, v10, v9
	s_or_b32 s0, vcc_lo, s0
	s_delay_alu instid0(SALU_CYCLE_1) | instskip(SKIP_4) | instid1(VALU_DEP_1)
	s_and_b32 vcc_lo, s1, s0
	s_mov_b32 s0, 0
	v_cndmask_b32_e32 v8, v9, v10, vcc_lo
	v_cndmask_b32_e32 v5, v5, v7, vcc_lo
	s_mov_b32 s1, exec_lo
	v_lshl_add_u32 v5, v5, 2, v3
	ds_load_b32 v4, v5
	v_sub_nc_u32_e64 v5, v2, 2 clamp
	; wave barrier
	ds_store_b32 v0, v8
	; wave barrier
	v_cmpx_lt_u32_e64 v5, v6
	s_cbranch_execz .LBB1_8
; %bb.5:
	v_add_nc_u32_e32 v7, 8, v0
	.p2align	6
.LBB1_6:                                ; =>This Inner Loop Header: Depth=1
	v_sub_nc_u32_e32 v8, v6, v5
	s_delay_alu instid0(VALU_DEP_1) | instskip(NEXT) | instid1(VALU_DEP_1)
	v_lshrrev_b32_e32 v9, 31, v8
	v_add_nc_u32_e32 v8, v8, v9
	s_delay_alu instid0(VALU_DEP_1) | instskip(NEXT) | instid1(VALU_DEP_1)
	v_ashrrev_i32_e32 v8, 1, v8
	v_add_nc_u32_e32 v8, v8, v5
	s_delay_alu instid0(VALU_DEP_1) | instskip(SKIP_2) | instid1(VALU_DEP_3)
	v_not_b32_e32 v9, v8
	v_lshl_add_u32 v10, v8, 2, v3
	v_add_nc_u32_e32 v11, 1, v8
	v_lshl_add_u32 v9, v9, 2, v7
	ds_load_b32 v10, v10
	ds_load_b32 v9, v9
	s_waitcnt lgkmcnt(0)
	v_cmp_lt_i32_e32 vcc_lo, v9, v10
	v_dual_cndmask_b32 v6, v6, v8 :: v_dual_cndmask_b32 v5, v11, v5
	s_delay_alu instid0(VALU_DEP_1) | instskip(SKIP_1) | instid1(SALU_CYCLE_1)
	v_cmp_ge_i32_e32 vcc_lo, v5, v6
	s_or_b32 s0, vcc_lo, s0
	s_and_not1_b32 exec_lo, exec_lo, s0
	s_cbranch_execnz .LBB1_6
; %bb.7:
	s_or_b32 exec_lo, exec_lo, s0
.LBB1_8:
	s_delay_alu instid0(SALU_CYCLE_1) | instskip(SKIP_3) | instid1(VALU_DEP_3)
	s_or_b32 exec_lo, exec_lo, s1
	v_sub_nc_u32_e32 v2, v2, v5
	v_lshl_add_u32 v6, v5, 2, v3
	v_cmp_lt_i32_e32 vcc_lo, 1, v5
	v_lshl_add_u32 v7, v2, 2, v3
	v_add_nc_u32_e32 v2, 2, v2
	ds_load_b32 v6, v6
	ds_load_b32 v7, v7 offset:8
	v_cmp_gt_i32_e64 s1, 4, v2
	; wave barrier
	s_waitcnt lgkmcnt(3)
	ds_store_b32 v0, v4
	; wave barrier
	s_waitcnt lgkmcnt(1)
	v_cmp_lt_i32_e64 s0, v7, v6
	s_delay_alu instid0(VALU_DEP_1) | instskip(NEXT) | instid1(SALU_CYCLE_1)
	s_or_b32 s0, vcc_lo, s0
	s_and_b32 vcc_lo, s1, s0
	s_add_u32 s0, s2, s4
	v_cndmask_b32_e32 v2, v5, v2, vcc_lo
	v_cndmask_b32_e32 v6, v6, v7, vcc_lo
	s_addc_u32 s1, s3, s5
	s_delay_alu instid0(VALU_DEP_2)
	v_lshl_add_u32 v2, v2, 2, v3
	ds_load_b32 v0, v2
	s_waitcnt lgkmcnt(0)
	v_add_nc_u32_e32 v0, v0, v6
	global_store_b32 v1, v0, s[0:1]
	s_nop 0
	s_sendmsg sendmsg(MSG_DEALLOC_VGPRS)
	s_endpgm
	.section	.rodata,"a",@progbits
	.p2align	6, 0x0
	.amdhsa_kernel _Z10sort_pairsILj256ELj4ELj1EiN10test_utils4lessEEvPKT2_PS2_T3_
		.amdhsa_group_segment_fixed_size 1280
		.amdhsa_private_segment_fixed_size 0
		.amdhsa_kernarg_size 20
		.amdhsa_user_sgpr_count 15
		.amdhsa_user_sgpr_dispatch_ptr 0
		.amdhsa_user_sgpr_queue_ptr 0
		.amdhsa_user_sgpr_kernarg_segment_ptr 1
		.amdhsa_user_sgpr_dispatch_id 0
		.amdhsa_user_sgpr_private_segment_size 0
		.amdhsa_wavefront_size32 1
		.amdhsa_uses_dynamic_stack 0
		.amdhsa_enable_private_segment 0
		.amdhsa_system_sgpr_workgroup_id_x 1
		.amdhsa_system_sgpr_workgroup_id_y 0
		.amdhsa_system_sgpr_workgroup_id_z 0
		.amdhsa_system_sgpr_workgroup_info 0
		.amdhsa_system_vgpr_workitem_id 0
		.amdhsa_next_free_vgpr 16
		.amdhsa_next_free_sgpr 16
		.amdhsa_reserve_vcc 1
		.amdhsa_float_round_mode_32 0
		.amdhsa_float_round_mode_16_64 0
		.amdhsa_float_denorm_mode_32 3
		.amdhsa_float_denorm_mode_16_64 3
		.amdhsa_dx10_clamp 1
		.amdhsa_ieee_mode 1
		.amdhsa_fp16_overflow 0
		.amdhsa_workgroup_processor_mode 1
		.amdhsa_memory_ordered 1
		.amdhsa_forward_progress 0
		.amdhsa_shared_vgpr_count 0
		.amdhsa_exception_fp_ieee_invalid_op 0
		.amdhsa_exception_fp_denorm_src 0
		.amdhsa_exception_fp_ieee_div_zero 0
		.amdhsa_exception_fp_ieee_overflow 0
		.amdhsa_exception_fp_ieee_underflow 0
		.amdhsa_exception_fp_ieee_inexact 0
		.amdhsa_exception_int_div_zero 0
	.end_amdhsa_kernel
	.section	.text._Z10sort_pairsILj256ELj4ELj1EiN10test_utils4lessEEvPKT2_PS2_T3_,"axG",@progbits,_Z10sort_pairsILj256ELj4ELj1EiN10test_utils4lessEEvPKT2_PS2_T3_,comdat
.Lfunc_end1:
	.size	_Z10sort_pairsILj256ELj4ELj1EiN10test_utils4lessEEvPKT2_PS2_T3_, .Lfunc_end1-_Z10sort_pairsILj256ELj4ELj1EiN10test_utils4lessEEvPKT2_PS2_T3_
                                        ; -- End function
	.section	.AMDGPU.csdata,"",@progbits
; Kernel info:
; codeLenInByte = 756
; NumSgprs: 18
; NumVgprs: 16
; ScratchSize: 0
; MemoryBound: 0
; FloatMode: 240
; IeeeMode: 1
; LDSByteSize: 1280 bytes/workgroup (compile time only)
; SGPRBlocks: 2
; VGPRBlocks: 1
; NumSGPRsForWavesPerEU: 18
; NumVGPRsForWavesPerEU: 16
; Occupancy: 16
; WaveLimiterHint : 0
; COMPUTE_PGM_RSRC2:SCRATCH_EN: 0
; COMPUTE_PGM_RSRC2:USER_SGPR: 15
; COMPUTE_PGM_RSRC2:TRAP_HANDLER: 0
; COMPUTE_PGM_RSRC2:TGID_X_EN: 1
; COMPUTE_PGM_RSRC2:TGID_Y_EN: 0
; COMPUTE_PGM_RSRC2:TGID_Z_EN: 0
; COMPUTE_PGM_RSRC2:TIDIG_COMP_CNT: 0
	.section	.text._Z19sort_keys_segmentedILj256ELj4ELj1EiN10test_utils4lessEEvPKT2_PS2_PKjT3_,"axG",@progbits,_Z19sort_keys_segmentedILj256ELj4ELj1EiN10test_utils4lessEEvPKT2_PS2_PKjT3_,comdat
	.protected	_Z19sort_keys_segmentedILj256ELj4ELj1EiN10test_utils4lessEEvPKT2_PS2_PKjT3_ ; -- Begin function _Z19sort_keys_segmentedILj256ELj4ELj1EiN10test_utils4lessEEvPKT2_PS2_PKjT3_
	.globl	_Z19sort_keys_segmentedILj256ELj4ELj1EiN10test_utils4lessEEvPKT2_PS2_PKjT3_
	.p2align	8
	.type	_Z19sort_keys_segmentedILj256ELj4ELj1EiN10test_utils4lessEEvPKT2_PS2_PKjT3_,@function
_Z19sort_keys_segmentedILj256ELj4ELj1EiN10test_utils4lessEEvPKT2_PS2_PKjT3_: ; @_Z19sort_keys_segmentedILj256ELj4ELj1EiN10test_utils4lessEEvPKT2_PS2_PKjT3_
; %bb.0:
	s_clause 0x1
	s_load_b64 s[2:3], s[0:1], 0x10
	s_load_b128 s[4:7], s[0:1], 0x0
	v_lshrrev_b32_e32 v10, 2, v0
	v_mbcnt_lo_u32_b32 v4, -1, 0
	v_mov_b32_e32 v3, 0
	s_delay_alu instid0(VALU_DEP_3) | instskip(NEXT) | instid1(VALU_DEP_1)
	v_lshl_or_b32 v2, s15, 6, v10
	v_lshlrev_b64 v[0:1], 2, v[2:3]
	v_lshlrev_b32_e32 v2, 2, v2
	s_waitcnt lgkmcnt(0)
	s_delay_alu instid0(VALU_DEP_2) | instskip(NEXT) | instid1(VALU_DEP_3)
	v_add_co_u32 v0, vcc_lo, s2, v0
	v_add_co_ci_u32_e32 v1, vcc_lo, s3, v1, vcc_lo
	global_load_b32 v5, v[0:1], off
	v_and_b32_e32 v0, 3, v4
	s_waitcnt vmcnt(0)
	s_delay_alu instid0(VALU_DEP_1) | instskip(SKIP_1) | instid1(VALU_DEP_1)
	v_cmp_lt_u32_e32 vcc_lo, v0, v5
	v_cmp_ge_u32_e64 s0, v0, v5
	s_and_saveexec_b32 s1, s0
	s_delay_alu instid0(SALU_CYCLE_1)
	s_xor_b32 s0, exec_lo, s1
; %bb.1:
	v_mov_b32_e32 v1, v3
; %bb.2:
	s_or_saveexec_b32 s1, s0
	v_lshlrev_b64 v[2:3], 2, v[2:3]
                                        ; implicit-def: $vgpr15
	s_xor_b32 exec_lo, exec_lo, s1
	s_cbranch_execz .LBB2_4
; %bb.3:
	v_lshlrev_b32_e32 v1, 2, v0
	s_delay_alu instid0(VALU_DEP_2) | instskip(NEXT) | instid1(VALU_DEP_1)
	v_add_co_u32 v6, s0, s4, v2
	v_add_co_ci_u32_e64 v7, s0, s5, v3, s0
	s_delay_alu instid0(VALU_DEP_2) | instskip(NEXT) | instid1(VALU_DEP_1)
	v_add_co_u32 v6, s0, v6, v1
	v_add_co_ci_u32_e64 v7, s0, 0, v7, s0
	v_mov_b32_e32 v1, 0
	global_load_b32 v15, v[6:7], off
.LBB2_4:
	s_or_b32 exec_lo, exec_lo, s1
	v_and_b32_e32 v6, 2, v4
	v_and_b32_e32 v4, 1, v4
	v_lshlrev_b32_e32 v16, 2, v0
	s_mov_b32 s2, 0
	s_mov_b32 s1, exec_lo
	v_min_i32_e32 v9, v5, v6
	v_min_i32_e32 v12, v5, v4
	v_mul_u32_u24_e32 v4, 20, v10
	; wave barrier
	s_delay_alu instid0(VALU_DEP_3) | instskip(SKIP_1) | instid1(VALU_DEP_2)
	v_add_nc_u32_e32 v6, 1, v9
	v_lshlrev_b32_e32 v17, 2, v9
	v_min_i32_e32 v8, v5, v6
	s_delay_alu instid0(VALU_DEP_1) | instskip(SKIP_1) | instid1(VALU_DEP_2)
	v_add_nc_u32_e32 v6, 1, v8
	v_sub_nc_u32_e32 v14, v8, v9
	v_min_i32_e32 v6, v5, v6
	s_delay_alu instid0(VALU_DEP_2) | instskip(NEXT) | instid1(VALU_DEP_2)
	v_min_i32_e32 v14, v12, v14
	v_sub_nc_u32_e32 v7, v6, v8
	s_delay_alu instid0(VALU_DEP_1) | instskip(SKIP_2) | instid1(VALU_DEP_2)
	v_sub_nc_u32_e32 v11, v12, v7
	v_cmp_ge_i32_e64 s0, v12, v7
	v_mad_u32_u24 v7, v10, 20, v16
	v_cndmask_b32_e64 v13, 0, v11, s0
	v_mad_u32_u24 v11, v10, 20, v17
	s_waitcnt vmcnt(0)
	ds_store_b32 v7, v15
	; wave barrier
	v_cmpx_lt_i32_e64 v13, v14
	s_cbranch_execz .LBB2_8
; %bb.5:
	v_lshlrev_b32_e32 v10, 2, v8
	v_lshlrev_b32_e32 v15, 2, v12
	s_delay_alu instid0(VALU_DEP_1)
	v_add3_u32 v10, v4, v10, v15
	.p2align	6
.LBB2_6:                                ; =>This Inner Loop Header: Depth=1
	v_sub_nc_u32_e32 v15, v14, v13
	s_delay_alu instid0(VALU_DEP_1) | instskip(NEXT) | instid1(VALU_DEP_1)
	v_lshrrev_b32_e32 v16, 31, v15
	v_add_nc_u32_e32 v15, v15, v16
	s_delay_alu instid0(VALU_DEP_1) | instskip(NEXT) | instid1(VALU_DEP_1)
	v_ashrrev_i32_e32 v15, 1, v15
	v_add_nc_u32_e32 v15, v15, v13
	s_delay_alu instid0(VALU_DEP_1) | instskip(SKIP_2) | instid1(VALU_DEP_3)
	v_not_b32_e32 v16, v15
	v_lshl_add_u32 v17, v15, 2, v11
	v_add_nc_u32_e32 v18, 1, v15
	v_lshl_add_u32 v16, v16, 2, v10
	ds_load_b32 v17, v17
	ds_load_b32 v16, v16
	s_waitcnt lgkmcnt(0)
	v_cmp_lt_i32_e64 s0, v16, v17
	s_delay_alu instid0(VALU_DEP_1) | instskip(SKIP_1) | instid1(VALU_DEP_1)
	v_cndmask_b32_e64 v14, v14, v15, s0
	v_cndmask_b32_e64 v13, v18, v13, s0
	v_cmp_ge_i32_e64 s0, v13, v14
	s_delay_alu instid0(VALU_DEP_1) | instskip(NEXT) | instid1(SALU_CYCLE_1)
	s_or_b32 s2, s0, s2
	s_and_not1_b32 exec_lo, exec_lo, s2
	s_cbranch_execnz .LBB2_6
; %bb.7:
	s_or_b32 exec_lo, exec_lo, s2
.LBB2_8:
	s_delay_alu instid0(SALU_CYCLE_1) | instskip(SKIP_4) | instid1(VALU_DEP_3)
	s_or_b32 exec_lo, exec_lo, s1
	v_add_nc_u32_e32 v10, v8, v12
	v_lshl_add_u32 v11, v13, 2, v11
	v_add_nc_u32_e32 v9, v13, v9
	s_mov_b32 s3, 0
	v_sub_nc_u32_e32 v14, v10, v13
	v_min_i32_e32 v10, 0, v5
	s_delay_alu instid0(VALU_DEP_3) | instskip(NEXT) | instid1(VALU_DEP_3)
	v_cmp_le_i32_e64 s0, v8, v9
	v_lshl_add_u32 v12, v14, 2, v4
	s_delay_alu instid0(VALU_DEP_3) | instskip(SKIP_4) | instid1(VALU_DEP_1)
	v_add_nc_u32_e32 v15, 2, v10
	v_cmp_gt_i32_e64 s2, v6, v14
	ds_load_b32 v16, v11
	ds_load_b32 v17, v12
	v_min_i32_e32 v12, v5, v15
	; wave barrier
	v_add_nc_u32_e32 v11, 2, v12
	v_sub_nc_u32_e32 v8, v12, v10
	s_delay_alu instid0(VALU_DEP_2) | instskip(SKIP_1) | instid1(VALU_DEP_2)
	v_min_i32_e32 v11, v5, v11
	v_min_i32_e32 v5, v5, v0
	v_sub_nc_u32_e32 v13, v11, v12
	s_delay_alu instid0(VALU_DEP_2) | instskip(SKIP_4) | instid1(VALU_DEP_2)
	v_min_i32_e32 v9, v5, v8
	v_lshl_add_u32 v8, v10, 2, v4
	s_waitcnt lgkmcnt(0)
	v_cmp_lt_i32_e64 s1, v17, v16
	v_sub_nc_u32_e32 v15, v5, v13
	s_or_b32 s1, s0, s1
	v_cmp_ge_i32_e64 s0, v5, v13
	s_delay_alu instid0(VALU_DEP_1)
	v_cndmask_b32_e64 v6, 0, v15, s0
	s_and_b32 s0, s2, s1
	s_mov_b32 s1, exec_lo
	v_cndmask_b32_e64 v13, v16, v17, s0
	ds_store_b32 v7, v13
	; wave barrier
	v_cmpx_lt_i32_e64 v6, v9
	s_cbranch_execnz .LBB2_11
; %bb.9:
	s_or_b32 exec_lo, exec_lo, s1
	s_and_saveexec_b32 s0, vcc_lo
	s_cbranch_execnz .LBB2_14
.LBB2_10:
	s_endpgm
.LBB2_11:
	v_lshlrev_b32_e32 v7, 2, v12
	v_lshlrev_b32_e32 v13, 2, v5
	s_delay_alu instid0(VALU_DEP_1)
	v_add3_u32 v7, v4, v7, v13
	.p2align	6
.LBB2_12:                               ; =>This Inner Loop Header: Depth=1
	v_sub_nc_u32_e32 v13, v9, v6
	s_delay_alu instid0(VALU_DEP_1) | instskip(NEXT) | instid1(VALU_DEP_1)
	v_lshrrev_b32_e32 v14, 31, v13
	v_add_nc_u32_e32 v13, v13, v14
	s_delay_alu instid0(VALU_DEP_1) | instskip(NEXT) | instid1(VALU_DEP_1)
	v_ashrrev_i32_e32 v13, 1, v13
	v_add_nc_u32_e32 v13, v13, v6
	s_delay_alu instid0(VALU_DEP_1) | instskip(SKIP_2) | instid1(VALU_DEP_3)
	v_not_b32_e32 v14, v13
	v_lshl_add_u32 v15, v13, 2, v8
	v_add_nc_u32_e32 v16, 1, v13
	v_lshl_add_u32 v14, v14, 2, v7
	ds_load_b32 v15, v15
	ds_load_b32 v14, v14
	s_waitcnt lgkmcnt(0)
	v_cmp_lt_i32_e64 s0, v14, v15
	s_delay_alu instid0(VALU_DEP_1) | instskip(SKIP_1) | instid1(VALU_DEP_1)
	v_cndmask_b32_e64 v9, v9, v13, s0
	v_cndmask_b32_e64 v6, v16, v6, s0
	v_cmp_ge_i32_e64 s0, v6, v9
	s_delay_alu instid0(VALU_DEP_1) | instskip(NEXT) | instid1(SALU_CYCLE_1)
	s_or_b32 s3, s0, s3
	s_and_not1_b32 exec_lo, exec_lo, s3
	s_cbranch_execnz .LBB2_12
; %bb.13:
	s_or_b32 exec_lo, exec_lo, s3
	s_delay_alu instid0(SALU_CYCLE_1)
	s_or_b32 exec_lo, exec_lo, s1
	s_and_saveexec_b32 s0, vcc_lo
	s_cbranch_execz .LBB2_10
.LBB2_14:
	v_add_nc_u32_e32 v5, v12, v5
	v_lshl_add_u32 v7, v6, 2, v8
	v_lshlrev_b64 v[0:1], 2, v[0:1]
	v_add_co_u32 v2, s1, s6, v2
	s_delay_alu instid0(VALU_DEP_4) | instskip(SKIP_2) | instid1(VALU_DEP_3)
	v_sub_nc_u32_e32 v5, v5, v6
	v_add_nc_u32_e32 v6, v6, v10
	v_add_co_ci_u32_e64 v3, s1, s7, v3, s1
	v_lshl_add_u32 v4, v5, 2, v4
	s_delay_alu instid0(VALU_DEP_3)
	v_cmp_le_i32_e32 vcc_lo, v12, v6
	v_cmp_gt_i32_e64 s1, v11, v5
	ds_load_b32 v4, v4
	ds_load_b32 v7, v7
	s_waitcnt lgkmcnt(0)
	v_cmp_lt_i32_e64 s0, v4, v7
	s_delay_alu instid0(VALU_DEP_1)
	s_or_b32 s0, vcc_lo, s0
	v_add_co_u32 v0, vcc_lo, v2, v0
	v_add_co_ci_u32_e32 v1, vcc_lo, v3, v1, vcc_lo
	s_and_b32 vcc_lo, s1, s0
	v_cndmask_b32_e32 v2, v7, v4, vcc_lo
	global_store_b32 v[0:1], v2, off
	s_nop 0
	s_sendmsg sendmsg(MSG_DEALLOC_VGPRS)
	s_endpgm
	.section	.rodata,"a",@progbits
	.p2align	6, 0x0
	.amdhsa_kernel _Z19sort_keys_segmentedILj256ELj4ELj1EiN10test_utils4lessEEvPKT2_PS2_PKjT3_
		.amdhsa_group_segment_fixed_size 1280
		.amdhsa_private_segment_fixed_size 0
		.amdhsa_kernarg_size 28
		.amdhsa_user_sgpr_count 15
		.amdhsa_user_sgpr_dispatch_ptr 0
		.amdhsa_user_sgpr_queue_ptr 0
		.amdhsa_user_sgpr_kernarg_segment_ptr 1
		.amdhsa_user_sgpr_dispatch_id 0
		.amdhsa_user_sgpr_private_segment_size 0
		.amdhsa_wavefront_size32 1
		.amdhsa_uses_dynamic_stack 0
		.amdhsa_enable_private_segment 0
		.amdhsa_system_sgpr_workgroup_id_x 1
		.amdhsa_system_sgpr_workgroup_id_y 0
		.amdhsa_system_sgpr_workgroup_id_z 0
		.amdhsa_system_sgpr_workgroup_info 0
		.amdhsa_system_vgpr_workitem_id 0
		.amdhsa_next_free_vgpr 19
		.amdhsa_next_free_sgpr 16
		.amdhsa_reserve_vcc 1
		.amdhsa_float_round_mode_32 0
		.amdhsa_float_round_mode_16_64 0
		.amdhsa_float_denorm_mode_32 3
		.amdhsa_float_denorm_mode_16_64 3
		.amdhsa_dx10_clamp 1
		.amdhsa_ieee_mode 1
		.amdhsa_fp16_overflow 0
		.amdhsa_workgroup_processor_mode 1
		.amdhsa_memory_ordered 1
		.amdhsa_forward_progress 0
		.amdhsa_shared_vgpr_count 0
		.amdhsa_exception_fp_ieee_invalid_op 0
		.amdhsa_exception_fp_denorm_src 0
		.amdhsa_exception_fp_ieee_div_zero 0
		.amdhsa_exception_fp_ieee_overflow 0
		.amdhsa_exception_fp_ieee_underflow 0
		.amdhsa_exception_fp_ieee_inexact 0
		.amdhsa_exception_int_div_zero 0
	.end_amdhsa_kernel
	.section	.text._Z19sort_keys_segmentedILj256ELj4ELj1EiN10test_utils4lessEEvPKT2_PS2_PKjT3_,"axG",@progbits,_Z19sort_keys_segmentedILj256ELj4ELj1EiN10test_utils4lessEEvPKT2_PS2_PKjT3_,comdat
.Lfunc_end2:
	.size	_Z19sort_keys_segmentedILj256ELj4ELj1EiN10test_utils4lessEEvPKT2_PS2_PKjT3_, .Lfunc_end2-_Z19sort_keys_segmentedILj256ELj4ELj1EiN10test_utils4lessEEvPKT2_PS2_PKjT3_
                                        ; -- End function
	.section	.AMDGPU.csdata,"",@progbits
; Kernel info:
; codeLenInByte = 1040
; NumSgprs: 18
; NumVgprs: 19
; ScratchSize: 0
; MemoryBound: 0
; FloatMode: 240
; IeeeMode: 1
; LDSByteSize: 1280 bytes/workgroup (compile time only)
; SGPRBlocks: 2
; VGPRBlocks: 2
; NumSGPRsForWavesPerEU: 18
; NumVGPRsForWavesPerEU: 19
; Occupancy: 16
; WaveLimiterHint : 0
; COMPUTE_PGM_RSRC2:SCRATCH_EN: 0
; COMPUTE_PGM_RSRC2:USER_SGPR: 15
; COMPUTE_PGM_RSRC2:TRAP_HANDLER: 0
; COMPUTE_PGM_RSRC2:TGID_X_EN: 1
; COMPUTE_PGM_RSRC2:TGID_Y_EN: 0
; COMPUTE_PGM_RSRC2:TGID_Z_EN: 0
; COMPUTE_PGM_RSRC2:TIDIG_COMP_CNT: 0
	.section	.text._Z20sort_pairs_segmentedILj256ELj4ELj1EiN10test_utils4lessEEvPKT2_PS2_PKjT3_,"axG",@progbits,_Z20sort_pairs_segmentedILj256ELj4ELj1EiN10test_utils4lessEEvPKT2_PS2_PKjT3_,comdat
	.protected	_Z20sort_pairs_segmentedILj256ELj4ELj1EiN10test_utils4lessEEvPKT2_PS2_PKjT3_ ; -- Begin function _Z20sort_pairs_segmentedILj256ELj4ELj1EiN10test_utils4lessEEvPKT2_PS2_PKjT3_
	.globl	_Z20sort_pairs_segmentedILj256ELj4ELj1EiN10test_utils4lessEEvPKT2_PS2_PKjT3_
	.p2align	8
	.type	_Z20sort_pairs_segmentedILj256ELj4ELj1EiN10test_utils4lessEEvPKT2_PS2_PKjT3_,@function
_Z20sort_pairs_segmentedILj256ELj4ELj1EiN10test_utils4lessEEvPKT2_PS2_PKjT3_: ; @_Z20sort_pairs_segmentedILj256ELj4ELj1EiN10test_utils4lessEEvPKT2_PS2_PKjT3_
; %bb.0:
	s_clause 0x1
	s_load_b64 s[2:3], s[0:1], 0x10
	s_load_b128 s[4:7], s[0:1], 0x0
	v_lshrrev_b32_e32 v10, 2, v0
	v_mbcnt_lo_u32_b32 v4, -1, 0
	v_mov_b32_e32 v3, 0
	s_delay_alu instid0(VALU_DEP_3) | instskip(NEXT) | instid1(VALU_DEP_1)
	v_lshl_or_b32 v2, s15, 6, v10
	v_lshlrev_b64 v[0:1], 2, v[2:3]
	v_lshlrev_b32_e32 v2, 2, v2
	s_waitcnt lgkmcnt(0)
	s_delay_alu instid0(VALU_DEP_2) | instskip(NEXT) | instid1(VALU_DEP_3)
	v_add_co_u32 v0, vcc_lo, s2, v0
	v_add_co_ci_u32_e32 v1, vcc_lo, s3, v1, vcc_lo
	global_load_b32 v5, v[0:1], off
	v_and_b32_e32 v0, 3, v4
	s_waitcnt vmcnt(0)
	s_delay_alu instid0(VALU_DEP_1) | instskip(SKIP_1) | instid1(VALU_DEP_1)
	v_cmp_lt_u32_e32 vcc_lo, v0, v5
	v_cmp_ge_u32_e64 s0, v0, v5
	s_and_saveexec_b32 s1, s0
	s_delay_alu instid0(SALU_CYCLE_1)
	s_xor_b32 s0, exec_lo, s1
; %bb.1:
	v_mov_b32_e32 v1, v3
; %bb.2:
	s_or_saveexec_b32 s1, s0
	v_lshlrev_b64 v[2:3], 2, v[2:3]
                                        ; implicit-def: $vgpr7
	s_xor_b32 exec_lo, exec_lo, s1
	s_cbranch_execz .LBB3_4
; %bb.3:
	v_lshlrev_b32_e32 v1, 2, v0
	s_delay_alu instid0(VALU_DEP_2) | instskip(NEXT) | instid1(VALU_DEP_1)
	v_add_co_u32 v6, s0, s4, v2
	v_add_co_ci_u32_e64 v7, s0, s5, v3, s0
	s_delay_alu instid0(VALU_DEP_2) | instskip(NEXT) | instid1(VALU_DEP_1)
	v_add_co_u32 v6, s0, v6, v1
	v_add_co_ci_u32_e64 v7, s0, 0, v7, s0
	v_mov_b32_e32 v1, 0
	global_load_b32 v7, v[6:7], off
.LBB3_4:
	s_or_b32 exec_lo, exec_lo, s1
	v_and_b32_e32 v6, 2, v4
	v_and_b32_e32 v4, 1, v4
	v_lshlrev_b32_e32 v15, 2, v0
	s_mov_b32 s2, 0
	s_mov_b32 s1, exec_lo
	v_min_i32_e32 v11, v5, v6
	v_min_i32_e32 v12, v5, v4
	v_mul_u32_u24_e32 v4, 20, v10
	; wave barrier
	s_delay_alu instid0(VALU_DEP_3) | instskip(SKIP_1) | instid1(VALU_DEP_2)
	v_add_nc_u32_e32 v6, 1, v11
	v_lshlrev_b32_e32 v16, 2, v11
	v_min_i32_e32 v8, v5, v6
	s_delay_alu instid0(VALU_DEP_1) | instskip(SKIP_1) | instid1(VALU_DEP_2)
	v_add_nc_u32_e32 v6, 1, v8
	v_sub_nc_u32_e32 v14, v8, v11
	v_min_i32_e32 v9, v5, v6
	s_delay_alu instid0(VALU_DEP_2) | instskip(NEXT) | instid1(VALU_DEP_2)
	v_min_i32_e32 v14, v12, v14
	v_sub_nc_u32_e32 v6, v9, v8
	s_delay_alu instid0(VALU_DEP_1) | instskip(SKIP_3) | instid1(VALU_DEP_3)
	v_sub_nc_u32_e32 v13, v12, v6
	v_cmp_ge_i32_e64 s0, v12, v6
	v_mad_u32_u24 v6, v10, 20, v15
	v_mad_u32_u24 v10, v10, 20, v16
	v_cndmask_b32_e64 v13, 0, v13, s0
	s_waitcnt vmcnt(0)
	ds_store_b32 v6, v7
	; wave barrier
	v_cmpx_lt_i32_e64 v13, v14
	s_cbranch_execz .LBB3_8
; %bb.5:
	v_lshlrev_b32_e32 v15, 2, v8
	v_lshlrev_b32_e32 v16, 2, v12
	s_delay_alu instid0(VALU_DEP_1)
	v_add3_u32 v15, v4, v15, v16
	.p2align	6
.LBB3_6:                                ; =>This Inner Loop Header: Depth=1
	v_sub_nc_u32_e32 v16, v14, v13
	s_delay_alu instid0(VALU_DEP_1) | instskip(NEXT) | instid1(VALU_DEP_1)
	v_lshrrev_b32_e32 v17, 31, v16
	v_add_nc_u32_e32 v16, v16, v17
	s_delay_alu instid0(VALU_DEP_1) | instskip(NEXT) | instid1(VALU_DEP_1)
	v_ashrrev_i32_e32 v16, 1, v16
	v_add_nc_u32_e32 v16, v16, v13
	s_delay_alu instid0(VALU_DEP_1) | instskip(SKIP_2) | instid1(VALU_DEP_3)
	v_not_b32_e32 v17, v16
	v_lshl_add_u32 v18, v16, 2, v10
	v_add_nc_u32_e32 v19, 1, v16
	v_lshl_add_u32 v17, v17, 2, v15
	ds_load_b32 v18, v18
	ds_load_b32 v17, v17
	s_waitcnt lgkmcnt(0)
	v_cmp_lt_i32_e64 s0, v17, v18
	s_delay_alu instid0(VALU_DEP_1) | instskip(SKIP_1) | instid1(VALU_DEP_1)
	v_cndmask_b32_e64 v14, v14, v16, s0
	v_cndmask_b32_e64 v13, v19, v13, s0
	v_cmp_ge_i32_e64 s0, v13, v14
	s_delay_alu instid0(VALU_DEP_1) | instskip(NEXT) | instid1(SALU_CYCLE_1)
	s_or_b32 s2, s0, s2
	s_and_not1_b32 exec_lo, exec_lo, s2
	s_cbranch_execnz .LBB3_6
; %bb.7:
	s_or_b32 exec_lo, exec_lo, s2
.LBB3_8:
	s_delay_alu instid0(SALU_CYCLE_1) | instskip(SKIP_4) | instid1(VALU_DEP_4)
	s_or_b32 exec_lo, exec_lo, s1
	v_add_nc_u32_e32 v12, v8, v12
	v_lshl_add_u32 v10, v13, 2, v10
	v_add_nc_u32_e32 v11, v13, v11
	v_add_nc_u32_e32 v7, 1, v7
	v_sub_nc_u32_e32 v12, v12, v13
	s_delay_alu instid0(VALU_DEP_3) | instskip(NEXT) | instid1(VALU_DEP_2)
	v_cmp_le_i32_e64 s0, v8, v11
	v_lshl_add_u32 v14, v12, 2, v4
	v_cmp_gt_i32_e64 s2, v9, v12
	ds_load_b32 v15, v10
	ds_load_b32 v14, v14
	v_min_i32_e32 v10, 0, v5
	; wave barrier
	ds_store_b32 v6, v7
	v_add_nc_u32_e32 v8, 2, v10
	; wave barrier
	s_delay_alu instid0(VALU_DEP_1) | instskip(NEXT) | instid1(VALU_DEP_1)
	v_min_i32_e32 v8, v5, v8
	v_add_nc_u32_e32 v9, 2, v8
	v_sub_nc_u32_e32 v13, v8, v10
	s_waitcnt lgkmcnt(1)
	v_cmp_lt_i32_e64 s1, v14, v15
	s_delay_alu instid0(VALU_DEP_3) | instskip(NEXT) | instid1(VALU_DEP_2)
	v_min_i32_e32 v7, v5, v9
	s_or_b32 s0, s0, s1
	s_mov_b32 s1, exec_lo
	s_and_b32 s0, s2, s0
	s_mov_b32 s2, 0
	v_cndmask_b32_e64 v11, v11, v12, s0
	v_cndmask_b32_e64 v14, v15, v14, s0
	s_delay_alu instid0(VALU_DEP_2)
	v_lshl_add_u32 v9, v11, 2, v4
	v_min_i32_e32 v11, v5, v0
	v_sub_nc_u32_e32 v5, v7, v8
	ds_load_b32 v9, v9
	v_min_i32_e32 v13, v11, v13
	v_sub_nc_u32_e32 v12, v11, v5
	v_cmp_ge_i32_e64 s0, v11, v5
	; wave barrier
	ds_store_b32 v6, v14
	v_cndmask_b32_e64 v5, 0, v12, s0
	v_lshl_add_u32 v12, v10, 2, v4
	; wave barrier
	s_delay_alu instid0(VALU_DEP_2)
	v_cmpx_lt_i32_e64 v5, v13
	s_cbranch_execz .LBB3_12
; %bb.9:
	v_lshlrev_b32_e32 v14, 2, v8
	v_lshlrev_b32_e32 v15, 2, v11
	s_delay_alu instid0(VALU_DEP_1)
	v_add3_u32 v14, v4, v14, v15
	.p2align	6
.LBB3_10:                               ; =>This Inner Loop Header: Depth=1
	v_sub_nc_u32_e32 v15, v13, v5
	s_delay_alu instid0(VALU_DEP_1) | instskip(NEXT) | instid1(VALU_DEP_1)
	v_lshrrev_b32_e32 v16, 31, v15
	v_add_nc_u32_e32 v15, v15, v16
	s_delay_alu instid0(VALU_DEP_1) | instskip(NEXT) | instid1(VALU_DEP_1)
	v_ashrrev_i32_e32 v15, 1, v15
	v_add_nc_u32_e32 v15, v15, v5
	s_delay_alu instid0(VALU_DEP_1) | instskip(SKIP_2) | instid1(VALU_DEP_3)
	v_not_b32_e32 v16, v15
	v_lshl_add_u32 v17, v15, 2, v12
	v_add_nc_u32_e32 v18, 1, v15
	v_lshl_add_u32 v16, v16, 2, v14
	ds_load_b32 v17, v17
	ds_load_b32 v16, v16
	s_waitcnt lgkmcnt(0)
	v_cmp_lt_i32_e64 s0, v16, v17
	s_delay_alu instid0(VALU_DEP_1) | instskip(SKIP_1) | instid1(VALU_DEP_1)
	v_cndmask_b32_e64 v13, v13, v15, s0
	v_cndmask_b32_e64 v5, v18, v5, s0
	v_cmp_ge_i32_e64 s0, v5, v13
	s_delay_alu instid0(VALU_DEP_1) | instskip(NEXT) | instid1(SALU_CYCLE_1)
	s_or_b32 s2, s0, s2
	s_and_not1_b32 exec_lo, exec_lo, s2
	s_cbranch_execnz .LBB3_10
; %bb.11:
	s_or_b32 exec_lo, exec_lo, s2
.LBB3_12:
	s_delay_alu instid0(SALU_CYCLE_1) | instskip(SKIP_2) | instid1(VALU_DEP_2)
	s_or_b32 exec_lo, exec_lo, s1
	v_add_nc_u32_e32 v11, v8, v11
	v_lshl_add_u32 v12, v5, 2, v12
	v_sub_nc_u32_e32 v11, v11, v5
	s_delay_alu instid0(VALU_DEP_1)
	v_lshl_add_u32 v13, v11, 2, v4
	ds_load_b32 v12, v12
	ds_load_b32 v13, v13
	; wave barrier
	s_waitcnt lgkmcnt(3)
	ds_store_b32 v6, v9
	; wave barrier
	s_and_saveexec_b32 s0, vcc_lo
	s_cbranch_execz .LBB3_14
; %bb.13:
	v_add_nc_u32_e32 v5, v5, v10
	s_waitcnt lgkmcnt(1)
	v_cmp_lt_i32_e64 s0, v13, v12
	v_cmp_gt_i32_e64 s1, v7, v11
	v_lshlrev_b64 v[0:1], 2, v[0:1]
	v_cmp_le_i32_e32 vcc_lo, v8, v5
	s_delay_alu instid0(VALU_DEP_4)
	s_or_b32 s0, vcc_lo, s0
	s_delay_alu instid0(VALU_DEP_3) | instid1(SALU_CYCLE_1)
	s_and_b32 vcc_lo, s1, s0
	v_dual_cndmask_b32 v6, v12, v13 :: v_dual_cndmask_b32 v5, v5, v11
	v_add_co_u32 v2, vcc_lo, s6, v2
	v_add_co_ci_u32_e32 v3, vcc_lo, s7, v3, vcc_lo
	s_delay_alu instid0(VALU_DEP_3) | instskip(NEXT) | instid1(VALU_DEP_3)
	v_lshl_add_u32 v4, v5, 2, v4
	v_add_co_u32 v0, vcc_lo, v2, v0
	s_delay_alu instid0(VALU_DEP_3)
	v_add_co_ci_u32_e32 v1, vcc_lo, v3, v1, vcc_lo
	ds_load_b32 v4, v4
	s_waitcnt lgkmcnt(0)
	v_add_nc_u32_e32 v2, v4, v6
	global_store_b32 v[0:1], v2, off
.LBB3_14:
	s_nop 0
	s_sendmsg sendmsg(MSG_DEALLOC_VGPRS)
	s_endpgm
	.section	.rodata,"a",@progbits
	.p2align	6, 0x0
	.amdhsa_kernel _Z20sort_pairs_segmentedILj256ELj4ELj1EiN10test_utils4lessEEvPKT2_PS2_PKjT3_
		.amdhsa_group_segment_fixed_size 1280
		.amdhsa_private_segment_fixed_size 0
		.amdhsa_kernarg_size 28
		.amdhsa_user_sgpr_count 15
		.amdhsa_user_sgpr_dispatch_ptr 0
		.amdhsa_user_sgpr_queue_ptr 0
		.amdhsa_user_sgpr_kernarg_segment_ptr 1
		.amdhsa_user_sgpr_dispatch_id 0
		.amdhsa_user_sgpr_private_segment_size 0
		.amdhsa_wavefront_size32 1
		.amdhsa_uses_dynamic_stack 0
		.amdhsa_enable_private_segment 0
		.amdhsa_system_sgpr_workgroup_id_x 1
		.amdhsa_system_sgpr_workgroup_id_y 0
		.amdhsa_system_sgpr_workgroup_id_z 0
		.amdhsa_system_sgpr_workgroup_info 0
		.amdhsa_system_vgpr_workitem_id 0
		.amdhsa_next_free_vgpr 20
		.amdhsa_next_free_sgpr 16
		.amdhsa_reserve_vcc 1
		.amdhsa_float_round_mode_32 0
		.amdhsa_float_round_mode_16_64 0
		.amdhsa_float_denorm_mode_32 3
		.amdhsa_float_denorm_mode_16_64 3
		.amdhsa_dx10_clamp 1
		.amdhsa_ieee_mode 1
		.amdhsa_fp16_overflow 0
		.amdhsa_workgroup_processor_mode 1
		.amdhsa_memory_ordered 1
		.amdhsa_forward_progress 0
		.amdhsa_shared_vgpr_count 0
		.amdhsa_exception_fp_ieee_invalid_op 0
		.amdhsa_exception_fp_denorm_src 0
		.amdhsa_exception_fp_ieee_div_zero 0
		.amdhsa_exception_fp_ieee_overflow 0
		.amdhsa_exception_fp_ieee_underflow 0
		.amdhsa_exception_fp_ieee_inexact 0
		.amdhsa_exception_int_div_zero 0
	.end_amdhsa_kernel
	.section	.text._Z20sort_pairs_segmentedILj256ELj4ELj1EiN10test_utils4lessEEvPKT2_PS2_PKjT3_,"axG",@progbits,_Z20sort_pairs_segmentedILj256ELj4ELj1EiN10test_utils4lessEEvPKT2_PS2_PKjT3_,comdat
.Lfunc_end3:
	.size	_Z20sort_pairs_segmentedILj256ELj4ELj1EiN10test_utils4lessEEvPKT2_PS2_PKjT3_, .Lfunc_end3-_Z20sort_pairs_segmentedILj256ELj4ELj1EiN10test_utils4lessEEvPKT2_PS2_PKjT3_
                                        ; -- End function
	.section	.AMDGPU.csdata,"",@progbits
; Kernel info:
; codeLenInByte = 1104
; NumSgprs: 18
; NumVgprs: 20
; ScratchSize: 0
; MemoryBound: 0
; FloatMode: 240
; IeeeMode: 1
; LDSByteSize: 1280 bytes/workgroup (compile time only)
; SGPRBlocks: 2
; VGPRBlocks: 2
; NumSGPRsForWavesPerEU: 18
; NumVGPRsForWavesPerEU: 20
; Occupancy: 16
; WaveLimiterHint : 0
; COMPUTE_PGM_RSRC2:SCRATCH_EN: 0
; COMPUTE_PGM_RSRC2:USER_SGPR: 15
; COMPUTE_PGM_RSRC2:TRAP_HANDLER: 0
; COMPUTE_PGM_RSRC2:TGID_X_EN: 1
; COMPUTE_PGM_RSRC2:TGID_Y_EN: 0
; COMPUTE_PGM_RSRC2:TGID_Z_EN: 0
; COMPUTE_PGM_RSRC2:TIDIG_COMP_CNT: 0
	.section	.text._Z9sort_keysILj256ELj4ELj4EiN10test_utils4lessEEvPKT2_PS2_T3_,"axG",@progbits,_Z9sort_keysILj256ELj4ELj4EiN10test_utils4lessEEvPKT2_PS2_T3_,comdat
	.protected	_Z9sort_keysILj256ELj4ELj4EiN10test_utils4lessEEvPKT2_PS2_T3_ ; -- Begin function _Z9sort_keysILj256ELj4ELj4EiN10test_utils4lessEEvPKT2_PS2_T3_
	.globl	_Z9sort_keysILj256ELj4ELj4EiN10test_utils4lessEEvPKT2_PS2_T3_
	.p2align	8
	.type	_Z9sort_keysILj256ELj4ELj4EiN10test_utils4lessEEvPKT2_PS2_T3_,@function
_Z9sort_keysILj256ELj4ELj4EiN10test_utils4lessEEvPKT2_PS2_T3_: ; @_Z9sort_keysILj256ELj4ELj4EiN10test_utils4lessEEvPKT2_PS2_T3_
; %bb.0:
	s_load_b128 s[4:7], s[0:1], 0x0
	s_mov_b32 s3, 0
	s_lshl_b32 s2, s15, 10
	v_lshlrev_b32_e32 v1, 4, v0
	s_lshl_b64 s[8:9], s[2:3], 2
	v_lshrrev_b32_e32 v7, 2, v0
	v_lshlrev_b32_e32 v4, 2, v0
	s_waitcnt lgkmcnt(0)
	s_add_u32 s0, s4, s8
	s_addc_u32 s1, s5, s9
	global_load_b128 v[10:13], v1, s[0:1]
	v_mbcnt_lo_u32_b32 v1, -1, 0
	; wave barrier
	s_waitcnt vmcnt(0)
	v_cmp_lt_i32_e32 vcc_lo, v11, v10
	v_min_i32_e32 v15, v11, v10
	v_max_i32_e32 v16, v11, v10
	v_cmp_lt_i32_e64 s0, v13, v12
	v_min_i32_e32 v17, v13, v12
	v_cndmask_b32_e32 v0, v10, v11, vcc_lo
	v_max_i32_e32 v19, v13, v12
	v_cndmask_b32_e32 v10, v11, v10, vcc_lo
	v_cndmask_b32_e64 v18, v13, v12, s0
	v_cndmask_b32_e64 v11, v12, v13, s0
	v_max_i32_e32 v12, v17, v16
	v_cmp_lt_i32_e32 vcc_lo, v17, v16
	v_lshlrev_b32_e32 v2, 2, v1
	v_min_i32_e32 v13, v17, v16
	v_cmp_lt_i32_e64 s0, v17, v15
	v_cmp_gt_i32_e64 s1, v16, v19
	v_cndmask_b32_e32 v11, v11, v16, vcc_lo
	v_dual_cndmask_b32 v10, v10, v17 :: v_dual_and_b32 v1, 12, v2
	s_delay_alu instid0(VALU_DEP_4)
	v_cndmask_b32_e64 v16, v0, v13, s0
	v_cndmask_b32_e64 v13, v13, v15, s0
	;; [unrolled: 1-line block ×6, first 2 shown]
	v_lshlrev_b32_e32 v8, 2, v1
	v_and_b32_e32 v9, 4, v2
	v_cmp_lt_i32_e32 vcc_lo, v12, v13
	v_and_b32_e32 v6, 8, v2
	s_delay_alu instid0(VALU_DEP_4) | instskip(SKIP_1) | instid1(VALU_DEP_3)
	v_mad_u32_u24 v2, 0x44, v7, v8
	v_cndmask_b32_e32 v13, v15, v13, vcc_lo
	v_or_b32_e32 v5, 4, v6
	v_dual_cndmask_b32 v10, v10, v12 :: v_dual_add_nc_u32 v3, 8, v6
	v_lshlrev_b32_e32 v14, 2, v6
	ds_store_2addr_b32 v2, v16, v10 offset1:1
	ds_store_2addr_b32 v2, v13, v17 offset0:2 offset1:3
	v_sub_nc_u32_e32 v8, v3, v5
	v_sub_nc_u32_e32 v0, v5, v6
	; wave barrier
	s_delay_alu instid0(VALU_DEP_2) | instskip(SKIP_1) | instid1(VALU_DEP_3)
	v_sub_nc_u32_e32 v18, v9, v8
	v_cmp_ge_i32_e64 s0, v9, v8
	v_min_i32_e32 v0, v9, v0
	v_mad_u32_u24 v8, 0x44, v7, v14
	s_delay_alu instid0(VALU_DEP_3) | instskip(SKIP_1) | instid1(VALU_DEP_1)
	v_cndmask_b32_e64 v11, 0, v18, s0
	s_mov_b32 s0, exec_lo
	v_cmpx_lt_i32_e64 v11, v0
	s_cbranch_execz .LBB4_4
; %bb.1:
	v_lshlrev_b32_e32 v10, 2, v9
	s_delay_alu instid0(VALU_DEP_1)
	v_add3_u32 v10, v8, v10, 16
	.p2align	6
.LBB4_2:                                ; =>This Inner Loop Header: Depth=1
	v_sub_nc_u32_e32 v12, v0, v11
	s_delay_alu instid0(VALU_DEP_1) | instskip(NEXT) | instid1(VALU_DEP_1)
	v_lshrrev_b32_e32 v13, 31, v12
	v_add_nc_u32_e32 v12, v12, v13
	s_delay_alu instid0(VALU_DEP_1) | instskip(NEXT) | instid1(VALU_DEP_1)
	v_ashrrev_i32_e32 v12, 1, v12
	v_add_nc_u32_e32 v12, v12, v11
	s_delay_alu instid0(VALU_DEP_1) | instskip(SKIP_2) | instid1(VALU_DEP_3)
	v_not_b32_e32 v13, v12
	v_lshl_add_u32 v14, v12, 2, v8
	v_add_nc_u32_e32 v15, 1, v12
	v_lshl_add_u32 v13, v13, 2, v10
	ds_load_b32 v14, v14
	ds_load_b32 v13, v13
	s_waitcnt lgkmcnt(0)
	v_cmp_lt_i32_e32 vcc_lo, v13, v14
	v_dual_cndmask_b32 v11, v15, v11 :: v_dual_cndmask_b32 v0, v0, v12
	s_delay_alu instid0(VALU_DEP_1) | instskip(SKIP_1) | instid1(SALU_CYCLE_1)
	v_cmp_ge_i32_e32 vcc_lo, v11, v0
	s_or_b32 s3, vcc_lo, s3
	s_and_not1_b32 exec_lo, exec_lo, s3
	s_cbranch_execnz .LBB4_2
; %bb.3:
	s_or_b32 exec_lo, exec_lo, s3
.LBB4_4:
	s_delay_alu instid0(SALU_CYCLE_1)
	s_or_b32 exec_lo, exec_lo, s0
	v_mul_u32_u24_e32 v0, 0x44, v7
	v_add_nc_u32_e32 v7, v6, v9
	v_lshl_add_u32 v14, v11, 2, v8
	v_add_nc_u32_e32 v9, v5, v9
	v_cmp_lt_i32_e32 vcc_lo, 3, v11
                                        ; implicit-def: $vgpr10
	s_delay_alu instid0(VALU_DEP_4) | instskip(NEXT) | instid1(VALU_DEP_3)
	v_sub_nc_u32_e32 v7, v7, v11
	v_sub_nc_u32_e32 v12, v9, v11
                                        ; implicit-def: $vgpr9
	s_delay_alu instid0(VALU_DEP_2)
	v_lshl_add_u32 v13, v7, 2, v0
	ds_load_b32 v7, v14
	ds_load_b32 v8, v13 offset:16
	v_cmp_gt_i32_e64 s1, v3, v12
	s_waitcnt lgkmcnt(0)
	v_cmp_lt_i32_e64 s0, v8, v7
	s_delay_alu instid0(VALU_DEP_1)
	s_or_b32 s0, vcc_lo, s0
	s_delay_alu instid0(VALU_DEP_2) | instid1(SALU_CYCLE_1)
	s_and_b32 vcc_lo, s1, s0
	s_delay_alu instid0(SALU_CYCLE_1) | instskip(NEXT) | instid1(SALU_CYCLE_1)
	s_xor_b32 s0, vcc_lo, -1
	s_and_saveexec_b32 s1, s0
	s_delay_alu instid0(SALU_CYCLE_1)
	s_xor_b32 s0, exec_lo, s1
	s_cbranch_execz .LBB4_6
; %bb.5:
	ds_load_b32 v10, v14 offset:4
	v_mov_b32_e32 v9, v8
                                        ; implicit-def: $vgpr13
.LBB4_6:
	s_and_not1_saveexec_b32 s0, s0
	s_cbranch_execz .LBB4_8
; %bb.7:
	ds_load_b32 v9, v13 offset:20
	s_waitcnt lgkmcnt(1)
	v_mov_b32_e32 v10, v7
.LBB4_8:
	s_or_b32 exec_lo, exec_lo, s0
	v_add_nc_u32_e32 v6, v11, v6
	s_waitcnt lgkmcnt(0)
	s_delay_alu instid0(VALU_DEP_2) | instskip(NEXT) | instid1(VALU_DEP_2)
	v_cmp_lt_i32_e64 s1, v9, v10
	v_add_nc_u32_e32 v11, 1, v6
	s_delay_alu instid0(VALU_DEP_1) | instskip(NEXT) | instid1(VALU_DEP_1)
	v_dual_cndmask_b32 v13, v11, v6 :: v_dual_add_nc_u32 v14, 1, v12
	v_cndmask_b32_e32 v12, v12, v14, vcc_lo
                                        ; implicit-def: $vgpr6
	s_delay_alu instid0(VALU_DEP_2) | instskip(NEXT) | instid1(VALU_DEP_2)
	v_cmp_ge_i32_e64 s0, v13, v5
	v_cmp_lt_i32_e64 s2, v12, v3
	s_delay_alu instid0(VALU_DEP_2)
	s_or_b32 s0, s0, s1
	s_delay_alu instid0(VALU_DEP_1) | instid1(SALU_CYCLE_1)
	s_and_b32 s0, s2, s0
	s_delay_alu instid0(SALU_CYCLE_1) | instskip(NEXT) | instid1(SALU_CYCLE_1)
	s_xor_b32 s1, s0, -1
	s_and_saveexec_b32 s2, s1
	s_delay_alu instid0(SALU_CYCLE_1)
	s_xor_b32 s1, exec_lo, s2
	s_cbranch_execz .LBB4_10
; %bb.9:
	v_lshl_add_u32 v6, v13, 2, v0
	ds_load_b32 v6, v6 offset:4
.LBB4_10:
	s_or_saveexec_b32 s1, s1
	v_mov_b32_e32 v11, v9
	s_xor_b32 exec_lo, exec_lo, s1
	s_cbranch_execz .LBB4_12
; %bb.11:
	s_waitcnt lgkmcnt(0)
	v_lshl_add_u32 v6, v12, 2, v0
	ds_load_b32 v11, v6 offset:4
	v_mov_b32_e32 v6, v10
.LBB4_12:
	s_or_b32 exec_lo, exec_lo, s1
	v_add_nc_u32_e32 v14, 1, v13
	v_add_nc_u32_e32 v15, 1, v12
	s_waitcnt lgkmcnt(0)
	v_cmp_lt_i32_e64 s2, v11, v6
	s_delay_alu instid0(VALU_DEP_3) | instskip(NEXT) | instid1(VALU_DEP_3)
	v_cndmask_b32_e64 v14, v14, v13, s0
	v_cndmask_b32_e64 v13, v12, v15, s0
                                        ; implicit-def: $vgpr12
	s_delay_alu instid0(VALU_DEP_2) | instskip(NEXT) | instid1(VALU_DEP_2)
	v_cmp_ge_i32_e64 s1, v14, v5
	v_cmp_lt_i32_e64 s3, v13, v3
	s_delay_alu instid0(VALU_DEP_2)
	s_or_b32 s1, s1, s2
	s_delay_alu instid0(VALU_DEP_1) | instid1(SALU_CYCLE_1)
	s_and_b32 s1, s3, s1
	s_delay_alu instid0(SALU_CYCLE_1) | instskip(NEXT) | instid1(SALU_CYCLE_1)
	s_xor_b32 s2, s1, -1
	s_and_saveexec_b32 s3, s2
	s_delay_alu instid0(SALU_CYCLE_1)
	s_xor_b32 s2, exec_lo, s3
	s_cbranch_execz .LBB4_14
; %bb.13:
	v_lshl_add_u32 v12, v14, 2, v0
	ds_load_b32 v12, v12 offset:4
.LBB4_14:
	s_or_saveexec_b32 s2, s2
	v_mov_b32_e32 v15, v11
	s_xor_b32 exec_lo, exec_lo, s2
	s_cbranch_execz .LBB4_16
; %bb.15:
	s_waitcnt lgkmcnt(0)
	v_lshl_add_u32 v12, v13, 2, v0
	ds_load_b32 v15, v12 offset:4
	v_mov_b32_e32 v12, v6
.LBB4_16:
	s_or_b32 exec_lo, exec_lo, s2
	v_add_nc_u32_e32 v16, 1, v14
	v_dual_cndmask_b32 v8, v7, v8 :: v_dual_add_nc_u32 v17, 1, v13
	v_cndmask_b32_e64 v6, v6, v11, s1
	v_sub_nc_u32_e64 v7, v1, 8 clamp
	s_delay_alu instid0(VALU_DEP_4) | instskip(NEXT) | instid1(VALU_DEP_4)
	v_cndmask_b32_e64 v14, v16, v14, s1
	v_cndmask_b32_e64 v13, v13, v17, s1
	s_waitcnt lgkmcnt(0)
	v_cmp_lt_i32_e64 s1, v15, v12
	; wave barrier
	s_delay_alu instid0(VALU_DEP_3) | instskip(SKIP_3) | instid1(VALU_DEP_4)
	v_cmp_ge_i32_e64 s2, v14, v5
	v_cndmask_b32_e64 v5, v10, v9, s0
	v_cmp_lt_i32_e64 s0, v13, v3
	v_min_i32_e32 v3, 8, v1
	s_or_b32 s1, s2, s1
	s_delay_alu instid0(VALU_DEP_2) | instid1(SALU_CYCLE_1)
	s_and_b32 vcc_lo, s0, s1
	s_mov_b32 s0, exec_lo
	v_cndmask_b32_e32 v9, v12, v15, vcc_lo
	ds_store_2addr_b32 v2, v8, v5 offset1:1
	ds_store_2addr_b32 v2, v6, v9 offset0:2 offset1:3
	; wave barrier
	v_cmpx_lt_u32_e64 v7, v3
	s_cbranch_execz .LBB4_20
; %bb.17:
	v_add_nc_u32_e32 v2, 32, v2
	s_mov_b32 s1, 0
	.p2align	6
.LBB4_18:                               ; =>This Inner Loop Header: Depth=1
	v_sub_nc_u32_e32 v5, v3, v7
	s_delay_alu instid0(VALU_DEP_1) | instskip(NEXT) | instid1(VALU_DEP_1)
	v_lshrrev_b32_e32 v6, 31, v5
	v_add_nc_u32_e32 v5, v5, v6
	s_delay_alu instid0(VALU_DEP_1) | instskip(NEXT) | instid1(VALU_DEP_1)
	v_ashrrev_i32_e32 v5, 1, v5
	v_add_nc_u32_e32 v5, v5, v7
	s_delay_alu instid0(VALU_DEP_1) | instskip(SKIP_2) | instid1(VALU_DEP_3)
	v_not_b32_e32 v6, v5
	v_lshl_add_u32 v8, v5, 2, v0
	v_add_nc_u32_e32 v9, 1, v5
	v_lshl_add_u32 v6, v6, 2, v2
	ds_load_b32 v8, v8
	ds_load_b32 v6, v6
	s_waitcnt lgkmcnt(0)
	v_cmp_lt_i32_e32 vcc_lo, v6, v8
	v_cndmask_b32_e32 v3, v3, v5, vcc_lo
	v_cndmask_b32_e32 v7, v9, v7, vcc_lo
	s_delay_alu instid0(VALU_DEP_1) | instskip(SKIP_1) | instid1(SALU_CYCLE_1)
	v_cmp_ge_i32_e32 vcc_lo, v7, v3
	s_or_b32 s1, vcc_lo, s1
	s_and_not1_b32 exec_lo, exec_lo, s1
	s_cbranch_execnz .LBB4_18
; %bb.19:
	s_or_b32 exec_lo, exec_lo, s1
.LBB4_20:
	s_delay_alu instid0(SALU_CYCLE_1) | instskip(SKIP_3) | instid1(VALU_DEP_3)
	s_or_b32 exec_lo, exec_lo, s0
	v_sub_nc_u32_e32 v1, v1, v7
	v_lshl_add_u32 v9, v7, 2, v0
	v_cmp_lt_i32_e32 vcc_lo, 7, v7
                                        ; implicit-def: $vgpr6
	v_lshl_add_u32 v8, v1, 2, v0
	v_add_nc_u32_e32 v2, 8, v1
                                        ; implicit-def: $vgpr1
	ds_load_b32 v3, v9
	ds_load_b32 v5, v8 offset:32
	v_cmp_gt_i32_e64 s1, 16, v2
	s_waitcnt lgkmcnt(0)
	v_cmp_lt_i32_e64 s0, v5, v3
	s_delay_alu instid0(VALU_DEP_1)
	s_or_b32 s0, vcc_lo, s0
	s_delay_alu instid0(VALU_DEP_2) | instid1(SALU_CYCLE_1)
	s_and_b32 vcc_lo, s1, s0
	s_delay_alu instid0(SALU_CYCLE_1) | instskip(NEXT) | instid1(SALU_CYCLE_1)
	s_xor_b32 s0, vcc_lo, -1
	s_and_saveexec_b32 s1, s0
	s_delay_alu instid0(SALU_CYCLE_1)
	s_xor_b32 s0, exec_lo, s1
	s_cbranch_execz .LBB4_22
; %bb.21:
	ds_load_b32 v6, v9 offset:4
	v_mov_b32_e32 v1, v5
                                        ; implicit-def: $vgpr8
.LBB4_22:
	s_and_not1_saveexec_b32 s0, s0
	s_cbranch_execz .LBB4_24
; %bb.23:
	ds_load_b32 v1, v8 offset:36
	s_waitcnt lgkmcnt(1)
	v_mov_b32_e32 v6, v3
.LBB4_24:
	s_or_b32 exec_lo, exec_lo, s0
	v_add_nc_u32_e32 v8, 1, v7
	v_add_nc_u32_e32 v10, 1, v2
	s_waitcnt lgkmcnt(0)
	v_cmp_lt_i32_e64 s1, v1, v6
	s_delay_alu instid0(VALU_DEP_2) | instskip(NEXT) | instid1(VALU_DEP_1)
	v_dual_cndmask_b32 v9, v8, v7 :: v_dual_cndmask_b32 v2, v2, v10
                                        ; implicit-def: $vgpr8
	v_cmp_lt_i32_e64 s0, 7, v9
	s_delay_alu instid0(VALU_DEP_2) | instskip(NEXT) | instid1(VALU_DEP_2)
	v_cmp_gt_i32_e64 s2, 16, v2
	s_or_b32 s0, s0, s1
	s_delay_alu instid0(VALU_DEP_1) | instid1(SALU_CYCLE_1)
	s_and_b32 s0, s2, s0
	s_delay_alu instid0(SALU_CYCLE_1) | instskip(NEXT) | instid1(SALU_CYCLE_1)
	s_xor_b32 s1, s0, -1
	s_and_saveexec_b32 s2, s1
	s_delay_alu instid0(SALU_CYCLE_1)
	s_xor_b32 s1, exec_lo, s2
	s_cbranch_execz .LBB4_26
; %bb.25:
	v_lshl_add_u32 v7, v9, 2, v0
	ds_load_b32 v8, v7 offset:4
.LBB4_26:
	s_or_saveexec_b32 s1, s1
	v_mov_b32_e32 v7, v1
	s_xor_b32 exec_lo, exec_lo, s1
	s_cbranch_execz .LBB4_28
; %bb.27:
	v_lshl_add_u32 v7, v2, 2, v0
	s_waitcnt lgkmcnt(0)
	v_mov_b32_e32 v8, v6
	ds_load_b32 v7, v7 offset:4
.LBB4_28:
	s_or_b32 exec_lo, exec_lo, s1
	v_add_nc_u32_e32 v10, 1, v9
	v_add_nc_u32_e32 v12, 1, v2
	s_waitcnt lgkmcnt(0)
	v_cmp_ge_i32_e64 s2, v7, v8
	s_delay_alu instid0(VALU_DEP_3) | instskip(NEXT) | instid1(VALU_DEP_3)
	v_cndmask_b32_e64 v11, v10, v9, s0
	v_cndmask_b32_e64 v9, v2, v12, s0
                                        ; implicit-def: $vgpr10
                                        ; implicit-def: $vgpr12
	s_delay_alu instid0(VALU_DEP_2) | instskip(NEXT) | instid1(VALU_DEP_2)
	v_cmp_gt_i32_e64 s1, 8, v11
	v_cmp_lt_i32_e64 s3, 15, v9
	s_delay_alu instid0(VALU_DEP_2)
	s_and_b32 s1, s1, s2
	s_delay_alu instid0(VALU_DEP_1) | instid1(SALU_CYCLE_1)
	s_or_b32 s1, s3, s1
	s_delay_alu instid0(SALU_CYCLE_1) | instskip(NEXT) | instid1(SALU_CYCLE_1)
	s_and_saveexec_b32 s2, s1
	s_xor_b32 s1, exec_lo, s2
	s_cbranch_execz .LBB4_30
; %bb.29:
	v_lshl_add_u32 v0, v11, 2, v0
	v_add_nc_u32_e32 v12, 1, v11
                                        ; implicit-def: $vgpr11
	ds_load_b32 v10, v0 offset:4
                                        ; implicit-def: $vgpr0
.LBB4_30:
	s_or_saveexec_b32 s1, s1
	v_mov_b32_e32 v2, v8
	s_xor_b32 exec_lo, exec_lo, s1
	s_cbranch_execz .LBB4_32
; %bb.31:
	v_lshl_add_u32 v0, v9, 2, v0
	v_dual_mov_b32 v2, v7 :: v_dual_add_nc_u32 v9, 1, v9
	s_waitcnt lgkmcnt(0)
	v_mov_b32_e32 v10, v8
	ds_load_b32 v0, v0 offset:4
	s_waitcnt lgkmcnt(0)
	v_dual_mov_b32 v12, v11 :: v_dual_mov_b32 v7, v0
.LBB4_32:
	s_or_b32 exec_lo, exec_lo, s1
	s_delay_alu instid0(VALU_DEP_1) | instskip(SKIP_1) | instid1(VALU_DEP_2)
	v_cmp_lt_i32_e64 s1, 7, v12
	s_waitcnt lgkmcnt(0)
	v_cmp_lt_i32_e64 s2, v7, v10
	v_cmp_gt_i32_e64 s3, 16, v9
	v_cndmask_b32_e64 v1, v6, v1, s0
	v_cndmask_b32_e32 v0, v3, v5, vcc_lo
	v_lshlrev_b32_e32 v4, 2, v4
	s_or_b32 s0, s1, s2
	s_delay_alu instid0(SALU_CYCLE_1)
	s_and_b32 vcc_lo, s3, s0
	s_add_u32 s0, s6, s8
	v_cndmask_b32_e32 v3, v10, v7, vcc_lo
	s_addc_u32 s1, s7, s9
	global_store_b128 v4, v[0:3], s[0:1]
	s_nop 0
	s_sendmsg sendmsg(MSG_DEALLOC_VGPRS)
	s_endpgm
	.section	.rodata,"a",@progbits
	.p2align	6, 0x0
	.amdhsa_kernel _Z9sort_keysILj256ELj4ELj4EiN10test_utils4lessEEvPKT2_PS2_T3_
		.amdhsa_group_segment_fixed_size 4352
		.amdhsa_private_segment_fixed_size 0
		.amdhsa_kernarg_size 20
		.amdhsa_user_sgpr_count 15
		.amdhsa_user_sgpr_dispatch_ptr 0
		.amdhsa_user_sgpr_queue_ptr 0
		.amdhsa_user_sgpr_kernarg_segment_ptr 1
		.amdhsa_user_sgpr_dispatch_id 0
		.amdhsa_user_sgpr_private_segment_size 0
		.amdhsa_wavefront_size32 1
		.amdhsa_uses_dynamic_stack 0
		.amdhsa_enable_private_segment 0
		.amdhsa_system_sgpr_workgroup_id_x 1
		.amdhsa_system_sgpr_workgroup_id_y 0
		.amdhsa_system_sgpr_workgroup_id_z 0
		.amdhsa_system_sgpr_workgroup_info 0
		.amdhsa_system_vgpr_workitem_id 0
		.amdhsa_next_free_vgpr 20
		.amdhsa_next_free_sgpr 16
		.amdhsa_reserve_vcc 1
		.amdhsa_float_round_mode_32 0
		.amdhsa_float_round_mode_16_64 0
		.amdhsa_float_denorm_mode_32 3
		.amdhsa_float_denorm_mode_16_64 3
		.amdhsa_dx10_clamp 1
		.amdhsa_ieee_mode 1
		.amdhsa_fp16_overflow 0
		.amdhsa_workgroup_processor_mode 1
		.amdhsa_memory_ordered 1
		.amdhsa_forward_progress 0
		.amdhsa_shared_vgpr_count 0
		.amdhsa_exception_fp_ieee_invalid_op 0
		.amdhsa_exception_fp_denorm_src 0
		.amdhsa_exception_fp_ieee_div_zero 0
		.amdhsa_exception_fp_ieee_overflow 0
		.amdhsa_exception_fp_ieee_underflow 0
		.amdhsa_exception_fp_ieee_inexact 0
		.amdhsa_exception_int_div_zero 0
	.end_amdhsa_kernel
	.section	.text._Z9sort_keysILj256ELj4ELj4EiN10test_utils4lessEEvPKT2_PS2_T3_,"axG",@progbits,_Z9sort_keysILj256ELj4ELj4EiN10test_utils4lessEEvPKT2_PS2_T3_,comdat
.Lfunc_end4:
	.size	_Z9sort_keysILj256ELj4ELj4EiN10test_utils4lessEEvPKT2_PS2_T3_, .Lfunc_end4-_Z9sort_keysILj256ELj4ELj4EiN10test_utils4lessEEvPKT2_PS2_T3_
                                        ; -- End function
	.section	.AMDGPU.csdata,"",@progbits
; Kernel info:
; codeLenInByte = 1800
; NumSgprs: 18
; NumVgprs: 20
; ScratchSize: 0
; MemoryBound: 0
; FloatMode: 240
; IeeeMode: 1
; LDSByteSize: 4352 bytes/workgroup (compile time only)
; SGPRBlocks: 2
; VGPRBlocks: 2
; NumSGPRsForWavesPerEU: 18
; NumVGPRsForWavesPerEU: 20
; Occupancy: 16
; WaveLimiterHint : 0
; COMPUTE_PGM_RSRC2:SCRATCH_EN: 0
; COMPUTE_PGM_RSRC2:USER_SGPR: 15
; COMPUTE_PGM_RSRC2:TRAP_HANDLER: 0
; COMPUTE_PGM_RSRC2:TGID_X_EN: 1
; COMPUTE_PGM_RSRC2:TGID_Y_EN: 0
; COMPUTE_PGM_RSRC2:TGID_Z_EN: 0
; COMPUTE_PGM_RSRC2:TIDIG_COMP_CNT: 0
	.section	.text._Z10sort_pairsILj256ELj4ELj4EiN10test_utils4lessEEvPKT2_PS2_T3_,"axG",@progbits,_Z10sort_pairsILj256ELj4ELj4EiN10test_utils4lessEEvPKT2_PS2_T3_,comdat
	.protected	_Z10sort_pairsILj256ELj4ELj4EiN10test_utils4lessEEvPKT2_PS2_T3_ ; -- Begin function _Z10sort_pairsILj256ELj4ELj4EiN10test_utils4lessEEvPKT2_PS2_T3_
	.globl	_Z10sort_pairsILj256ELj4ELj4EiN10test_utils4lessEEvPKT2_PS2_T3_
	.p2align	8
	.type	_Z10sort_pairsILj256ELj4ELj4EiN10test_utils4lessEEvPKT2_PS2_T3_,@function
_Z10sort_pairsILj256ELj4ELj4EiN10test_utils4lessEEvPKT2_PS2_T3_: ; @_Z10sort_pairsILj256ELj4ELj4EiN10test_utils4lessEEvPKT2_PS2_T3_
; %bb.0:
	s_load_b128 s[8:11], s[0:1], 0x0
	s_mov_b32 s7, 0
	s_lshl_b32 s6, s15, 10
	v_lshlrev_b32_e32 v1, 4, v0
	s_lshl_b64 s[12:13], s[6:7], 2
	v_mbcnt_lo_u32_b32 v5, -1, 0
	v_lshrrev_b32_e32 v6, 2, v0
	s_mov_b32 s6, exec_lo
	s_delay_alu instid0(VALU_DEP_2) | instskip(NEXT) | instid1(VALU_DEP_1)
	v_lshlrev_b32_e32 v8, 2, v5
	v_and_b32_e32 v15, 8, v8
	v_and_b32_e32 v7, 12, v8
	s_delay_alu instid0(VALU_DEP_2)
	v_or_b32_e32 v9, 4, v15
	s_waitcnt lgkmcnt(0)
	s_add_u32 s0, s8, s12
	s_addc_u32 s1, s9, s13
	v_lshlrev_b32_e32 v18, 2, v15
	global_load_b128 v[1:4], v1, s[0:1]
	; wave barrier
	s_waitcnt vmcnt(0)
	v_cmp_lt_i32_e32 vcc_lo, v2, v1
	v_and_b32_e32 v12, 4, v8
	v_min_i32_e32 v11, v4, v3
	v_cmp_lt_i32_e64 s1, v4, v3
	v_dual_cndmask_b32 v10, v1, v2 :: v_dual_lshlrev_b32 v5, 2, v0
	v_dual_cndmask_b32 v13, v2, v1 :: v_dual_add_nc_u32 v8, 8, v15
	s_delay_alu instid0(VALU_DEP_3) | instskip(SKIP_2) | instid1(VALU_DEP_4)
	v_cndmask_b32_e64 v16, v3, v4, s1
	v_cndmask_b32_e64 v14, v4, v3, s1
	v_lshlrev_b32_e32 v0, 2, v7
	v_cmp_lt_i32_e64 s3, v11, v13
	v_min_i32_e32 v17, v11, v13
	s_delay_alu instid0(VALU_DEP_3) | instskip(NEXT) | instid1(VALU_DEP_3)
	v_mad_u32_u24 v0, 0x44, v6, v0
	v_cndmask_b32_e64 v16, v16, v13, s3
	v_cndmask_b32_e64 v11, v13, v11, s3
	s_delay_alu instid0(VALU_DEP_4) | instskip(SKIP_1) | instid1(VALU_DEP_4)
	v_cmp_lt_i32_e64 s0, v17, v10
	v_sub_nc_u32_e32 v13, v8, v9
	v_min_i32_e32 v19, v14, v16
	v_cmp_lt_i32_e64 s2, v14, v16
	s_delay_alu instid0(VALU_DEP_4)
	v_cndmask_b32_e64 v17, v10, v17, s0
	v_cndmask_b32_e64 v10, v11, v10, s0
	v_sub_nc_u32_e32 v11, v9, v15
	v_sub_nc_u32_e32 v20, v12, v13
	v_cndmask_b32_e64 v21, v14, v16, s2
	v_cndmask_b32_e64 v14, v16, v14, s2
	v_cmp_lt_i32_e64 s4, v19, v10
	v_cmp_ge_i32_e64 s5, v12, v13
	v_min_i32_e32 v11, v12, v11
	s_delay_alu instid0(VALU_DEP_3) | instskip(NEXT) | instid1(VALU_DEP_3)
	v_cndmask_b32_e64 v13, v14, v10, s4
	v_cndmask_b32_e64 v16, 0, v20, s5
	;; [unrolled: 1-line block ×3, first 2 shown]
	v_mad_u32_u24 v10, 0x44, v6, v18
	ds_store_2addr_b32 v0, v17, v14 offset1:1
	ds_store_2addr_b32 v0, v13, v21 offset0:2 offset1:3
	; wave barrier
	v_cmpx_lt_i32_e64 v16, v11
	s_cbranch_execz .LBB5_4
; %bb.1:
	v_lshlrev_b32_e32 v13, 2, v12
	s_delay_alu instid0(VALU_DEP_1)
	v_add3_u32 v13, v10, v13, 16
	.p2align	6
.LBB5_2:                                ; =>This Inner Loop Header: Depth=1
	v_sub_nc_u32_e32 v14, v11, v16
	s_delay_alu instid0(VALU_DEP_1) | instskip(NEXT) | instid1(VALU_DEP_1)
	v_lshrrev_b32_e32 v17, 31, v14
	v_add_nc_u32_e32 v14, v14, v17
	s_delay_alu instid0(VALU_DEP_1) | instskip(NEXT) | instid1(VALU_DEP_1)
	v_ashrrev_i32_e32 v14, 1, v14
	v_add_nc_u32_e32 v14, v14, v16
	s_delay_alu instid0(VALU_DEP_1) | instskip(SKIP_2) | instid1(VALU_DEP_3)
	v_not_b32_e32 v17, v14
	v_lshl_add_u32 v18, v14, 2, v10
	v_add_nc_u32_e32 v19, 1, v14
	v_lshl_add_u32 v17, v17, 2, v13
	ds_load_b32 v18, v18
	ds_load_b32 v17, v17
	s_waitcnt lgkmcnt(0)
	v_cmp_lt_i32_e64 s5, v17, v18
	s_delay_alu instid0(VALU_DEP_1) | instskip(SKIP_1) | instid1(VALU_DEP_1)
	v_cndmask_b32_e64 v11, v11, v14, s5
	v_cndmask_b32_e64 v16, v19, v16, s5
	v_cmp_ge_i32_e64 s5, v16, v11
	s_delay_alu instid0(VALU_DEP_1) | instskip(NEXT) | instid1(SALU_CYCLE_1)
	s_or_b32 s7, s5, s7
	s_and_not1_b32 exec_lo, exec_lo, s7
	s_cbranch_execnz .LBB5_2
; %bb.3:
	s_or_b32 exec_lo, exec_lo, s7
.LBB5_4:
	s_delay_alu instid0(SALU_CYCLE_1)
	s_or_b32 exec_lo, exec_lo, s6
	v_add_nc_u32_e32 v11, v15, v12
	v_mul_u32_u24_e32 v6, 0x44, v6
	v_lshl_add_u32 v18, v16, 2, v10
	v_add_nc_u32_e32 v12, v9, v12
	v_cmp_lt_i32_e64 s5, 3, v16
	v_sub_nc_u32_e32 v11, v11, v16
                                        ; implicit-def: $vgpr13
	s_delay_alu instid0(VALU_DEP_3) | instskip(NEXT) | instid1(VALU_DEP_2)
	v_sub_nc_u32_e32 v14, v12, v16
                                        ; implicit-def: $vgpr12
	v_lshl_add_u32 v17, v11, 2, v6
	ds_load_b32 v10, v18
	ds_load_b32 v11, v17 offset:16
	v_cmp_gt_i32_e64 s7, v8, v14
	s_waitcnt lgkmcnt(0)
	v_cmp_lt_i32_e64 s6, v11, v10
	s_delay_alu instid0(VALU_DEP_1)
	s_or_b32 s5, s5, s6
	s_delay_alu instid0(VALU_DEP_2) | instid1(SALU_CYCLE_1)
	s_and_b32 s5, s7, s5
	s_delay_alu instid0(SALU_CYCLE_1) | instskip(NEXT) | instid1(SALU_CYCLE_1)
	s_xor_b32 s6, s5, -1
	s_and_saveexec_b32 s7, s6
	s_delay_alu instid0(SALU_CYCLE_1)
	s_xor_b32 s6, exec_lo, s7
	s_cbranch_execz .LBB5_6
; %bb.5:
	ds_load_b32 v13, v18 offset:4
	v_mov_b32_e32 v12, v11
                                        ; implicit-def: $vgpr17
.LBB5_6:
	s_and_not1_saveexec_b32 s6, s6
	s_cbranch_execz .LBB5_8
; %bb.7:
	ds_load_b32 v12, v17 offset:20
	s_waitcnt lgkmcnt(1)
	v_mov_b32_e32 v13, v10
.LBB5_8:
	s_or_b32 exec_lo, exec_lo, s6
	v_add_nc_u32_e32 v17, v16, v15
	v_add_nc_u32_e32 v16, 1, v14
	s_waitcnt lgkmcnt(0)
	v_cmp_lt_i32_e64 s7, v12, v13
	s_delay_alu instid0(VALU_DEP_3) | instskip(NEXT) | instid1(VALU_DEP_3)
	v_add_nc_u32_e32 v15, 1, v17
	v_cndmask_b32_e64 v19, v14, v16, s5
	s_delay_alu instid0(VALU_DEP_2) | instskip(NEXT) | instid1(VALU_DEP_2)
	v_cndmask_b32_e64 v18, v15, v17, s5
	v_cmp_lt_i32_e64 s8, v19, v8
                                        ; implicit-def: $vgpr15
	s_delay_alu instid0(VALU_DEP_2) | instskip(NEXT) | instid1(VALU_DEP_1)
	v_cmp_ge_i32_e64 s6, v18, v9
	s_or_b32 s6, s6, s7
	s_delay_alu instid0(VALU_DEP_2) | instid1(SALU_CYCLE_1)
	s_and_b32 s6, s8, s6
	s_delay_alu instid0(SALU_CYCLE_1) | instskip(NEXT) | instid1(SALU_CYCLE_1)
	s_xor_b32 s7, s6, -1
	s_and_saveexec_b32 s8, s7
	s_delay_alu instid0(SALU_CYCLE_1)
	s_xor_b32 s7, exec_lo, s8
	s_cbranch_execz .LBB5_10
; %bb.9:
	v_lshl_add_u32 v15, v18, 2, v6
	ds_load_b32 v15, v15 offset:4
.LBB5_10:
	s_or_saveexec_b32 s7, s7
	v_mov_b32_e32 v16, v12
	s_xor_b32 exec_lo, exec_lo, s7
	s_cbranch_execz .LBB5_12
; %bb.11:
	s_waitcnt lgkmcnt(0)
	v_lshl_add_u32 v15, v19, 2, v6
	ds_load_b32 v16, v15 offset:4
	v_mov_b32_e32 v15, v13
.LBB5_12:
	s_or_b32 exec_lo, exec_lo, s7
	v_add_nc_u32_e32 v20, 1, v18
	v_add_nc_u32_e32 v22, 1, v19
	s_waitcnt lgkmcnt(0)
	v_cmp_lt_i32_e64 s8, v16, v15
	s_delay_alu instid0(VALU_DEP_3) | instskip(NEXT) | instid1(VALU_DEP_3)
	v_cndmask_b32_e64 v21, v20, v18, s6
	v_cndmask_b32_e64 v22, v19, v22, s6
                                        ; implicit-def: $vgpr20
	s_delay_alu instid0(VALU_DEP_2) | instskip(NEXT) | instid1(VALU_DEP_2)
	v_cmp_ge_i32_e64 s7, v21, v9
	v_cmp_lt_i32_e64 s9, v22, v8
	s_delay_alu instid0(VALU_DEP_2)
	s_or_b32 s7, s7, s8
	s_delay_alu instid0(VALU_DEP_1) | instid1(SALU_CYCLE_1)
	s_and_b32 s7, s9, s7
	s_delay_alu instid0(SALU_CYCLE_1) | instskip(NEXT) | instid1(SALU_CYCLE_1)
	s_xor_b32 s8, s7, -1
	s_and_saveexec_b32 s9, s8
	s_delay_alu instid0(SALU_CYCLE_1)
	s_xor_b32 s8, exec_lo, s9
	s_cbranch_execz .LBB5_14
; %bb.13:
	v_lshl_add_u32 v20, v21, 2, v6
	ds_load_b32 v20, v20 offset:4
.LBB5_14:
	s_or_saveexec_b32 s8, s8
	v_mov_b32_e32 v23, v16
	s_xor_b32 exec_lo, exec_lo, s8
	s_cbranch_execz .LBB5_16
; %bb.15:
	s_waitcnt lgkmcnt(0)
	v_lshl_add_u32 v20, v22, 2, v6
	ds_load_b32 v23, v20 offset:4
	v_mov_b32_e32 v20, v15
.LBB5_16:
	s_or_b32 exec_lo, exec_lo, s8
	v_add_nc_u32_e32 v24, 1, v22
	v_add_nc_u32_e32 v25, 1, v21
	;; [unrolled: 1-line block ×3, first 2 shown]
	v_cndmask_b32_e64 v18, v18, v19, s6
	v_cndmask_b32_e64 v14, v17, v14, s5
	;; [unrolled: 1-line block ×4, first 2 shown]
	v_add_nc_u32_e32 v1, 1, v1
	v_add_nc_u32_e32 v3, 1, v3
	;; [unrolled: 1-line block ×3, first 2 shown]
	v_cndmask_b32_e64 v21, v21, v22, s7
	s_delay_alu instid0(VALU_DEP_4) | instskip(NEXT) | instid1(VALU_DEP_3)
	v_dual_cndmask_b32 v26, v2, v1 :: v_dual_cndmask_b32 v1, v1, v2
	v_cndmask_b32_e64 v27, v3, v4, s1
	v_cndmask_b32_e64 v2, v4, v3, s1
	v_cmp_ge_i32_e32 vcc_lo, v25, v9
	s_waitcnt lgkmcnt(0)
	v_cmp_lt_i32_e64 s1, v23, v20
	; wave barrier
	v_cndmask_b32_e64 v3, v26, v27, s3
	v_cndmask_b32_e64 v4, v27, v26, s3
	;; [unrolled: 1-line block ×3, first 2 shown]
	s_delay_alu instid0(VALU_DEP_4)
	s_or_b32 s1, vcc_lo, s1
	v_min_i32_e32 v9, 8, v7
	v_cndmask_b32_e64 v17, v3, v1, s0
	v_cndmask_b32_e64 v19, v4, v2, s2
	v_cndmask_b32_e64 v1, v1, v3, s0
	v_cmp_lt_i32_e64 s0, v24, v8
	v_cndmask_b32_e64 v2, v2, v4, s2
	v_cndmask_b32_e64 v10, v10, v11, s5
	;; [unrolled: 1-line block ×4, first 2 shown]
	s_and_b32 vcc_lo, s0, s1
	ds_store_2addr_b32 v0, v1, v4 offset1:1
	ds_store_2addr_b32 v0, v3, v2 offset0:2 offset1:3
	v_cndmask_b32_e32 v8, v25, v24, vcc_lo
	v_lshl_add_u32 v1, v14, 2, v6
	v_lshl_add_u32 v2, v18, 2, v6
	;; [unrolled: 1-line block ×3, first 2 shown]
	s_delay_alu instid0(VALU_DEP_4)
	v_lshl_add_u32 v4, v8, 2, v6
	; wave barrier
	ds_load_b32 v1, v1
	ds_load_b32 v2, v2
	;; [unrolled: 1-line block ×4, first 2 shown]
	v_sub_nc_u32_e64 v8, v7, 8 clamp
	v_cndmask_b32_e32 v17, v20, v23, vcc_lo
	v_cndmask_b32_e64 v11, v15, v16, s7
	s_mov_b32 s0, exec_lo
	; wave barrier
	ds_store_2addr_b32 v0, v10, v12 offset1:1
	ds_store_2addr_b32 v0, v11, v17 offset0:2 offset1:3
	; wave barrier
	v_cmpx_lt_u32_e64 v8, v9
	s_cbranch_execz .LBB5_20
; %bb.17:
	v_add_nc_u32_e32 v10, 32, v0
	s_mov_b32 s1, 0
	.p2align	6
.LBB5_18:                               ; =>This Inner Loop Header: Depth=1
	v_sub_nc_u32_e32 v11, v9, v8
	s_delay_alu instid0(VALU_DEP_1) | instskip(NEXT) | instid1(VALU_DEP_1)
	v_lshrrev_b32_e32 v12, 31, v11
	v_add_nc_u32_e32 v11, v11, v12
	s_delay_alu instid0(VALU_DEP_1) | instskip(NEXT) | instid1(VALU_DEP_1)
	v_ashrrev_i32_e32 v11, 1, v11
	v_add_nc_u32_e32 v11, v11, v8
	s_delay_alu instid0(VALU_DEP_1) | instskip(SKIP_2) | instid1(VALU_DEP_3)
	v_not_b32_e32 v12, v11
	v_lshl_add_u32 v13, v11, 2, v6
	v_add_nc_u32_e32 v14, 1, v11
	v_lshl_add_u32 v12, v12, 2, v10
	ds_load_b32 v13, v13
	ds_load_b32 v12, v12
	s_waitcnt lgkmcnt(0)
	v_cmp_lt_i32_e32 vcc_lo, v12, v13
	v_dual_cndmask_b32 v9, v9, v11 :: v_dual_cndmask_b32 v8, v14, v8
	s_delay_alu instid0(VALU_DEP_1) | instskip(SKIP_1) | instid1(SALU_CYCLE_1)
	v_cmp_ge_i32_e32 vcc_lo, v8, v9
	s_or_b32 s1, vcc_lo, s1
	s_and_not1_b32 exec_lo, exec_lo, s1
	s_cbranch_execnz .LBB5_18
; %bb.19:
	s_or_b32 exec_lo, exec_lo, s1
.LBB5_20:
	s_delay_alu instid0(SALU_CYCLE_1) | instskip(SKIP_3) | instid1(VALU_DEP_3)
	s_or_b32 exec_lo, exec_lo, s0
	v_sub_nc_u32_e32 v10, v7, v8
	v_lshl_add_u32 v14, v8, 2, v6
	v_cmp_lt_i32_e32 vcc_lo, 7, v8
                                        ; implicit-def: $vgpr11
	v_lshl_add_u32 v13, v10, 2, v6
	v_add_nc_u32_e32 v12, 8, v10
                                        ; implicit-def: $vgpr10
	ds_load_b32 v7, v14
	ds_load_b32 v9, v13 offset:32
	v_cmp_gt_i32_e64 s1, 16, v12
	s_waitcnt lgkmcnt(0)
	v_cmp_lt_i32_e64 s0, v9, v7
	s_delay_alu instid0(VALU_DEP_1)
	s_or_b32 s0, vcc_lo, s0
	s_delay_alu instid0(VALU_DEP_2) | instid1(SALU_CYCLE_1)
	s_and_b32 vcc_lo, s1, s0
	s_delay_alu instid0(SALU_CYCLE_1) | instskip(NEXT) | instid1(SALU_CYCLE_1)
	s_xor_b32 s0, vcc_lo, -1
	s_and_saveexec_b32 s1, s0
	s_delay_alu instid0(SALU_CYCLE_1)
	s_xor_b32 s0, exec_lo, s1
	s_cbranch_execz .LBB5_22
; %bb.21:
	ds_load_b32 v11, v14 offset:4
	v_mov_b32_e32 v10, v9
                                        ; implicit-def: $vgpr13
.LBB5_22:
	s_and_not1_saveexec_b32 s0, s0
	s_cbranch_execz .LBB5_24
; %bb.23:
	ds_load_b32 v10, v13 offset:36
	s_waitcnt lgkmcnt(1)
	v_mov_b32_e32 v11, v7
.LBB5_24:
	s_or_b32 exec_lo, exec_lo, s0
	v_add_nc_u32_e32 v14, 1, v12
	v_add_nc_u32_e32 v13, 1, v8
	s_waitcnt lgkmcnt(0)
	v_cmp_lt_i32_e64 s1, v10, v11
                                        ; implicit-def: $vgpr16
	s_delay_alu instid0(VALU_DEP_2) | instskip(NEXT) | instid1(VALU_DEP_1)
	v_dual_cndmask_b32 v14, v12, v14 :: v_dual_cndmask_b32 v13, v13, v8
	v_cmp_gt_i32_e64 s2, 16, v14
	s_delay_alu instid0(VALU_DEP_2) | instskip(NEXT) | instid1(VALU_DEP_1)
	v_cmp_lt_i32_e64 s0, 7, v13
	s_or_b32 s0, s0, s1
	s_delay_alu instid0(VALU_DEP_2) | instid1(SALU_CYCLE_1)
	s_and_b32 s0, s2, s0
	s_delay_alu instid0(SALU_CYCLE_1) | instskip(NEXT) | instid1(SALU_CYCLE_1)
	s_xor_b32 s1, s0, -1
	s_and_saveexec_b32 s2, s1
	s_delay_alu instid0(SALU_CYCLE_1)
	s_xor_b32 s1, exec_lo, s2
	s_cbranch_execz .LBB5_26
; %bb.25:
	v_lshl_add_u32 v15, v13, 2, v6
	ds_load_b32 v16, v15 offset:4
.LBB5_26:
	s_or_saveexec_b32 s1, s1
	v_mov_b32_e32 v15, v10
	s_xor_b32 exec_lo, exec_lo, s1
	s_cbranch_execz .LBB5_28
; %bb.27:
	v_lshl_add_u32 v15, v14, 2, v6
	s_waitcnt lgkmcnt(0)
	v_mov_b32_e32 v16, v11
	ds_load_b32 v15, v15 offset:4
.LBB5_28:
	s_or_b32 exec_lo, exec_lo, s1
	v_add_nc_u32_e32 v17, 1, v13
	v_add_nc_u32_e32 v18, 1, v14
	s_waitcnt lgkmcnt(0)
	v_cmp_ge_i32_e64 s2, v15, v16
                                        ; implicit-def: $vgpr20
                                        ; implicit-def: $vgpr19
	s_delay_alu instid0(VALU_DEP_3) | instskip(NEXT) | instid1(VALU_DEP_3)
	v_cndmask_b32_e64 v21, v17, v13, s0
	v_cndmask_b32_e64 v17, v14, v18, s0
	s_delay_alu instid0(VALU_DEP_2) | instskip(NEXT) | instid1(VALU_DEP_2)
	v_cmp_gt_i32_e64 s1, 8, v21
	v_cmp_lt_i32_e64 s3, 15, v17
	s_delay_alu instid0(VALU_DEP_2)
	s_and_b32 s1, s1, s2
	s_delay_alu instid0(VALU_DEP_1) | instid1(SALU_CYCLE_1)
	s_or_b32 s1, s3, s1
	s_delay_alu instid0(SALU_CYCLE_1) | instskip(NEXT) | instid1(SALU_CYCLE_1)
	s_and_saveexec_b32 s2, s1
	s_xor_b32 s1, exec_lo, s2
	s_cbranch_execz .LBB5_30
; %bb.29:
	v_lshl_add_u32 v18, v21, 2, v6
	v_add_nc_u32_e32 v19, 1, v21
	ds_load_b32 v20, v18 offset:4
.LBB5_30:
	s_or_saveexec_b32 s1, s1
	v_mov_b32_e32 v18, v16
	v_mov_b32_e32 v22, v21
	s_xor_b32 exec_lo, exec_lo, s1
	s_cbranch_execz .LBB5_32
; %bb.31:
	v_lshl_add_u32 v18, v17, 2, v6
	s_waitcnt lgkmcnt(0)
	v_dual_mov_b32 v19, v21 :: v_dual_add_nc_u32 v20, 1, v17
	ds_load_b32 v23, v18 offset:4
	v_mov_b32_e32 v18, v15
	v_dual_mov_b32 v22, v17 :: v_dual_mov_b32 v17, v20
	s_waitcnt lgkmcnt(0)
	v_dual_mov_b32 v20, v16 :: v_dual_mov_b32 v15, v23
.LBB5_32:
	s_or_b32 exec_lo, exec_lo, s1
	v_cmp_lt_i32_e64 s1, 7, v19
	s_waitcnt lgkmcnt(0)
	s_delay_alu instid0(VALU_DEP_2) | instskip(SKIP_3) | instid1(VALU_DEP_4)
	v_cmp_lt_i32_e64 s2, v15, v20
	v_cmp_gt_i32_e64 s3, 16, v17
	v_cndmask_b32_e32 v8, v8, v12, vcc_lo
	v_cndmask_b32_e64 v13, v13, v14, s0
	s_or_b32 s1, s1, s2
	; wave barrier
	s_delay_alu instid0(VALU_DEP_3) | instid1(SALU_CYCLE_1)
	s_and_b32 s1, s3, s1
	ds_store_2addr_b32 v0, v1, v2 offset1:1
	ds_store_2addr_b32 v0, v3, v4 offset0:2 offset1:3
	v_cndmask_b32_e64 v14, v19, v17, s1
	v_lshl_add_u32 v0, v8, 2, v6
	v_lshl_add_u32 v1, v13, 2, v6
	;; [unrolled: 1-line block ×3, first 2 shown]
	s_delay_alu instid0(VALU_DEP_4)
	v_lshl_add_u32 v3, v14, 2, v6
	; wave barrier
	ds_load_b32 v0, v0
	ds_load_b32 v1, v1
	;; [unrolled: 1-line block ×4, first 2 shown]
	v_cndmask_b32_e64 v12, v20, v15, s1
	v_cndmask_b32_e32 v4, v7, v9, vcc_lo
	v_cndmask_b32_e64 v6, v11, v10, s0
	s_add_u32 s0, s10, s12
	s_addc_u32 s1, s11, s13
	s_waitcnt lgkmcnt(3)
	v_add_nc_u32_e32 v0, v0, v4
	s_waitcnt lgkmcnt(2)
	v_add_nc_u32_e32 v1, v1, v6
	;; [unrolled: 2-line block ×4, first 2 shown]
	v_lshlrev_b32_e32 v4, 2, v5
	global_store_b128 v4, v[0:3], s[0:1]
	s_nop 0
	s_sendmsg sendmsg(MSG_DEALLOC_VGPRS)
	s_endpgm
	.section	.rodata,"a",@progbits
	.p2align	6, 0x0
	.amdhsa_kernel _Z10sort_pairsILj256ELj4ELj4EiN10test_utils4lessEEvPKT2_PS2_T3_
		.amdhsa_group_segment_fixed_size 4352
		.amdhsa_private_segment_fixed_size 0
		.amdhsa_kernarg_size 20
		.amdhsa_user_sgpr_count 15
		.amdhsa_user_sgpr_dispatch_ptr 0
		.amdhsa_user_sgpr_queue_ptr 0
		.amdhsa_user_sgpr_kernarg_segment_ptr 1
		.amdhsa_user_sgpr_dispatch_id 0
		.amdhsa_user_sgpr_private_segment_size 0
		.amdhsa_wavefront_size32 1
		.amdhsa_uses_dynamic_stack 0
		.amdhsa_enable_private_segment 0
		.amdhsa_system_sgpr_workgroup_id_x 1
		.amdhsa_system_sgpr_workgroup_id_y 0
		.amdhsa_system_sgpr_workgroup_id_z 0
		.amdhsa_system_sgpr_workgroup_info 0
		.amdhsa_system_vgpr_workitem_id 0
		.amdhsa_next_free_vgpr 28
		.amdhsa_next_free_sgpr 16
		.amdhsa_reserve_vcc 1
		.amdhsa_float_round_mode_32 0
		.amdhsa_float_round_mode_16_64 0
		.amdhsa_float_denorm_mode_32 3
		.amdhsa_float_denorm_mode_16_64 3
		.amdhsa_dx10_clamp 1
		.amdhsa_ieee_mode 1
		.amdhsa_fp16_overflow 0
		.amdhsa_workgroup_processor_mode 1
		.amdhsa_memory_ordered 1
		.amdhsa_forward_progress 0
		.amdhsa_shared_vgpr_count 0
		.amdhsa_exception_fp_ieee_invalid_op 0
		.amdhsa_exception_fp_denorm_src 0
		.amdhsa_exception_fp_ieee_div_zero 0
		.amdhsa_exception_fp_ieee_overflow 0
		.amdhsa_exception_fp_ieee_underflow 0
		.amdhsa_exception_fp_ieee_inexact 0
		.amdhsa_exception_int_div_zero 0
	.end_amdhsa_kernel
	.section	.text._Z10sort_pairsILj256ELj4ELj4EiN10test_utils4lessEEvPKT2_PS2_T3_,"axG",@progbits,_Z10sort_pairsILj256ELj4ELj4EiN10test_utils4lessEEvPKT2_PS2_T3_,comdat
.Lfunc_end5:
	.size	_Z10sort_pairsILj256ELj4ELj4EiN10test_utils4lessEEvPKT2_PS2_T3_, .Lfunc_end5-_Z10sort_pairsILj256ELj4ELj4EiN10test_utils4lessEEvPKT2_PS2_T3_
                                        ; -- End function
	.section	.AMDGPU.csdata,"",@progbits
; Kernel info:
; codeLenInByte = 2196
; NumSgprs: 18
; NumVgprs: 28
; ScratchSize: 0
; MemoryBound: 0
; FloatMode: 240
; IeeeMode: 1
; LDSByteSize: 4352 bytes/workgroup (compile time only)
; SGPRBlocks: 2
; VGPRBlocks: 3
; NumSGPRsForWavesPerEU: 18
; NumVGPRsForWavesPerEU: 28
; Occupancy: 16
; WaveLimiterHint : 0
; COMPUTE_PGM_RSRC2:SCRATCH_EN: 0
; COMPUTE_PGM_RSRC2:USER_SGPR: 15
; COMPUTE_PGM_RSRC2:TRAP_HANDLER: 0
; COMPUTE_PGM_RSRC2:TGID_X_EN: 1
; COMPUTE_PGM_RSRC2:TGID_Y_EN: 0
; COMPUTE_PGM_RSRC2:TGID_Z_EN: 0
; COMPUTE_PGM_RSRC2:TIDIG_COMP_CNT: 0
	.section	.text._Z19sort_keys_segmentedILj256ELj4ELj4EiN10test_utils4lessEEvPKT2_PS2_PKjT3_,"axG",@progbits,_Z19sort_keys_segmentedILj256ELj4ELj4EiN10test_utils4lessEEvPKT2_PS2_PKjT3_,comdat
	.protected	_Z19sort_keys_segmentedILj256ELj4ELj4EiN10test_utils4lessEEvPKT2_PS2_PKjT3_ ; -- Begin function _Z19sort_keys_segmentedILj256ELj4ELj4EiN10test_utils4lessEEvPKT2_PS2_PKjT3_
	.globl	_Z19sort_keys_segmentedILj256ELj4ELj4EiN10test_utils4lessEEvPKT2_PS2_PKjT3_
	.p2align	8
	.type	_Z19sort_keys_segmentedILj256ELj4ELj4EiN10test_utils4lessEEvPKT2_PS2_PKjT3_,@function
_Z19sort_keys_segmentedILj256ELj4ELj4EiN10test_utils4lessEEvPKT2_PS2_PKjT3_: ; @_Z19sort_keys_segmentedILj256ELj4ELj4EiN10test_utils4lessEEvPKT2_PS2_PKjT3_
; %bb.0:
	s_clause 0x1
	s_load_b64 s[2:3], s[0:1], 0x10
	s_load_b128 s[8:11], s[0:1], 0x0
	v_lshrrev_b32_e32 v13, 2, v0
	s_delay_alu instid0(VALU_DEP_1) | instskip(SKIP_1) | instid1(VALU_DEP_1)
	v_lshl_or_b32 v0, s15, 6, v13
	v_mov_b32_e32 v1, 0
	v_lshlrev_b64 v[2:3], 2, v[0:1]
	v_lshlrev_b32_e32 v0, 4, v0
	s_delay_alu instid0(VALU_DEP_1) | instskip(SKIP_1) | instid1(VALU_DEP_3)
	v_lshlrev_b64 v[4:5], 2, v[0:1]
	s_waitcnt lgkmcnt(0)
	v_add_co_u32 v2, vcc_lo, s2, v2
	s_delay_alu instid0(VALU_DEP_4) | instskip(NEXT) | instid1(VALU_DEP_3)
	v_add_co_ci_u32_e32 v3, vcc_lo, s3, v3, vcc_lo
	v_add_co_u32 v0, vcc_lo, s8, v4
	global_load_b32 v9, v[2:3], off
	v_mbcnt_lo_u32_b32 v2, -1, 0
	v_add_co_ci_u32_e32 v1, vcc_lo, s9, v5, vcc_lo
	s_delay_alu instid0(VALU_DEP_2) | instskip(NEXT) | instid1(VALU_DEP_1)
	v_lshlrev_b32_e32 v11, 2, v2
	v_and_b32_e32 v10, 12, v11
	s_delay_alu instid0(VALU_DEP_1) | instskip(NEXT) | instid1(VALU_DEP_1)
	v_lshlrev_b32_e32 v8, 2, v10
	v_add_co_u32 v6, vcc_lo, v0, v8
	v_add_co_ci_u32_e32 v7, vcc_lo, 0, v1, vcc_lo
                                        ; implicit-def: $vgpr0_vgpr1_vgpr2_vgpr3
	s_waitcnt vmcnt(0)
	v_cmp_lt_u32_e32 vcc_lo, v10, v9
	s_and_saveexec_b32 s0, vcc_lo
	s_cbranch_execz .LBB6_2
; %bb.1:
	global_load_b32 v0, v[6:7], off
.LBB6_2:
	s_or_b32 exec_lo, exec_lo, s0
	v_or_b32_e32 v12, 1, v10
	s_delay_alu instid0(VALU_DEP_1) | instskip(NEXT) | instid1(VALU_DEP_1)
	v_cmp_lt_u32_e64 s0, v12, v9
	s_and_saveexec_b32 s1, s0
	s_cbranch_execz .LBB6_4
; %bb.3:
	global_load_b32 v1, v[6:7], off offset:4
.LBB6_4:
	s_or_b32 exec_lo, exec_lo, s1
	v_or_b32_e32 v14, 2, v10
	s_delay_alu instid0(VALU_DEP_1) | instskip(NEXT) | instid1(VALU_DEP_1)
	v_cmp_lt_u32_e64 s1, v14, v9
	s_and_saveexec_b32 s2, s1
	s_cbranch_execz .LBB6_6
; %bb.5:
	global_load_b32 v2, v[6:7], off offset:8
.LBB6_6:
	;; [unrolled: 9-line block ×3, first 2 shown]
	s_or_b32 exec_lo, exec_lo, s3
	v_cmp_lt_i32_e64 s3, v14, v9
	v_cmp_lt_i32_e64 s4, v15, v9
	;; [unrolled: 1-line block ×3, first 2 shown]
	s_mov_b32 s6, exec_lo
	s_delay_alu instid0(VALU_DEP_2) | instskip(SKIP_4) | instid1(SALU_CYCLE_1)
	s_or_b32 s3, s4, s3
	s_waitcnt vmcnt(0)
	v_cndmask_b32_e64 v3, 0x7fffffff, v3, s4
	v_cndmask_b32_e64 v2, 0x7fffffff, v2, s3
	s_or_b32 s3, s3, s5
	v_cndmask_b32_e64 v1, 0x7fffffff, v1, s3
	v_cmpx_lt_i32_e64 v10, v9
	s_cbranch_execz .LBB6_10
; %bb.9:
	v_cmp_lt_i32_e64 s3, v3, v2
	s_delay_alu instid0(VALU_DEP_3) | instskip(SKIP_2) | instid1(VALU_DEP_4)
	v_cmp_lt_i32_e64 s4, v1, v0
	v_max_i32_e32 v7, v1, v0
	v_min_i32_e32 v14, v3, v2
	v_cndmask_b32_e64 v12, v3, v2, s3
	s_delay_alu instid0(VALU_DEP_4)
	v_cndmask_b32_e64 v6, v0, v1, s4
	v_cndmask_b32_e64 v15, v2, v3, s3
	;; [unrolled: 1-line block ×3, first 2 shown]
	v_min_i32_e32 v1, v1, v0
	v_max_i32_e32 v2, v3, v2
	v_cmp_lt_i32_e64 s3, v14, v7
	v_min_i32_e32 v3, v14, v7
	v_max_i32_e32 v17, v14, v7
	v_cmp_lt_i32_e64 s4, v14, v1
	v_cmp_gt_i32_e64 s5, v7, v2
	v_cndmask_b32_e64 v15, v15, v7, s3
	v_cndmask_b32_e64 v7, v16, v14, s3
	s_delay_alu instid0(VALU_DEP_4)
	v_cndmask_b32_e64 v0, v6, v3, s4
	v_cndmask_b32_e64 v6, v3, v1, s4
	;; [unrolled: 1-line block ×6, first 2 shown]
	s_delay_alu instid0(VALU_DEP_3) | instskip(NEXT) | instid1(VALU_DEP_1)
	v_cmp_lt_i32_e64 s3, v12, v6
	v_cndmask_b32_e64 v2, v2, v6, s3
	s_delay_alu instid0(VALU_DEP_4)
	v_cndmask_b32_e64 v1, v1, v12, s3
.LBB6_10:
	s_or_b32 exec_lo, exec_lo, s6
	v_and_b32_e32 v6, 8, v11
	v_and_b32_e32 v11, 4, v11
	s_mov_b32 s5, 0
	s_mov_b32 s4, exec_lo
	s_delay_alu instid0(VALU_DEP_2) | instskip(NEXT) | instid1(VALU_DEP_2)
	v_min_i32_e32 v14, v9, v6
	v_min_i32_e32 v15, v9, v11
	; wave barrier
	s_delay_alu instid0(VALU_DEP_2) | instskip(SKIP_1) | instid1(VALU_DEP_2)
	v_add_nc_u32_e32 v6, 4, v14
	v_lshlrev_b32_e32 v19, 2, v14
	v_min_i32_e32 v12, v9, v6
	s_delay_alu instid0(VALU_DEP_1) | instskip(SKIP_1) | instid1(VALU_DEP_2)
	v_add_nc_u32_e32 v6, 4, v12
	v_sub_nc_u32_e32 v16, v12, v14
	v_min_i32_e32 v7, v9, v6
	v_mul_u32_u24_e32 v6, 0x44, v13
	s_delay_alu instid0(VALU_DEP_3) | instskip(NEXT) | instid1(VALU_DEP_3)
	v_min_i32_e32 v17, v15, v16
	v_sub_nc_u32_e32 v11, v7, v12
	s_delay_alu instid0(VALU_DEP_1)
	v_sub_nc_u32_e32 v18, v15, v11
	v_cmp_ge_i32_e64 s3, v15, v11
	v_mad_u32_u24 v11, 0x44, v13, v8
	v_mad_u32_u24 v13, 0x44, v13, v19
	ds_store_2addr_b32 v11, v0, v1 offset1:1
	ds_store_2addr_b32 v11, v2, v3 offset0:2 offset1:3
	v_cndmask_b32_e64 v16, 0, v18, s3
	; wave barrier
	s_delay_alu instid0(VALU_DEP_1)
	v_cmpx_lt_i32_e64 v16, v17
	s_cbranch_execz .LBB6_14
; %bb.11:
	v_lshlrev_b32_e32 v0, 2, v12
	v_lshlrev_b32_e32 v1, 2, v15
	s_delay_alu instid0(VALU_DEP_1)
	v_add3_u32 v0, v6, v0, v1
	.p2align	6
.LBB6_12:                               ; =>This Inner Loop Header: Depth=1
	v_sub_nc_u32_e32 v1, v17, v16
	s_delay_alu instid0(VALU_DEP_1) | instskip(NEXT) | instid1(VALU_DEP_1)
	v_lshrrev_b32_e32 v2, 31, v1
	v_add_nc_u32_e32 v1, v1, v2
	s_delay_alu instid0(VALU_DEP_1) | instskip(NEXT) | instid1(VALU_DEP_1)
	v_ashrrev_i32_e32 v1, 1, v1
	v_add_nc_u32_e32 v1, v1, v16
	s_delay_alu instid0(VALU_DEP_1) | instskip(SKIP_2) | instid1(VALU_DEP_3)
	v_not_b32_e32 v2, v1
	v_lshl_add_u32 v3, v1, 2, v13
	v_add_nc_u32_e32 v18, 1, v1
	v_lshl_add_u32 v2, v2, 2, v0
	ds_load_b32 v3, v3
	ds_load_b32 v2, v2
	s_waitcnt lgkmcnt(0)
	v_cmp_lt_i32_e64 s3, v2, v3
	s_delay_alu instid0(VALU_DEP_1) | instskip(SKIP_1) | instid1(VALU_DEP_1)
	v_cndmask_b32_e64 v17, v17, v1, s3
	v_cndmask_b32_e64 v16, v18, v16, s3
	v_cmp_ge_i32_e64 s3, v16, v17
	s_delay_alu instid0(VALU_DEP_1) | instskip(NEXT) | instid1(SALU_CYCLE_1)
	s_or_b32 s5, s3, s5
	s_and_not1_b32 exec_lo, exec_lo, s5
	s_cbranch_execnz .LBB6_12
; %bb.13:
	s_or_b32 exec_lo, exec_lo, s5
.LBB6_14:
	s_delay_alu instid0(SALU_CYCLE_1) | instskip(SKIP_3) | instid1(VALU_DEP_3)
	s_or_b32 exec_lo, exec_lo, s4
	v_add_nc_u32_e32 v0, v12, v15
	v_lshl_add_u32 v17, v16, 2, v13
	v_add_nc_u32_e32 v14, v16, v14
                                        ; implicit-def: $vgpr3
                                        ; implicit-def: $vgpr13
	v_sub_nc_u32_e32 v2, v0, v16
	s_delay_alu instid0(VALU_DEP_2) | instskip(NEXT) | instid1(VALU_DEP_2)
	v_cmp_le_i32_e64 s3, v12, v14
	v_lshl_add_u32 v15, v2, 2, v6
	v_cmp_gt_i32_e64 s5, v7, v2
	ds_load_b32 v0, v17
	ds_load_b32 v1, v15
	s_waitcnt lgkmcnt(0)
	v_cmp_lt_i32_e64 s4, v1, v0
	s_delay_alu instid0(VALU_DEP_1) | instskip(NEXT) | instid1(SALU_CYCLE_1)
	s_or_b32 s3, s3, s4
	s_and_b32 s3, s5, s3
	s_delay_alu instid0(SALU_CYCLE_1) | instskip(NEXT) | instid1(SALU_CYCLE_1)
	s_xor_b32 s4, s3, -1
	s_and_saveexec_b32 s5, s4
	s_delay_alu instid0(SALU_CYCLE_1)
	s_xor_b32 s4, exec_lo, s5
	s_cbranch_execz .LBB6_16
; %bb.15:
	ds_load_b32 v13, v17 offset:4
	v_mov_b32_e32 v3, v1
                                        ; implicit-def: $vgpr15
.LBB6_16:
	s_and_not1_saveexec_b32 s4, s4
	s_cbranch_execz .LBB6_18
; %bb.17:
	ds_load_b32 v3, v15 offset:4
	s_waitcnt lgkmcnt(1)
	v_mov_b32_e32 v13, v0
.LBB6_18:
	s_or_b32 exec_lo, exec_lo, s4
	v_add_nc_u32_e32 v15, 1, v14
	v_add_nc_u32_e32 v16, 1, v2
	s_waitcnt lgkmcnt(0)
	v_cmp_lt_i32_e64 s5, v3, v13
	s_delay_alu instid0(VALU_DEP_3) | instskip(NEXT) | instid1(VALU_DEP_3)
	v_cndmask_b32_e64 v14, v15, v14, s3
	v_cndmask_b32_e64 v2, v2, v16, s3
                                        ; implicit-def: $vgpr15
	s_delay_alu instid0(VALU_DEP_2) | instskip(NEXT) | instid1(VALU_DEP_2)
	v_cmp_ge_i32_e64 s4, v14, v12
	v_cmp_lt_i32_e64 s6, v2, v7
	s_delay_alu instid0(VALU_DEP_2)
	s_or_b32 s4, s4, s5
	s_delay_alu instid0(VALU_DEP_1) | instid1(SALU_CYCLE_1)
	s_and_b32 s4, s6, s4
	s_delay_alu instid0(SALU_CYCLE_1) | instskip(NEXT) | instid1(SALU_CYCLE_1)
	s_xor_b32 s5, s4, -1
	s_and_saveexec_b32 s6, s5
	s_delay_alu instid0(SALU_CYCLE_1)
	s_xor_b32 s5, exec_lo, s6
	s_cbranch_execz .LBB6_20
; %bb.19:
	v_lshl_add_u32 v15, v14, 2, v6
	ds_load_b32 v15, v15 offset:4
.LBB6_20:
	s_or_saveexec_b32 s5, s5
	v_mov_b32_e32 v16, v3
	s_xor_b32 exec_lo, exec_lo, s5
	s_cbranch_execz .LBB6_22
; %bb.21:
	s_waitcnt lgkmcnt(0)
	v_lshl_add_u32 v15, v2, 2, v6
	ds_load_b32 v16, v15 offset:4
	v_mov_b32_e32 v15, v13
.LBB6_22:
	s_or_b32 exec_lo, exec_lo, s5
	v_add_nc_u32_e32 v17, 1, v14
	v_add_nc_u32_e32 v18, 1, v2
	s_waitcnt lgkmcnt(0)
	v_cmp_lt_i32_e64 s6, v16, v15
	s_delay_alu instid0(VALU_DEP_3) | instskip(NEXT) | instid1(VALU_DEP_3)
	v_cndmask_b32_e64 v19, v17, v14, s4
	v_cndmask_b32_e64 v18, v2, v18, s4
                                        ; implicit-def: $vgpr17
	s_delay_alu instid0(VALU_DEP_2) | instskip(NEXT) | instid1(VALU_DEP_2)
	v_cmp_ge_i32_e64 s5, v19, v12
	v_cmp_lt_i32_e64 s7, v18, v7
	s_delay_alu instid0(VALU_DEP_2)
	s_or_b32 s5, s5, s6
	s_delay_alu instid0(VALU_DEP_1) | instid1(SALU_CYCLE_1)
	s_and_b32 s5, s7, s5
	s_delay_alu instid0(SALU_CYCLE_1) | instskip(NEXT) | instid1(SALU_CYCLE_1)
	s_xor_b32 s6, s5, -1
	s_and_saveexec_b32 s7, s6
	s_delay_alu instid0(SALU_CYCLE_1)
	s_xor_b32 s6, exec_lo, s7
	s_cbranch_execz .LBB6_24
; %bb.23:
	v_lshl_add_u32 v2, v19, 2, v6
	ds_load_b32 v17, v2 offset:4
.LBB6_24:
	s_or_saveexec_b32 s6, s6
	v_mov_b32_e32 v20, v16
	s_xor_b32 exec_lo, exec_lo, s6
	s_cbranch_execz .LBB6_26
; %bb.25:
	v_lshl_add_u32 v2, v18, 2, v6
	s_waitcnt lgkmcnt(0)
	v_mov_b32_e32 v17, v15
	ds_load_b32 v20, v2 offset:4
.LBB6_26:
	s_or_b32 exec_lo, exec_lo, s6
	v_min_i32_e32 v14, 0, v9
	v_cndmask_b32_e64 v15, v15, v16, s5
	v_add_nc_u32_e32 v16, 1, v19
	v_add_nc_u32_e32 v22, 1, v18
	v_cndmask_b32_e64 v13, v13, v3, s4
	v_add_nc_u32_e32 v2, 8, v14
	; wave barrier
	s_delay_alu instid0(VALU_DEP_1) | instskip(NEXT) | instid1(VALU_DEP_1)
	v_min_i32_e32 v2, v9, v2
	v_add_nc_u32_e32 v21, 8, v2
	s_delay_alu instid0(VALU_DEP_1)
	v_min_i32_e32 v3, v9, v21
	v_cndmask_b32_e64 v21, v0, v1, s3
	v_cndmask_b32_e64 v1, v16, v19, s5
	s_waitcnt lgkmcnt(0)
	v_cmp_lt_i32_e64 s3, v20, v17
	v_min_i32_e32 v0, v9, v10
	v_sub_nc_u32_e32 v10, v3, v2
	v_cndmask_b32_e64 v9, v18, v22, s5
	v_cmp_ge_i32_e64 s4, v1, v12
	v_sub_nc_u32_e32 v1, v2, v14
	s_delay_alu instid0(VALU_DEP_4) | instskip(NEXT) | instid1(VALU_DEP_4)
	v_sub_nc_u32_e32 v12, v0, v10
	v_cmp_lt_i32_e64 s5, v9, v7
	s_delay_alu instid0(VALU_DEP_4) | instskip(SKIP_3) | instid1(VALU_DEP_3)
	s_or_b32 s4, s4, s3
	v_cmp_ge_i32_e64 s3, v0, v10
	v_min_i32_e32 v9, v0, v1
	v_lshl_add_u32 v7, v14, 2, v6
	v_cndmask_b32_e64 v1, 0, v12, s3
	s_and_b32 s3, s5, s4
	s_mov_b32 s5, 0
	v_cndmask_b32_e64 v10, v17, v20, s3
	s_mov_b32 s4, exec_lo
	ds_store_2addr_b32 v11, v21, v13 offset1:1
	ds_store_2addr_b32 v11, v15, v10 offset0:2 offset1:3
	; wave barrier
	v_cmpx_lt_i32_e64 v1, v9
	s_cbranch_execz .LBB6_30
; %bb.27:
	v_lshlrev_b32_e32 v10, 2, v2
	v_lshlrev_b32_e32 v11, 2, v0
	s_delay_alu instid0(VALU_DEP_1)
	v_add3_u32 v10, v6, v10, v11
	.p2align	6
.LBB6_28:                               ; =>This Inner Loop Header: Depth=1
	v_sub_nc_u32_e32 v11, v9, v1
	s_delay_alu instid0(VALU_DEP_1) | instskip(NEXT) | instid1(VALU_DEP_1)
	v_lshrrev_b32_e32 v12, 31, v11
	v_add_nc_u32_e32 v11, v11, v12
	s_delay_alu instid0(VALU_DEP_1) | instskip(NEXT) | instid1(VALU_DEP_1)
	v_ashrrev_i32_e32 v11, 1, v11
	v_add_nc_u32_e32 v11, v11, v1
	s_delay_alu instid0(VALU_DEP_1) | instskip(SKIP_2) | instid1(VALU_DEP_3)
	v_not_b32_e32 v12, v11
	v_lshl_add_u32 v13, v11, 2, v7
	v_add_nc_u32_e32 v15, 1, v11
	v_lshl_add_u32 v12, v12, 2, v10
	ds_load_b32 v13, v13
	ds_load_b32 v12, v12
	s_waitcnt lgkmcnt(0)
	v_cmp_lt_i32_e64 s3, v12, v13
	s_delay_alu instid0(VALU_DEP_1) | instskip(SKIP_1) | instid1(VALU_DEP_1)
	v_cndmask_b32_e64 v9, v9, v11, s3
	v_cndmask_b32_e64 v1, v15, v1, s3
	v_cmp_ge_i32_e64 s3, v1, v9
	s_delay_alu instid0(VALU_DEP_1) | instskip(NEXT) | instid1(SALU_CYCLE_1)
	s_or_b32 s5, s3, s5
	s_and_not1_b32 exec_lo, exec_lo, s5
	s_cbranch_execnz .LBB6_28
; %bb.29:
	s_or_b32 exec_lo, exec_lo, s5
.LBB6_30:
	s_delay_alu instid0(SALU_CYCLE_1) | instskip(SKIP_2) | instid1(VALU_DEP_2)
	s_or_b32 exec_lo, exec_lo, s4
	v_add_nc_u32_e32 v0, v2, v0
	v_lshl_add_u32 v13, v1, 2, v7
                                        ; implicit-def: $vgpr10
                                        ; implicit-def: $vgpr11
	v_sub_nc_u32_e32 v0, v0, v1
	v_add_nc_u32_e32 v1, v1, v14
	s_delay_alu instid0(VALU_DEP_2) | instskip(NEXT) | instid1(VALU_DEP_2)
	v_lshl_add_u32 v12, v0, 2, v6
	v_cmp_le_i32_e64 s3, v2, v1
	v_cmp_gt_i32_e64 s5, v3, v0
	ds_load_b32 v7, v13
	ds_load_b32 v9, v12
	s_waitcnt lgkmcnt(0)
	v_cmp_lt_i32_e64 s4, v9, v7
	s_delay_alu instid0(VALU_DEP_1) | instskip(NEXT) | instid1(SALU_CYCLE_1)
	s_or_b32 s3, s3, s4
	s_and_b32 s3, s5, s3
	s_delay_alu instid0(SALU_CYCLE_1) | instskip(NEXT) | instid1(SALU_CYCLE_1)
	s_xor_b32 s4, s3, -1
	s_and_saveexec_b32 s5, s4
	s_delay_alu instid0(SALU_CYCLE_1)
	s_xor_b32 s4, exec_lo, s5
	s_cbranch_execz .LBB6_32
; %bb.31:
	ds_load_b32 v11, v13 offset:4
	v_mov_b32_e32 v10, v9
                                        ; implicit-def: $vgpr12
.LBB6_32:
	s_and_not1_saveexec_b32 s4, s4
	s_cbranch_execz .LBB6_34
; %bb.33:
	ds_load_b32 v10, v12 offset:4
	s_waitcnt lgkmcnt(1)
	v_mov_b32_e32 v11, v7
.LBB6_34:
	s_or_b32 exec_lo, exec_lo, s4
	v_add_nc_u32_e32 v12, 1, v1
	v_add_nc_u32_e32 v13, 1, v0
	s_waitcnt lgkmcnt(0)
	v_cmp_lt_i32_e64 s5, v10, v11
	s_delay_alu instid0(VALU_DEP_3) | instskip(NEXT) | instid1(VALU_DEP_3)
	v_cndmask_b32_e64 v14, v12, v1, s3
	v_cndmask_b32_e64 v1, v0, v13, s3
                                        ; implicit-def: $vgpr12
	s_delay_alu instid0(VALU_DEP_2) | instskip(NEXT) | instid1(VALU_DEP_2)
	v_cmp_ge_i32_e64 s4, v14, v2
	v_cmp_lt_i32_e64 s6, v1, v3
	s_delay_alu instid0(VALU_DEP_2)
	s_or_b32 s4, s4, s5
	s_delay_alu instid0(VALU_DEP_1) | instid1(SALU_CYCLE_1)
	s_and_b32 s4, s6, s4
	s_delay_alu instid0(SALU_CYCLE_1) | instskip(NEXT) | instid1(SALU_CYCLE_1)
	s_xor_b32 s5, s4, -1
	s_and_saveexec_b32 s6, s5
	s_delay_alu instid0(SALU_CYCLE_1)
	s_xor_b32 s5, exec_lo, s6
	s_cbranch_execz .LBB6_36
; %bb.35:
	v_lshl_add_u32 v0, v14, 2, v6
	ds_load_b32 v12, v0 offset:4
.LBB6_36:
	s_or_saveexec_b32 s5, s5
	v_mov_b32_e32 v13, v10
	s_xor_b32 exec_lo, exec_lo, s5
	s_cbranch_execz .LBB6_38
; %bb.37:
	v_lshl_add_u32 v0, v1, 2, v6
	s_waitcnt lgkmcnt(0)
	v_mov_b32_e32 v12, v11
	ds_load_b32 v13, v0 offset:4
.LBB6_38:
	s_or_b32 exec_lo, exec_lo, s5
	v_add_nc_u32_e32 v0, 1, v14
	v_add_nc_u32_e32 v15, 1, v1
	s_waitcnt lgkmcnt(0)
	v_cmp_lt_i32_e64 s6, v13, v12
                                        ; implicit-def: $vgpr16
	s_delay_alu instid0(VALU_DEP_3) | instskip(NEXT) | instid1(VALU_DEP_3)
	v_cndmask_b32_e64 v0, v0, v14, s4
	v_cndmask_b32_e64 v14, v1, v15, s4
                                        ; implicit-def: $vgpr15
	s_delay_alu instid0(VALU_DEP_2) | instskip(NEXT) | instid1(VALU_DEP_2)
	v_cmp_ge_i32_e64 s5, v0, v2
	v_cmp_lt_i32_e64 s7, v14, v3
	s_delay_alu instid0(VALU_DEP_2)
	s_or_b32 s5, s5, s6
	s_delay_alu instid0(VALU_DEP_1) | instid1(SALU_CYCLE_1)
	s_and_b32 s5, s7, s5
	s_delay_alu instid0(SALU_CYCLE_1) | instskip(NEXT) | instid1(SALU_CYCLE_1)
	s_xor_b32 s6, s5, -1
	s_and_saveexec_b32 s7, s6
	s_delay_alu instid0(SALU_CYCLE_1)
	s_xor_b32 s6, exec_lo, s7
	s_cbranch_execz .LBB6_40
; %bb.39:
	v_lshl_add_u32 v1, v0, 2, v6
	v_add_nc_u32_e32 v16, 1, v0
                                        ; implicit-def: $vgpr0
                                        ; implicit-def: $vgpr6
	ds_load_b32 v15, v1 offset:4
.LBB6_40:
	s_or_saveexec_b32 s6, s6
	v_mov_b32_e32 v17, v13
	s_xor_b32 exec_lo, exec_lo, s6
	s_cbranch_execz .LBB6_42
; %bb.41:
	v_lshl_add_u32 v1, v14, 2, v6
	s_waitcnt lgkmcnt(0)
	v_dual_mov_b32 v15, v12 :: v_dual_add_nc_u32 v14, 1, v14
	v_mov_b32_e32 v16, v0
	ds_load_b32 v17, v1 offset:4
.LBB6_42:
	s_or_b32 exec_lo, exec_lo, s6
	v_add_co_u32 v0, s6, s10, v4
	s_delay_alu instid0(VALU_DEP_1) | instskip(NEXT) | instid1(VALU_DEP_2)
	v_add_co_ci_u32_e64 v1, s6, s11, v5, s6
	v_add_co_u32 v0, s6, v0, v8
	s_delay_alu instid0(VALU_DEP_1)
	v_add_co_ci_u32_e64 v1, s6, 0, v1, s6
	s_and_saveexec_b32 s6, vcc_lo
	s_cbranch_execnz .LBB6_47
; %bb.43:
	s_or_b32 exec_lo, exec_lo, s6
	s_and_saveexec_b32 s3, s0
	s_cbranch_execnz .LBB6_48
.LBB6_44:
	s_or_b32 exec_lo, exec_lo, s3
	s_and_saveexec_b32 s0, s1
	s_cbranch_execnz .LBB6_49
.LBB6_45:
	s_or_b32 exec_lo, exec_lo, s0
	s_and_saveexec_b32 s0, s2
	s_cbranch_execnz .LBB6_50
.LBB6_46:
	s_nop 0
	s_sendmsg sendmsg(MSG_DEALLOC_VGPRS)
	s_endpgm
.LBB6_47:
	v_cndmask_b32_e64 v4, v7, v9, s3
	global_store_b32 v[0:1], v4, off
	s_or_b32 exec_lo, exec_lo, s6
	s_and_saveexec_b32 s3, s0
	s_cbranch_execz .LBB6_44
.LBB6_48:
	v_cndmask_b32_e64 v4, v11, v10, s4
	global_store_b32 v[0:1], v4, off offset:4
	s_or_b32 exec_lo, exec_lo, s3
	s_and_saveexec_b32 s0, s1
	s_cbranch_execz .LBB6_45
.LBB6_49:
	v_cndmask_b32_e64 v4, v12, v13, s5
	global_store_b32 v[0:1], v4, off offset:8
	s_or_b32 exec_lo, exec_lo, s0
	s_and_saveexec_b32 s0, s2
	s_cbranch_execz .LBB6_46
.LBB6_50:
	v_cmp_ge_i32_e32 vcc_lo, v16, v2
	s_waitcnt lgkmcnt(0)
	v_cmp_lt_i32_e64 s0, v17, v15
	v_cmp_lt_i32_e64 s1, v14, v3
	s_delay_alu instid0(VALU_DEP_2)
	s_or_b32 s0, vcc_lo, s0
	s_delay_alu instid0(VALU_DEP_1) | instid1(SALU_CYCLE_1)
	s_and_b32 vcc_lo, s1, s0
	v_cndmask_b32_e32 v2, v15, v17, vcc_lo
	global_store_b32 v[0:1], v2, off offset:12
	s_nop 0
	s_sendmsg sendmsg(MSG_DEALLOC_VGPRS)
	s_endpgm
	.section	.rodata,"a",@progbits
	.p2align	6, 0x0
	.amdhsa_kernel _Z19sort_keys_segmentedILj256ELj4ELj4EiN10test_utils4lessEEvPKT2_PS2_PKjT3_
		.amdhsa_group_segment_fixed_size 4352
		.amdhsa_private_segment_fixed_size 0
		.amdhsa_kernarg_size 28
		.amdhsa_user_sgpr_count 15
		.amdhsa_user_sgpr_dispatch_ptr 0
		.amdhsa_user_sgpr_queue_ptr 0
		.amdhsa_user_sgpr_kernarg_segment_ptr 1
		.amdhsa_user_sgpr_dispatch_id 0
		.amdhsa_user_sgpr_private_segment_size 0
		.amdhsa_wavefront_size32 1
		.amdhsa_uses_dynamic_stack 0
		.amdhsa_enable_private_segment 0
		.amdhsa_system_sgpr_workgroup_id_x 1
		.amdhsa_system_sgpr_workgroup_id_y 0
		.amdhsa_system_sgpr_workgroup_id_z 0
		.amdhsa_system_sgpr_workgroup_info 0
		.amdhsa_system_vgpr_workitem_id 0
		.amdhsa_next_free_vgpr 23
		.amdhsa_next_free_sgpr 16
		.amdhsa_reserve_vcc 1
		.amdhsa_float_round_mode_32 0
		.amdhsa_float_round_mode_16_64 0
		.amdhsa_float_denorm_mode_32 3
		.amdhsa_float_denorm_mode_16_64 3
		.amdhsa_dx10_clamp 1
		.amdhsa_ieee_mode 1
		.amdhsa_fp16_overflow 0
		.amdhsa_workgroup_processor_mode 1
		.amdhsa_memory_ordered 1
		.amdhsa_forward_progress 0
		.amdhsa_shared_vgpr_count 0
		.amdhsa_exception_fp_ieee_invalid_op 0
		.amdhsa_exception_fp_denorm_src 0
		.amdhsa_exception_fp_ieee_div_zero 0
		.amdhsa_exception_fp_ieee_overflow 0
		.amdhsa_exception_fp_ieee_underflow 0
		.amdhsa_exception_fp_ieee_inexact 0
		.amdhsa_exception_int_div_zero 0
	.end_amdhsa_kernel
	.section	.text._Z19sort_keys_segmentedILj256ELj4ELj4EiN10test_utils4lessEEvPKT2_PS2_PKjT3_,"axG",@progbits,_Z19sort_keys_segmentedILj256ELj4ELj4EiN10test_utils4lessEEvPKT2_PS2_PKjT3_,comdat
.Lfunc_end6:
	.size	_Z19sort_keys_segmentedILj256ELj4ELj4EiN10test_utils4lessEEvPKT2_PS2_PKjT3_, .Lfunc_end6-_Z19sort_keys_segmentedILj256ELj4ELj4EiN10test_utils4lessEEvPKT2_PS2_PKjT3_
                                        ; -- End function
	.section	.AMDGPU.csdata,"",@progbits
; Kernel info:
; codeLenInByte = 2468
; NumSgprs: 18
; NumVgprs: 23
; ScratchSize: 0
; MemoryBound: 0
; FloatMode: 240
; IeeeMode: 1
; LDSByteSize: 4352 bytes/workgroup (compile time only)
; SGPRBlocks: 2
; VGPRBlocks: 2
; NumSGPRsForWavesPerEU: 18
; NumVGPRsForWavesPerEU: 23
; Occupancy: 16
; WaveLimiterHint : 0
; COMPUTE_PGM_RSRC2:SCRATCH_EN: 0
; COMPUTE_PGM_RSRC2:USER_SGPR: 15
; COMPUTE_PGM_RSRC2:TRAP_HANDLER: 0
; COMPUTE_PGM_RSRC2:TGID_X_EN: 1
; COMPUTE_PGM_RSRC2:TGID_Y_EN: 0
; COMPUTE_PGM_RSRC2:TGID_Z_EN: 0
; COMPUTE_PGM_RSRC2:TIDIG_COMP_CNT: 0
	.section	.text._Z20sort_pairs_segmentedILj256ELj4ELj4EiN10test_utils4lessEEvPKT2_PS2_PKjT3_,"axG",@progbits,_Z20sort_pairs_segmentedILj256ELj4ELj4EiN10test_utils4lessEEvPKT2_PS2_PKjT3_,comdat
	.protected	_Z20sort_pairs_segmentedILj256ELj4ELj4EiN10test_utils4lessEEvPKT2_PS2_PKjT3_ ; -- Begin function _Z20sort_pairs_segmentedILj256ELj4ELj4EiN10test_utils4lessEEvPKT2_PS2_PKjT3_
	.globl	_Z20sort_pairs_segmentedILj256ELj4ELj4EiN10test_utils4lessEEvPKT2_PS2_PKjT3_
	.p2align	8
	.type	_Z20sort_pairs_segmentedILj256ELj4ELj4EiN10test_utils4lessEEvPKT2_PS2_PKjT3_,@function
_Z20sort_pairs_segmentedILj256ELj4ELj4EiN10test_utils4lessEEvPKT2_PS2_PKjT3_: ; @_Z20sort_pairs_segmentedILj256ELj4ELj4EiN10test_utils4lessEEvPKT2_PS2_PKjT3_
; %bb.0:
	s_clause 0x1
	s_load_b64 s[2:3], s[0:1], 0x10
	s_load_b128 s[8:11], s[0:1], 0x0
	v_lshrrev_b32_e32 v17, 2, v0
	v_mov_b32_e32 v1, 0
	s_delay_alu instid0(VALU_DEP_2) | instskip(NEXT) | instid1(VALU_DEP_1)
	v_lshl_or_b32 v0, s15, 6, v17
	v_lshlrev_b64 v[2:3], 2, v[0:1]
	v_lshlrev_b32_e32 v0, 4, v0
	s_waitcnt lgkmcnt(0)
	s_delay_alu instid0(VALU_DEP_2) | instskip(NEXT) | instid1(VALU_DEP_3)
	v_add_co_u32 v2, vcc_lo, s2, v2
	v_add_co_ci_u32_e32 v3, vcc_lo, s3, v3, vcc_lo
	global_load_b32 v9, v[2:3], off
	v_mbcnt_lo_u32_b32 v2, -1, 0
	s_delay_alu instid0(VALU_DEP_1) | instskip(SKIP_1) | instid1(VALU_DEP_2)
	v_lshlrev_b32_e32 v16, 2, v2
	v_lshlrev_b64 v[4:5], 2, v[0:1]
	v_and_b32_e32 v10, 12, v16
	s_delay_alu instid0(VALU_DEP_2) | instskip(NEXT) | instid1(VALU_DEP_3)
	v_add_co_u32 v0, vcc_lo, s8, v4
	v_add_co_ci_u32_e32 v1, vcc_lo, s9, v5, vcc_lo
	s_delay_alu instid0(VALU_DEP_3) | instskip(NEXT) | instid1(VALU_DEP_1)
	v_lshlrev_b32_e32 v8, 2, v10
	v_add_co_u32 v6, vcc_lo, v0, v8
	s_delay_alu instid0(VALU_DEP_3)
	v_add_co_ci_u32_e32 v7, vcc_lo, 0, v1, vcc_lo
                                        ; implicit-def: $vgpr0_vgpr1_vgpr2_vgpr3
	s_waitcnt vmcnt(0)
	v_cmp_lt_u32_e32 vcc_lo, v10, v9
	s_and_saveexec_b32 s0, vcc_lo
	s_cbranch_execz .LBB7_2
; %bb.1:
	global_load_b32 v0, v[6:7], off
.LBB7_2:
	s_or_b32 exec_lo, exec_lo, s0
	v_or_b32_e32 v13, 1, v10
	s_delay_alu instid0(VALU_DEP_1) | instskip(NEXT) | instid1(VALU_DEP_1)
	v_cmp_lt_u32_e64 s0, v13, v9
	s_and_saveexec_b32 s1, s0
	s_cbranch_execz .LBB7_4
; %bb.3:
	global_load_b32 v1, v[6:7], off offset:4
.LBB7_4:
	s_or_b32 exec_lo, exec_lo, s1
	v_or_b32_e32 v14, 2, v10
	s_delay_alu instid0(VALU_DEP_1) | instskip(NEXT) | instid1(VALU_DEP_1)
	v_cmp_lt_u32_e64 s1, v14, v9
	s_and_saveexec_b32 s2, s1
	s_cbranch_execz .LBB7_6
; %bb.5:
	global_load_b32 v2, v[6:7], off offset:8
.LBB7_6:
	;; [unrolled: 9-line block ×3, first 2 shown]
	s_or_b32 exec_lo, exec_lo, s3
	v_cmp_lt_i32_e64 s3, v14, v9
	v_cmp_lt_i32_e64 s4, v15, v9
	;; [unrolled: 1-line block ×3, first 2 shown]
	s_waitcnt vmcnt(0)
	v_add_nc_u32_e32 v14, 1, v2
	v_add_nc_u32_e32 v11, 1, v0
	;; [unrolled: 1-line block ×3, first 2 shown]
	s_or_b32 s3, s4, s3
	v_add_nc_u32_e32 v13, 1, v3
	v_cndmask_b32_e64 v2, 0x7fffffff, v2, s3
	s_or_b32 s3, s3, s5
	v_cndmask_b32_e64 v3, 0x7fffffff, v3, s4
	v_cndmask_b32_e64 v1, 0x7fffffff, v1, s3
	s_mov_b32 s6, exec_lo
	v_cmpx_lt_i32_e64 v10, v9
	s_cbranch_execz .LBB7_10
; %bb.9:
	s_delay_alu instid0(VALU_DEP_2) | instskip(SKIP_2) | instid1(VALU_DEP_3)
	v_cmp_lt_i32_e64 s3, v1, v0
	v_min_i32_e32 v7, v3, v2
	v_cmp_lt_i32_e64 s4, v3, v2
	v_cndmask_b32_e64 v15, v1, v0, s3
	v_cndmask_b32_e64 v6, v11, v12, s3
	s_delay_alu instid0(VALU_DEP_3)
	v_cndmask_b32_e64 v18, v13, v14, s4
	v_cndmask_b32_e64 v11, v12, v11, s3
	;; [unrolled: 1-line block ×4, first 2 shown]
	v_cmp_lt_i32_e64 s3, v7, v15
	v_cndmask_b32_e64 v12, v3, v2, s4
	v_min_i32_e32 v14, v7, v15
	v_cndmask_b32_e64 v2, v2, v3, s4
	s_delay_alu instid0(VALU_DEP_4) | instskip(SKIP_1) | instid1(VALU_DEP_4)
	v_cndmask_b32_e64 v7, v15, v7, s3
	v_cndmask_b32_e64 v3, v1, v11, s3
	v_cmp_lt_i32_e64 s4, v14, v0
	s_delay_alu instid0(VALU_DEP_4) | instskip(SKIP_1) | instid1(VALU_DEP_3)
	v_cndmask_b32_e64 v2, v2, v15, s3
	v_cndmask_b32_e64 v1, v11, v1, s3
	;; [unrolled: 1-line block ×3, first 2 shown]
	s_delay_alu instid0(VALU_DEP_3) | instskip(SKIP_1) | instid1(VALU_DEP_4)
	v_cmp_lt_i32_e64 s3, v12, v2
	v_min_i32_e32 v15, v12, v2
	v_cndmask_b32_e64 v11, v6, v1, s4
	v_cndmask_b32_e64 v1, v1, v6, s4
	;; [unrolled: 1-line block ×5, first 2 shown]
	v_cmp_lt_i32_e64 s5, v15, v7
	v_cndmask_b32_e64 v18, v2, v12, s3
	v_cndmask_b32_e64 v3, v12, v2, s3
	s_delay_alu instid0(VALU_DEP_3) | instskip(SKIP_1) | instid1(VALU_DEP_4)
	v_cndmask_b32_e64 v14, v6, v1, s5
	v_cndmask_b32_e64 v12, v1, v6, s5
	;; [unrolled: 1-line block ×4, first 2 shown]
.LBB7_10:
	s_or_b32 exec_lo, exec_lo, s6
	v_and_b32_e32 v6, 8, v16
	v_and_b32_e32 v7, 4, v16
	s_mov_b32 s5, 0
	s_mov_b32 s4, exec_lo
	s_delay_alu instid0(VALU_DEP_2) | instskip(NEXT) | instid1(VALU_DEP_2)
	v_min_i32_e32 v19, v9, v6
	v_min_i32_e32 v18, v9, v7
	; wave barrier
	s_delay_alu instid0(VALU_DEP_2) | instskip(SKIP_1) | instid1(VALU_DEP_2)
	v_add_nc_u32_e32 v6, 4, v19
	v_lshlrev_b32_e32 v23, 2, v19
	v_min_i32_e32 v15, v9, v6
	s_delay_alu instid0(VALU_DEP_1) | instskip(SKIP_1) | instid1(VALU_DEP_2)
	v_add_nc_u32_e32 v6, 4, v15
	v_sub_nc_u32_e32 v20, v15, v19
	v_min_i32_e32 v16, v9, v6
	v_mul_u32_u24_e32 v6, 0x44, v17
	s_delay_alu instid0(VALU_DEP_3) | instskip(NEXT) | instid1(VALU_DEP_3)
	v_min_i32_e32 v21, v18, v20
	v_sub_nc_u32_e32 v7, v16, v15
	s_delay_alu instid0(VALU_DEP_1)
	v_sub_nc_u32_e32 v22, v18, v7
	v_cmp_ge_i32_e64 s3, v18, v7
	v_mad_u32_u24 v7, 0x44, v17, v8
	v_mad_u32_u24 v17, 0x44, v17, v23
	ds_store_2addr_b32 v7, v0, v1 offset1:1
	ds_store_2addr_b32 v7, v2, v3 offset0:2 offset1:3
	v_cndmask_b32_e64 v20, 0, v22, s3
	; wave barrier
	s_delay_alu instid0(VALU_DEP_1)
	v_cmpx_lt_i32_e64 v20, v21
	s_cbranch_execz .LBB7_14
; %bb.11:
	v_lshlrev_b32_e32 v0, 2, v15
	v_lshlrev_b32_e32 v1, 2, v18
	s_delay_alu instid0(VALU_DEP_1)
	v_add3_u32 v0, v6, v0, v1
	.p2align	6
.LBB7_12:                               ; =>This Inner Loop Header: Depth=1
	v_sub_nc_u32_e32 v1, v21, v20
	s_delay_alu instid0(VALU_DEP_1) | instskip(NEXT) | instid1(VALU_DEP_1)
	v_lshrrev_b32_e32 v2, 31, v1
	v_add_nc_u32_e32 v1, v1, v2
	s_delay_alu instid0(VALU_DEP_1) | instskip(NEXT) | instid1(VALU_DEP_1)
	v_ashrrev_i32_e32 v1, 1, v1
	v_add_nc_u32_e32 v1, v1, v20
	s_delay_alu instid0(VALU_DEP_1) | instskip(SKIP_2) | instid1(VALU_DEP_3)
	v_not_b32_e32 v2, v1
	v_lshl_add_u32 v3, v1, 2, v17
	v_add_nc_u32_e32 v22, 1, v1
	v_lshl_add_u32 v2, v2, 2, v0
	ds_load_b32 v3, v3
	ds_load_b32 v2, v2
	s_waitcnt lgkmcnt(0)
	v_cmp_lt_i32_e64 s3, v2, v3
	s_delay_alu instid0(VALU_DEP_1) | instskip(SKIP_1) | instid1(VALU_DEP_1)
	v_cndmask_b32_e64 v21, v21, v1, s3
	v_cndmask_b32_e64 v20, v22, v20, s3
	v_cmp_ge_i32_e64 s3, v20, v21
	s_delay_alu instid0(VALU_DEP_1) | instskip(NEXT) | instid1(SALU_CYCLE_1)
	s_or_b32 s5, s3, s5
	s_and_not1_b32 exec_lo, exec_lo, s5
	s_cbranch_execnz .LBB7_12
; %bb.13:
	s_or_b32 exec_lo, exec_lo, s5
.LBB7_14:
	s_delay_alu instid0(SALU_CYCLE_1) | instskip(SKIP_3) | instid1(VALU_DEP_3)
	s_or_b32 exec_lo, exec_lo, s4
	v_add_nc_u32_e32 v0, v15, v18
	v_lshl_add_u32 v3, v20, 2, v17
	v_add_nc_u32_e32 v1, v20, v19
                                        ; implicit-def: $vgpr19
	v_sub_nc_u32_e32 v0, v0, v20
                                        ; implicit-def: $vgpr20
	s_delay_alu instid0(VALU_DEP_2) | instskip(NEXT) | instid1(VALU_DEP_2)
	v_cmp_le_i32_e64 s3, v15, v1
	v_lshl_add_u32 v2, v0, 2, v6
	v_cmp_gt_i32_e64 s5, v16, v0
	ds_load_b32 v17, v3
	ds_load_b32 v18, v2
	s_waitcnt lgkmcnt(0)
	v_cmp_lt_i32_e64 s4, v18, v17
	s_delay_alu instid0(VALU_DEP_1) | instskip(NEXT) | instid1(SALU_CYCLE_1)
	s_or_b32 s3, s3, s4
	s_and_b32 s3, s5, s3
	s_delay_alu instid0(SALU_CYCLE_1) | instskip(NEXT) | instid1(SALU_CYCLE_1)
	s_xor_b32 s4, s3, -1
	s_and_saveexec_b32 s5, s4
	s_delay_alu instid0(SALU_CYCLE_1)
	s_xor_b32 s4, exec_lo, s5
	s_cbranch_execz .LBB7_16
; %bb.15:
	ds_load_b32 v20, v3 offset:4
	v_mov_b32_e32 v19, v18
                                        ; implicit-def: $vgpr2
.LBB7_16:
	s_and_not1_saveexec_b32 s4, s4
	s_cbranch_execz .LBB7_18
; %bb.17:
	ds_load_b32 v19, v2 offset:4
	s_waitcnt lgkmcnt(1)
	v_mov_b32_e32 v20, v17
.LBB7_18:
	s_or_b32 exec_lo, exec_lo, s4
	v_add_nc_u32_e32 v2, 1, v1
	v_add_nc_u32_e32 v3, 1, v0
	s_waitcnt lgkmcnt(0)
	v_cmp_lt_i32_e64 s5, v19, v20
                                        ; implicit-def: $vgpr21
	s_delay_alu instid0(VALU_DEP_3) | instskip(NEXT) | instid1(VALU_DEP_3)
	v_cndmask_b32_e64 v2, v2, v1, s3
	v_cndmask_b32_e64 v3, v0, v3, s3
	s_delay_alu instid0(VALU_DEP_2) | instskip(NEXT) | instid1(VALU_DEP_2)
	v_cmp_ge_i32_e64 s4, v2, v15
	v_cmp_lt_i32_e64 s6, v3, v16
	s_delay_alu instid0(VALU_DEP_2)
	s_or_b32 s4, s4, s5
	s_delay_alu instid0(VALU_DEP_1) | instid1(SALU_CYCLE_1)
	s_and_b32 s4, s6, s4
	s_delay_alu instid0(SALU_CYCLE_1) | instskip(NEXT) | instid1(SALU_CYCLE_1)
	s_xor_b32 s5, s4, -1
	s_and_saveexec_b32 s6, s5
	s_delay_alu instid0(SALU_CYCLE_1)
	s_xor_b32 s5, exec_lo, s6
	s_cbranch_execz .LBB7_20
; %bb.19:
	v_lshl_add_u32 v21, v2, 2, v6
	ds_load_b32 v21, v21 offset:4
.LBB7_20:
	s_or_saveexec_b32 s5, s5
	v_mov_b32_e32 v22, v19
	s_xor_b32 exec_lo, exec_lo, s5
	s_cbranch_execz .LBB7_22
; %bb.21:
	s_waitcnt lgkmcnt(0)
	v_lshl_add_u32 v21, v3, 2, v6
	ds_load_b32 v22, v21 offset:4
	v_mov_b32_e32 v21, v20
.LBB7_22:
	s_or_b32 exec_lo, exec_lo, s5
	v_add_nc_u32_e32 v23, 1, v2
	v_add_nc_u32_e32 v24, 1, v3
	s_waitcnt lgkmcnt(0)
	v_cmp_lt_i32_e64 s6, v22, v21
                                        ; implicit-def: $vgpr26
	s_delay_alu instid0(VALU_DEP_3) | instskip(NEXT) | instid1(VALU_DEP_3)
	v_cndmask_b32_e64 v25, v23, v2, s4
	v_cndmask_b32_e64 v24, v3, v24, s4
	s_delay_alu instid0(VALU_DEP_2) | instskip(NEXT) | instid1(VALU_DEP_2)
	v_cmp_ge_i32_e64 s5, v25, v15
	v_cmp_lt_i32_e64 s7, v24, v16
	s_delay_alu instid0(VALU_DEP_2)
	s_or_b32 s5, s5, s6
	s_delay_alu instid0(VALU_DEP_1) | instid1(SALU_CYCLE_1)
	s_and_b32 s5, s7, s5
	s_delay_alu instid0(SALU_CYCLE_1) | instskip(NEXT) | instid1(SALU_CYCLE_1)
	s_xor_b32 s6, s5, -1
	s_and_saveexec_b32 s7, s6
	s_delay_alu instid0(SALU_CYCLE_1)
	s_xor_b32 s6, exec_lo, s7
	s_cbranch_execz .LBB7_24
; %bb.23:
	v_lshl_add_u32 v23, v25, 2, v6
	ds_load_b32 v26, v23 offset:4
.LBB7_24:
	s_or_saveexec_b32 s6, s6
	v_mov_b32_e32 v27, v22
	s_xor_b32 exec_lo, exec_lo, s6
	s_cbranch_execz .LBB7_26
; %bb.25:
	v_lshl_add_u32 v23, v24, 2, v6
	s_waitcnt lgkmcnt(0)
	v_mov_b32_e32 v26, v21
	ds_load_b32 v27, v23 offset:4
.LBB7_26:
	s_or_b32 exec_lo, exec_lo, s6
	v_add_nc_u32_e32 v28, 1, v25
	v_add_nc_u32_e32 v29, 1, v24
	v_cndmask_b32_e64 v2, v2, v3, s4
	v_min_i32_e32 v23, 0, v9
	v_cndmask_b32_e64 v30, v25, v24, s5
	v_cndmask_b32_e64 v3, v28, v25, s5
	;; [unrolled: 1-line block ×3, first 2 shown]
	s_waitcnt lgkmcnt(0)
	v_cmp_lt_i32_e64 s6, v27, v26
	v_add_nc_u32_e32 v25, 8, v23
	v_cndmask_b32_e64 v1, v1, v0, s3
	v_cmp_ge_i32_e64 s7, v3, v15
	v_cmp_lt_i32_e64 s8, v24, v16
	v_lshl_add_u32 v2, v2, 2, v6
	v_min_i32_e32 v0, v9, v25
	v_lshl_add_u32 v1, v1, 2, v6
	s_or_b32 s6, s7, s6
	s_delay_alu instid0(SALU_CYCLE_1) | instskip(NEXT) | instid1(VALU_DEP_2)
	s_and_b32 s6, s8, s6
	v_add_nc_u32_e32 v15, 8, v0
	v_cndmask_b32_e64 v3, v3, v24, s6
	; wave barrier
	ds_store_2addr_b32 v7, v11, v12 offset1:1
	ds_store_2addr_b32 v7, v14, v13 offset0:2 offset1:3
	v_lshl_add_u32 v12, v30, 2, v6
	v_lshl_add_u32 v13, v3, 2, v6
	; wave barrier
	v_min_i32_e32 v11, v9, v15
	v_min_i32_e32 v10, v9, v10
	ds_load_b32 v1, v1
	ds_load_b32 v2, v2
	;; [unrolled: 1-line block ×4, first 2 shown]
	v_sub_nc_u32_e32 v15, v0, v23
	v_cndmask_b32_e64 v19, v20, v19, s4
	v_sub_nc_u32_e32 v14, v11, v0
	v_cndmask_b32_e64 v16, v26, v27, s6
	v_cndmask_b32_e64 v21, v21, v22, s5
	s_mov_b32 s5, 0
	s_delay_alu instid0(VALU_DEP_3)
	v_sub_nc_u32_e32 v12, v10, v14
	v_cmp_ge_i32_e64 s4, v10, v14
	v_min_i32_e32 v14, v10, v15
	v_cndmask_b32_e64 v15, v17, v18, s3
	; wave barrier
	ds_store_2addr_b32 v7, v15, v19 offset1:1
	ds_store_2addr_b32 v7, v21, v16 offset0:2 offset1:3
	v_cndmask_b32_e64 v13, 0, v12, s4
	v_lshl_add_u32 v12, v23, 2, v6
	s_mov_b32 s4, exec_lo
	; wave barrier
	s_delay_alu instid0(VALU_DEP_2)
	v_cmpx_lt_i32_e64 v13, v14
	s_cbranch_execz .LBB7_30
; %bb.27:
	v_lshlrev_b32_e32 v15, 2, v0
	v_lshlrev_b32_e32 v16, 2, v10
	s_delay_alu instid0(VALU_DEP_1)
	v_add3_u32 v15, v6, v15, v16
	.p2align	6
.LBB7_28:                               ; =>This Inner Loop Header: Depth=1
	v_sub_nc_u32_e32 v16, v14, v13
	s_delay_alu instid0(VALU_DEP_1) | instskip(NEXT) | instid1(VALU_DEP_1)
	v_lshrrev_b32_e32 v17, 31, v16
	v_add_nc_u32_e32 v16, v16, v17
	s_delay_alu instid0(VALU_DEP_1) | instskip(NEXT) | instid1(VALU_DEP_1)
	v_ashrrev_i32_e32 v16, 1, v16
	v_add_nc_u32_e32 v16, v16, v13
	s_delay_alu instid0(VALU_DEP_1) | instskip(SKIP_2) | instid1(VALU_DEP_3)
	v_not_b32_e32 v17, v16
	v_lshl_add_u32 v18, v16, 2, v12
	v_add_nc_u32_e32 v19, 1, v16
	v_lshl_add_u32 v17, v17, 2, v15
	ds_load_b32 v18, v18
	ds_load_b32 v17, v17
	s_waitcnt lgkmcnt(0)
	v_cmp_lt_i32_e64 s3, v17, v18
	s_delay_alu instid0(VALU_DEP_1) | instskip(SKIP_1) | instid1(VALU_DEP_1)
	v_cndmask_b32_e64 v14, v14, v16, s3
	v_cndmask_b32_e64 v13, v19, v13, s3
	v_cmp_ge_i32_e64 s3, v13, v14
	s_delay_alu instid0(VALU_DEP_1) | instskip(NEXT) | instid1(SALU_CYCLE_1)
	s_or_b32 s5, s3, s5
	s_and_not1_b32 exec_lo, exec_lo, s5
	s_cbranch_execnz .LBB7_28
; %bb.29:
	s_or_b32 exec_lo, exec_lo, s5
.LBB7_30:
	s_delay_alu instid0(SALU_CYCLE_1) | instskip(SKIP_3) | instid1(VALU_DEP_3)
	s_or_b32 exec_lo, exec_lo, s4
	v_add_nc_u32_e32 v10, v0, v10
	v_lshl_add_u32 v18, v13, 2, v12
	v_add_nc_u32_e32 v16, v13, v23
                                        ; implicit-def: $vgpr14
	v_sub_nc_u32_e32 v15, v10, v13
                                        ; implicit-def: $vgpr13
	s_delay_alu instid0(VALU_DEP_2) | instskip(NEXT) | instid1(VALU_DEP_2)
	v_cmp_le_i32_e64 s3, v0, v16
	v_lshl_add_u32 v17, v15, 2, v6
	v_cmp_gt_i32_e64 s5, v11, v15
	ds_load_b32 v10, v18
	ds_load_b32 v12, v17
	s_waitcnt lgkmcnt(0)
	v_cmp_lt_i32_e64 s4, v12, v10
	s_delay_alu instid0(VALU_DEP_1) | instskip(NEXT) | instid1(SALU_CYCLE_1)
	s_or_b32 s3, s3, s4
	s_and_b32 s3, s5, s3
	s_delay_alu instid0(SALU_CYCLE_1) | instskip(NEXT) | instid1(SALU_CYCLE_1)
	s_xor_b32 s4, s3, -1
	s_and_saveexec_b32 s5, s4
	s_delay_alu instid0(SALU_CYCLE_1)
	s_xor_b32 s4, exec_lo, s5
	s_cbranch_execz .LBB7_32
; %bb.31:
	ds_load_b32 v14, v18 offset:4
	v_mov_b32_e32 v13, v12
                                        ; implicit-def: $vgpr17
.LBB7_32:
	s_and_not1_saveexec_b32 s4, s4
	s_cbranch_execz .LBB7_34
; %bb.33:
	ds_load_b32 v13, v17 offset:4
	s_waitcnt lgkmcnt(1)
	v_mov_b32_e32 v14, v10
.LBB7_34:
	s_or_b32 exec_lo, exec_lo, s4
	v_add_nc_u32_e32 v17, 1, v16
	v_add_nc_u32_e32 v18, 1, v15
	s_waitcnt lgkmcnt(0)
	v_cmp_lt_i32_e64 s5, v13, v14
	s_delay_alu instid0(VALU_DEP_3) | instskip(NEXT) | instid1(VALU_DEP_3)
	v_cndmask_b32_e64 v19, v17, v16, s3
	v_cndmask_b32_e64 v20, v15, v18, s3
                                        ; implicit-def: $vgpr17
	s_delay_alu instid0(VALU_DEP_2) | instskip(NEXT) | instid1(VALU_DEP_2)
	v_cmp_ge_i32_e64 s4, v19, v0
	v_cmp_lt_i32_e64 s6, v20, v11
	s_delay_alu instid0(VALU_DEP_2)
	s_or_b32 s4, s4, s5
	s_delay_alu instid0(VALU_DEP_1) | instid1(SALU_CYCLE_1)
	s_and_b32 s4, s6, s4
	s_delay_alu instid0(SALU_CYCLE_1) | instskip(NEXT) | instid1(SALU_CYCLE_1)
	s_xor_b32 s5, s4, -1
	s_and_saveexec_b32 s6, s5
	s_delay_alu instid0(SALU_CYCLE_1)
	s_xor_b32 s5, exec_lo, s6
	s_cbranch_execz .LBB7_36
; %bb.35:
	v_lshl_add_u32 v17, v19, 2, v6
	ds_load_b32 v17, v17 offset:4
.LBB7_36:
	s_or_saveexec_b32 s5, s5
	v_mov_b32_e32 v18, v13
	s_xor_b32 exec_lo, exec_lo, s5
	s_cbranch_execz .LBB7_38
; %bb.37:
	s_waitcnt lgkmcnt(0)
	v_lshl_add_u32 v17, v20, 2, v6
	ds_load_b32 v18, v17 offset:4
	v_mov_b32_e32 v17, v14
.LBB7_38:
	s_or_b32 exec_lo, exec_lo, s5
	v_add_nc_u32_e32 v21, 1, v19
	v_add_nc_u32_e32 v22, 1, v20
	s_waitcnt lgkmcnt(0)
	v_cmp_lt_i32_e64 s6, v18, v17
                                        ; implicit-def: $vgpr23
	s_delay_alu instid0(VALU_DEP_3) | instskip(NEXT) | instid1(VALU_DEP_3)
	v_cndmask_b32_e64 v24, v21, v19, s4
	v_cndmask_b32_e64 v21, v20, v22, s4
                                        ; implicit-def: $vgpr22
	s_delay_alu instid0(VALU_DEP_2) | instskip(NEXT) | instid1(VALU_DEP_2)
	v_cmp_ge_i32_e64 s5, v24, v0
	v_cmp_lt_i32_e64 s7, v21, v11
	s_delay_alu instid0(VALU_DEP_2)
	s_or_b32 s5, s5, s6
	s_delay_alu instid0(VALU_DEP_1) | instid1(SALU_CYCLE_1)
	s_and_b32 s5, s7, s5
	s_delay_alu instid0(SALU_CYCLE_1) | instskip(NEXT) | instid1(SALU_CYCLE_1)
	s_xor_b32 s6, s5, -1
	s_and_saveexec_b32 s7, s6
	s_delay_alu instid0(SALU_CYCLE_1)
	s_xor_b32 s6, exec_lo, s7
	s_cbranch_execz .LBB7_40
; %bb.39:
	v_lshl_add_u32 v22, v24, 2, v6
	ds_load_b32 v23, v22 offset:4
	v_add_nc_u32_e32 v22, 1, v24
.LBB7_40:
	s_or_saveexec_b32 s6, s6
	v_dual_mov_b32 v25, v24 :: v_dual_mov_b32 v26, v18
	s_xor_b32 exec_lo, exec_lo, s6
	s_cbranch_execz .LBB7_42
; %bb.41:
	v_lshl_add_u32 v22, v21, 2, v6
	s_waitcnt lgkmcnt(0)
	v_add_nc_u32_e32 v23, 1, v21
	v_mov_b32_e32 v25, v21
	ds_load_b32 v26, v22 offset:4
	v_dual_mov_b32 v22, v24 :: v_dual_mov_b32 v21, v23
	v_mov_b32_e32 v23, v17
.LBB7_42:
	s_or_b32 exec_lo, exec_lo, s6
	s_delay_alu instid0(VALU_DEP_2) | instskip(SKIP_1) | instid1(VALU_DEP_2)
	v_cmp_ge_i32_e64 s6, v22, v0
	s_waitcnt lgkmcnt(0)
	v_cmp_lt_i32_e64 s7, v26, v23
	v_cmp_lt_i32_e64 s8, v21, v11
	v_cndmask_b32_e64 v11, v16, v15, s3
	v_cndmask_b32_e64 v0, v19, v20, s4
	s_delay_alu instid0(VALU_DEP_4)
	s_or_b32 s6, s6, s7
	; wave barrier
	s_delay_alu instid0(VALU_DEP_3) | instid1(SALU_CYCLE_1)
	s_and_b32 s6, s8, s6
	ds_store_2addr_b32 v7, v1, v2 offset1:1
	ds_store_2addr_b32 v7, v3, v9 offset0:2 offset1:3
	v_cndmask_b32_e64 v16, v22, v21, s6
	v_lshl_add_u32 v1, v11, 2, v6
	v_lshl_add_u32 v0, v0, 2, v6
	v_lshl_add_u32 v2, v25, 2, v6
	s_delay_alu instid0(VALU_DEP_4)
	v_lshl_add_u32 v3, v16, 2, v6
	; wave barrier
	ds_load_b32 v1, v1
	ds_load_b32 v0, v0
	;; [unrolled: 1-line block ×4, first 2 shown]
	v_cndmask_b32_e64 v6, v10, v12, s3
	v_cndmask_b32_e64 v7, v14, v13, s4
	;; [unrolled: 1-line block ×4, first 2 shown]
	v_add_co_u32 v11, s3, s10, v4
	s_delay_alu instid0(VALU_DEP_1)
	v_add_co_ci_u32_e64 v12, s3, s11, v5, s3
	s_waitcnt lgkmcnt(3)
	v_add_nc_u32_e32 v1, v1, v6
	s_waitcnt lgkmcnt(2)
	v_add_nc_u32_e32 v0, v7, v0
	;; [unrolled: 2-line block ×3, first 2 shown]
	s_waitcnt lgkmcnt(0)
	v_dual_cndmask_b32 v5, v6, v1 :: v_dual_add_nc_u32 v10, v15, v3
	v_cndmask_b32_e64 v4, v7, v0, s0
	v_add_co_u32 v0, s3, v11, v8
	v_cndmask_b32_e64 v3, v9, v2, s1
	s_delay_alu instid0(VALU_DEP_4)
	v_cndmask_b32_e64 v2, v15, v10, s2
	v_add_co_ci_u32_e64 v1, s3, 0, v12, s3
	s_and_saveexec_b32 s3, vcc_lo
	s_cbranch_execnz .LBB7_47
; %bb.43:
	s_or_b32 exec_lo, exec_lo, s3
	s_and_saveexec_b32 s3, s0
	s_cbranch_execnz .LBB7_48
.LBB7_44:
	s_or_b32 exec_lo, exec_lo, s3
	s_and_saveexec_b32 s0, s1
	s_cbranch_execnz .LBB7_49
.LBB7_45:
	s_or_b32 exec_lo, exec_lo, s0
	s_and_saveexec_b32 s0, s2
	s_cbranch_execnz .LBB7_50
.LBB7_46:
	s_nop 0
	s_sendmsg sendmsg(MSG_DEALLOC_VGPRS)
	s_endpgm
.LBB7_47:
	global_store_b32 v[0:1], v5, off
	s_or_b32 exec_lo, exec_lo, s3
	s_and_saveexec_b32 s3, s0
	s_cbranch_execz .LBB7_44
.LBB7_48:
	global_store_b32 v[0:1], v4, off offset:4
	s_or_b32 exec_lo, exec_lo, s3
	s_and_saveexec_b32 s0, s1
	s_cbranch_execz .LBB7_45
.LBB7_49:
	global_store_b32 v[0:1], v3, off offset:8
	s_or_b32 exec_lo, exec_lo, s0
	s_and_saveexec_b32 s0, s2
	s_cbranch_execz .LBB7_46
.LBB7_50:
	global_store_b32 v[0:1], v2, off offset:12
	s_nop 0
	s_sendmsg sendmsg(MSG_DEALLOC_VGPRS)
	s_endpgm
	.section	.rodata,"a",@progbits
	.p2align	6, 0x0
	.amdhsa_kernel _Z20sort_pairs_segmentedILj256ELj4ELj4EiN10test_utils4lessEEvPKT2_PS2_PKjT3_
		.amdhsa_group_segment_fixed_size 4352
		.amdhsa_private_segment_fixed_size 0
		.amdhsa_kernarg_size 28
		.amdhsa_user_sgpr_count 15
		.amdhsa_user_sgpr_dispatch_ptr 0
		.amdhsa_user_sgpr_queue_ptr 0
		.amdhsa_user_sgpr_kernarg_segment_ptr 1
		.amdhsa_user_sgpr_dispatch_id 0
		.amdhsa_user_sgpr_private_segment_size 0
		.amdhsa_wavefront_size32 1
		.amdhsa_uses_dynamic_stack 0
		.amdhsa_enable_private_segment 0
		.amdhsa_system_sgpr_workgroup_id_x 1
		.amdhsa_system_sgpr_workgroup_id_y 0
		.amdhsa_system_sgpr_workgroup_id_z 0
		.amdhsa_system_sgpr_workgroup_info 0
		.amdhsa_system_vgpr_workitem_id 0
		.amdhsa_next_free_vgpr 31
		.amdhsa_next_free_sgpr 16
		.amdhsa_reserve_vcc 1
		.amdhsa_float_round_mode_32 0
		.amdhsa_float_round_mode_16_64 0
		.amdhsa_float_denorm_mode_32 3
		.amdhsa_float_denorm_mode_16_64 3
		.amdhsa_dx10_clamp 1
		.amdhsa_ieee_mode 1
		.amdhsa_fp16_overflow 0
		.amdhsa_workgroup_processor_mode 1
		.amdhsa_memory_ordered 1
		.amdhsa_forward_progress 0
		.amdhsa_shared_vgpr_count 0
		.amdhsa_exception_fp_ieee_invalid_op 0
		.amdhsa_exception_fp_denorm_src 0
		.amdhsa_exception_fp_ieee_div_zero 0
		.amdhsa_exception_fp_ieee_overflow 0
		.amdhsa_exception_fp_ieee_underflow 0
		.amdhsa_exception_fp_ieee_inexact 0
		.amdhsa_exception_int_div_zero 0
	.end_amdhsa_kernel
	.section	.text._Z20sort_pairs_segmentedILj256ELj4ELj4EiN10test_utils4lessEEvPKT2_PS2_PKjT3_,"axG",@progbits,_Z20sort_pairs_segmentedILj256ELj4ELj4EiN10test_utils4lessEEvPKT2_PS2_PKjT3_,comdat
.Lfunc_end7:
	.size	_Z20sort_pairs_segmentedILj256ELj4ELj4EiN10test_utils4lessEEvPKT2_PS2_PKjT3_, .Lfunc_end7-_Z20sort_pairs_segmentedILj256ELj4ELj4EiN10test_utils4lessEEvPKT2_PS2_PKjT3_
                                        ; -- End function
	.section	.AMDGPU.csdata,"",@progbits
; Kernel info:
; codeLenInByte = 2856
; NumSgprs: 18
; NumVgprs: 31
; ScratchSize: 0
; MemoryBound: 0
; FloatMode: 240
; IeeeMode: 1
; LDSByteSize: 4352 bytes/workgroup (compile time only)
; SGPRBlocks: 2
; VGPRBlocks: 3
; NumSGPRsForWavesPerEU: 18
; NumVGPRsForWavesPerEU: 31
; Occupancy: 16
; WaveLimiterHint : 0
; COMPUTE_PGM_RSRC2:SCRATCH_EN: 0
; COMPUTE_PGM_RSRC2:USER_SGPR: 15
; COMPUTE_PGM_RSRC2:TRAP_HANDLER: 0
; COMPUTE_PGM_RSRC2:TGID_X_EN: 1
; COMPUTE_PGM_RSRC2:TGID_Y_EN: 0
; COMPUTE_PGM_RSRC2:TGID_Z_EN: 0
; COMPUTE_PGM_RSRC2:TIDIG_COMP_CNT: 0
	.section	.text._Z9sort_keysILj256ELj4ELj8EiN10test_utils4lessEEvPKT2_PS2_T3_,"axG",@progbits,_Z9sort_keysILj256ELj4ELj8EiN10test_utils4lessEEvPKT2_PS2_T3_,comdat
	.protected	_Z9sort_keysILj256ELj4ELj8EiN10test_utils4lessEEvPKT2_PS2_T3_ ; -- Begin function _Z9sort_keysILj256ELj4ELj8EiN10test_utils4lessEEvPKT2_PS2_T3_
	.globl	_Z9sort_keysILj256ELj4ELj8EiN10test_utils4lessEEvPKT2_PS2_T3_
	.p2align	8
	.type	_Z9sort_keysILj256ELj4ELj8EiN10test_utils4lessEEvPKT2_PS2_T3_,@function
_Z9sort_keysILj256ELj4ELj8EiN10test_utils4lessEEvPKT2_PS2_T3_: ; @_Z9sort_keysILj256ELj4ELj8EiN10test_utils4lessEEvPKT2_PS2_T3_
; %bb.0:
	s_load_b128 s[8:11], s[0:1], 0x0
	s_mov_b32 s3, 0
	s_lshl_b32 s2, s15, 11
	v_lshlrev_b32_e32 v1, 5, v0
	s_lshl_b64 s[12:13], s[2:3], 2
	v_lshrrev_b32_e32 v6, 2, v0
	s_waitcnt lgkmcnt(0)
	s_add_u32 s0, s8, s12
	s_addc_u32 s1, s9, s13
	s_clause 0x1
	global_load_b128 v[12:15], v1, s[0:1]
	global_load_b128 v[16:19], v1, s[0:1] offset:16
	v_mbcnt_lo_u32_b32 v1, -1, 0
	; wave barrier
	s_delay_alu instid0(VALU_DEP_1) | instskip(NEXT) | instid1(VALU_DEP_1)
	v_lshlrev_b32_e32 v2, 3, v1
	v_and_b32_e32 v10, 16, v2
	v_and_b32_e32 v8, 8, v2
	s_delay_alu instid0(VALU_DEP_2)
	v_or_b32_e32 v5, 8, v10
	s_waitcnt vmcnt(1)
	v_cmp_lt_i32_e64 s0, v15, v14
	s_waitcnt vmcnt(0)
	v_min_i32_e32 v27, v17, v16
	v_max_i32_e32 v21, v13, v12
	v_max_i32_e32 v23, v15, v14
	v_min_i32_e32 v24, v15, v14
	v_cndmask_b32_e64 v22, v15, v14, s0
	v_add_nc_u32_e32 v4, 16, v10
	v_cmp_lt_i32_e64 s1, v17, v16
	v_max_i32_e32 v26, v17, v16
	v_cmp_lt_i32_e64 s2, v19, v18
	v_min_i32_e32 v30, v19, v18
	v_sub_nc_u32_e32 v9, v4, v5
	v_min_i32_e32 v20, v13, v12
	v_cndmask_b32_e64 v25, v17, v16, s1
	v_max_i32_e32 v29, v19, v18
	v_cndmask_b32_e64 v28, v19, v18, s2
	v_sub_nc_u32_e32 v11, v8, v9
	v_cmp_ge_i32_e32 vcc_lo, v8, v9
	v_max_i32_e32 v31, v30, v26
	v_min_i32_e32 v32, v30, v26
	s_delay_alu instid0(VALU_DEP_4)
	v_cndmask_b32_e32 v11, 0, v11, vcc_lo
	v_cmp_lt_i32_e32 vcc_lo, v13, v12
	v_and_b32_e32 v1, 24, v2
	v_dual_cndmask_b32 v9, v12, v13 :: v_dual_cndmask_b32 v12, v13, v12
	v_cndmask_b32_e64 v13, v14, v15, s0
	v_cndmask_b32_e64 v14, v16, v17, s1
	;; [unrolled: 1-line block ×3, first 2 shown]
	v_cmp_lt_i32_e32 vcc_lo, v27, v23
	v_cmp_lt_i32_e64 s0, v30, v26
	v_cmp_lt_i32_e64 s1, v24, v21
	v_max_i32_e32 v16, v24, v21
	v_min_i32_e32 v17, v24, v21
	v_max_i32_e32 v18, v27, v23
	v_min_i32_e32 v19, v27, v23
	v_cmp_lt_i32_e64 s2, v24, v20
	v_cndmask_b32_e64 v13, v13, v21, s1
	v_cndmask_b32_e32 v21, v22, v27, vcc_lo
	v_cndmask_b32_e64 v15, v15, v26, s0
	v_cndmask_b32_e64 v22, v25, v30, s0
	v_cmp_gt_i32_e64 s0, v26, v29
	v_cndmask_b32_e64 v12, v12, v24, s1
	v_cndmask_b32_e32 v14, v14, v23, vcc_lo
	v_cndmask_b32_e64 v9, v9, v17, s2
	v_cndmask_b32_e64 v23, v20, v17, s2
	;; [unrolled: 1-line block ×3, first 2 shown]
	v_min_i32_e32 v25, v19, v16
	v_cmp_lt_i32_e32 vcc_lo, v32, v18
	v_max_i32_e32 v26, v32, v18
	v_cndmask_b32_e64 v28, v28, v31, s0
	v_cmp_lt_i32_e64 s1, v19, v16
	v_cndmask_b32_e64 v30, v29, v31, s0
	v_cndmask_b32_e64 v31, v31, v29, s0
	v_max_i32_e32 v24, v19, v16
	v_min_i32_e32 v27, v32, v18
	v_dual_cndmask_b32 v18, v22, v18 :: v_dual_lshlrev_b32 v3, 3, v0
	v_cndmask_b32_e64 v16, v21, v16, s1
	v_cndmask_b32_e64 v13, v13, v19, s1
	;; [unrolled: 1-line block ×3, first 2 shown]
	v_cmp_lt_i32_e64 s0, v25, v17
	v_cmp_lt_i32_e64 s1, v31, v26
	v_max_i32_e32 v29, v31, v26
	v_dual_cndmask_b32 v14, v14, v32 :: v_dual_lshlrev_b32 v7, 2, v10
	v_cndmask_b32_e64 v12, v12, v20, s2
	v_min_i32_e32 v20, v25, v17
	v_cmp_lt_i32_e32 vcc_lo, v27, v24
	v_max_i32_e32 v19, v25, v17
	v_max_i32_e32 v21, v27, v24
	v_min_i32_e32 v32, v31, v26
	v_cndmask_b32_e64 v13, v13, v17, s0
	v_cndmask_b32_e64 v15, v15, v26, s1
	v_cndmask_b32_e64 v17, v18, v31, s1
	v_cmp_lt_i32_e64 s1, v30, v29
	v_min_i32_e32 v22, v27, v24
	v_cndmask_b32_e32 v14, v14, v24, vcc_lo
	v_cndmask_b32_e32 v16, v16, v27, vcc_lo
	v_cmp_lt_i32_e32 vcc_lo, v20, v23
	v_cndmask_b32_e64 v12, v12, v25, s0
	v_cmp_lt_i32_e64 s0, v32, v21
	v_max_i32_e32 v26, v32, v21
	v_cndmask_b32_e64 v28, v28, v29, s1
	v_max_i32_e32 v31, v30, v29
	v_min_i32_e32 v29, v30, v29
	v_cndmask_b32_e32 v9, v9, v20, vcc_lo
	v_min_i32_e32 v18, v20, v23
	v_max_i32_e32 v20, v20, v23
	v_max_i32_e32 v24, v22, v19
	v_min_i32_e32 v25, v22, v19
	v_min_i32_e32 v27, v32, v21
	v_cmp_lt_i32_e64 s2, v22, v19
	v_cndmask_b32_e64 v17, v17, v21, s0
	v_cndmask_b32_e64 v14, v14, v32, s0
	;; [unrolled: 1-line block ×3, first 2 shown]
	v_cmp_lt_i32_e64 s0, v29, v26
	v_cndmask_b32_e32 v12, v12, v23, vcc_lo
	v_cndmask_b32_e64 v16, v16, v19, s2
	v_cndmask_b32_e64 v13, v13, v22, s2
	v_max_i32_e32 v19, v25, v20
	v_min_i32_e32 v21, v25, v20
	v_cmp_lt_i32_e32 vcc_lo, v27, v24
	v_min_i32_e32 v23, v27, v24
	v_cmp_lt_i32_e64 s1, v25, v20
	v_cmp_lt_i32_e64 s2, v25, v18
	v_max_i32_e32 v22, v27, v24
	v_min_i32_e32 v32, v29, v26
	v_max_i32_e32 v30, v29, v26
	v_cndmask_b32_e64 v15, v15, v26, s0
	v_cndmask_b32_e64 v17, v17, v29, s0
	v_cmp_gt_i32_e64 s0, v26, v31
	v_cndmask_b32_e64 v12, v12, v25, s1
	v_cndmask_b32_e64 v13, v13, v20, s1
	v_cndmask_b32_e32 v14, v14, v24, vcc_lo
	v_cndmask_b32_e32 v16, v16, v27, vcc_lo
	v_cndmask_b32_e64 v20, v21, v18, s2
	v_cmp_lt_i32_e32 vcc_lo, v23, v19
	v_min_i32_e32 v24, v23, v19
	v_cndmask_b32_e64 v9, v9, v21, s2
	v_max_i32_e32 v21, v23, v19
	v_min_i32_e32 v26, v32, v22
	v_cmp_lt_i32_e64 s1, v32, v22
	v_max_i32_e32 v25, v32, v22
	v_cndmask_b32_e64 v27, v28, v30, s0
	v_cndmask_b32_e64 v28, v30, v31, s0
	v_dual_cndmask_b32 v13, v13, v23 :: v_dual_lshlrev_b32 v2, 2, v1
	v_sub_nc_u32_e32 v0, v5, v10
	v_cndmask_b32_e64 v12, v12, v18, s2
	v_cndmask_b32_e32 v16, v16, v19, vcc_lo
	v_cmp_lt_i32_e32 vcc_lo, v24, v20
	v_cndmask_b32_e64 v15, v15, v31, s0
	v_cmp_lt_i32_e64 s0, v26, v21
	v_cndmask_b32_e64 v17, v17, v22, s1
	v_cndmask_b32_e64 v14, v14, v32, s1
	v_cmp_lt_i32_e64 s1, v28, v25
	v_mad_u32_u24 v2, 0x84, v6, v2
	v_mad_u32_u24 v7, 0x84, v6, v7
	v_min_i32_e32 v0, v8, v0
	v_cndmask_b32_e32 v12, v12, v24, vcc_lo
	v_cndmask_b32_e32 v13, v13, v20, vcc_lo
	v_cndmask_b32_e64 v16, v16, v26, s0
	v_cndmask_b32_e64 v14, v14, v21, s0
	;; [unrolled: 1-line block ×4, first 2 shown]
	s_mov_b32 s0, exec_lo
	ds_store_2addr_b32 v2, v9, v12 offset1:1
	ds_store_2addr_b32 v2, v13, v16 offset0:2 offset1:3
	ds_store_2addr_b32 v2, v14, v17 offset0:4 offset1:5
	;; [unrolled: 1-line block ×3, first 2 shown]
	; wave barrier
	v_cmpx_lt_i32_e64 v11, v0
	s_cbranch_execz .LBB8_4
; %bb.1:
	v_lshlrev_b32_e32 v9, 2, v8
	s_delay_alu instid0(VALU_DEP_1)
	v_add3_u32 v9, v7, v9, 32
	.p2align	6
.LBB8_2:                                ; =>This Inner Loop Header: Depth=1
	v_sub_nc_u32_e32 v12, v0, v11
	s_delay_alu instid0(VALU_DEP_1) | instskip(NEXT) | instid1(VALU_DEP_1)
	v_lshrrev_b32_e32 v13, 31, v12
	v_add_nc_u32_e32 v12, v12, v13
	s_delay_alu instid0(VALU_DEP_1) | instskip(NEXT) | instid1(VALU_DEP_1)
	v_ashrrev_i32_e32 v12, 1, v12
	v_add_nc_u32_e32 v12, v12, v11
	s_delay_alu instid0(VALU_DEP_1) | instskip(SKIP_2) | instid1(VALU_DEP_3)
	v_not_b32_e32 v13, v12
	v_lshl_add_u32 v14, v12, 2, v7
	v_add_nc_u32_e32 v15, 1, v12
	v_lshl_add_u32 v13, v13, 2, v9
	ds_load_b32 v14, v14
	ds_load_b32 v13, v13
	s_waitcnt lgkmcnt(0)
	v_cmp_lt_i32_e32 vcc_lo, v13, v14
	v_dual_cndmask_b32 v11, v15, v11 :: v_dual_cndmask_b32 v0, v0, v12
	s_delay_alu instid0(VALU_DEP_1) | instskip(SKIP_1) | instid1(SALU_CYCLE_1)
	v_cmp_ge_i32_e32 vcc_lo, v11, v0
	s_or_b32 s3, vcc_lo, s3
	s_and_not1_b32 exec_lo, exec_lo, s3
	s_cbranch_execnz .LBB8_2
; %bb.3:
	s_or_b32 exec_lo, exec_lo, s3
.LBB8_4:
	s_delay_alu instid0(SALU_CYCLE_1)
	s_or_b32 exec_lo, exec_lo, s0
	v_mul_u32_u24_e32 v0, 0x84, v6
	v_add_nc_u32_e32 v6, v10, v8
	v_lshl_add_u32 v14, v11, 2, v7
	v_add_nc_u32_e32 v8, v5, v8
	v_cmp_lt_i32_e32 vcc_lo, 7, v11
                                        ; implicit-def: $vgpr9
	s_delay_alu instid0(VALU_DEP_4) | instskip(NEXT) | instid1(VALU_DEP_3)
	v_sub_nc_u32_e32 v6, v6, v11
	v_sub_nc_u32_e32 v12, v8, v11
                                        ; implicit-def: $vgpr8
	s_delay_alu instid0(VALU_DEP_2)
	v_lshl_add_u32 v13, v6, 2, v0
	ds_load_b32 v6, v14
	ds_load_b32 v7, v13 offset:32
	v_cmp_gt_i32_e64 s1, v4, v12
	s_waitcnt lgkmcnt(0)
	v_cmp_lt_i32_e64 s0, v7, v6
	s_delay_alu instid0(VALU_DEP_1)
	s_or_b32 s0, vcc_lo, s0
	s_delay_alu instid0(VALU_DEP_2) | instid1(SALU_CYCLE_1)
	s_and_b32 vcc_lo, s1, s0
	s_delay_alu instid0(SALU_CYCLE_1) | instskip(NEXT) | instid1(SALU_CYCLE_1)
	s_xor_b32 s0, vcc_lo, -1
	s_and_saveexec_b32 s1, s0
	s_delay_alu instid0(SALU_CYCLE_1)
	s_xor_b32 s0, exec_lo, s1
	s_cbranch_execz .LBB8_6
; %bb.5:
	ds_load_b32 v9, v14 offset:4
	v_mov_b32_e32 v8, v7
                                        ; implicit-def: $vgpr13
.LBB8_6:
	s_and_not1_saveexec_b32 s0, s0
	s_cbranch_execz .LBB8_8
; %bb.7:
	ds_load_b32 v8, v13 offset:36
	s_waitcnt lgkmcnt(1)
	v_mov_b32_e32 v9, v6
.LBB8_8:
	s_or_b32 exec_lo, exec_lo, s0
	v_add_nc_u32_e32 v10, v11, v10
	s_waitcnt lgkmcnt(0)
	s_delay_alu instid0(VALU_DEP_2) | instskip(NEXT) | instid1(VALU_DEP_2)
	v_cmp_lt_i32_e64 s1, v8, v9
	v_add_nc_u32_e32 v11, 1, v10
	s_delay_alu instid0(VALU_DEP_1) | instskip(NEXT) | instid1(VALU_DEP_1)
	v_dual_cndmask_b32 v13, v11, v10 :: v_dual_add_nc_u32 v14, 1, v12
	v_cndmask_b32_e32 v12, v12, v14, vcc_lo
                                        ; implicit-def: $vgpr10
	s_delay_alu instid0(VALU_DEP_2) | instskip(NEXT) | instid1(VALU_DEP_2)
	v_cmp_ge_i32_e64 s0, v13, v5
	v_cmp_lt_i32_e64 s2, v12, v4
	s_delay_alu instid0(VALU_DEP_2)
	s_or_b32 s0, s0, s1
	s_delay_alu instid0(VALU_DEP_1) | instid1(SALU_CYCLE_1)
	s_and_b32 s0, s2, s0
	s_delay_alu instid0(SALU_CYCLE_1) | instskip(NEXT) | instid1(SALU_CYCLE_1)
	s_xor_b32 s1, s0, -1
	s_and_saveexec_b32 s2, s1
	s_delay_alu instid0(SALU_CYCLE_1)
	s_xor_b32 s1, exec_lo, s2
	s_cbranch_execz .LBB8_10
; %bb.9:
	v_lshl_add_u32 v10, v13, 2, v0
	ds_load_b32 v10, v10 offset:4
.LBB8_10:
	s_or_saveexec_b32 s1, s1
	v_mov_b32_e32 v11, v8
	s_xor_b32 exec_lo, exec_lo, s1
	s_cbranch_execz .LBB8_12
; %bb.11:
	s_waitcnt lgkmcnt(0)
	v_lshl_add_u32 v10, v12, 2, v0
	ds_load_b32 v11, v10 offset:4
	v_mov_b32_e32 v10, v9
.LBB8_12:
	s_or_b32 exec_lo, exec_lo, s1
	v_add_nc_u32_e32 v14, 1, v13
	v_add_nc_u32_e32 v16, 1, v12
	s_waitcnt lgkmcnt(0)
	v_cmp_lt_i32_e64 s2, v11, v10
	s_delay_alu instid0(VALU_DEP_3) | instskip(NEXT) | instid1(VALU_DEP_3)
	v_cndmask_b32_e64 v15, v14, v13, s0
	v_cndmask_b32_e64 v14, v12, v16, s0
                                        ; implicit-def: $vgpr12
	s_delay_alu instid0(VALU_DEP_2) | instskip(NEXT) | instid1(VALU_DEP_2)
	v_cmp_ge_i32_e64 s1, v15, v5
	v_cmp_lt_i32_e64 s3, v14, v4
	s_delay_alu instid0(VALU_DEP_2)
	s_or_b32 s1, s1, s2
	s_delay_alu instid0(VALU_DEP_1) | instid1(SALU_CYCLE_1)
	s_and_b32 s1, s3, s1
	s_delay_alu instid0(SALU_CYCLE_1) | instskip(NEXT) | instid1(SALU_CYCLE_1)
	s_xor_b32 s2, s1, -1
	s_and_saveexec_b32 s3, s2
	s_delay_alu instid0(SALU_CYCLE_1)
	s_xor_b32 s2, exec_lo, s3
	s_cbranch_execz .LBB8_14
; %bb.13:
	v_lshl_add_u32 v12, v15, 2, v0
	ds_load_b32 v12, v12 offset:4
.LBB8_14:
	s_or_saveexec_b32 s2, s2
	v_mov_b32_e32 v13, v11
	s_xor_b32 exec_lo, exec_lo, s2
	s_cbranch_execz .LBB8_16
; %bb.15:
	s_waitcnt lgkmcnt(0)
	v_lshl_add_u32 v12, v14, 2, v0
	ds_load_b32 v13, v12 offset:4
	v_mov_b32_e32 v12, v10
.LBB8_16:
	s_or_b32 exec_lo, exec_lo, s2
	v_add_nc_u32_e32 v16, 1, v15
	v_add_nc_u32_e32 v18, 1, v14
	s_waitcnt lgkmcnt(0)
	v_cmp_lt_i32_e64 s3, v13, v12
	s_delay_alu instid0(VALU_DEP_3) | instskip(NEXT) | instid1(VALU_DEP_3)
	v_cndmask_b32_e64 v17, v16, v15, s1
	v_cndmask_b32_e64 v16, v14, v18, s1
                                        ; implicit-def: $vgpr14
	s_delay_alu instid0(VALU_DEP_2) | instskip(NEXT) | instid1(VALU_DEP_2)
	v_cmp_ge_i32_e64 s2, v17, v5
	v_cmp_lt_i32_e64 s4, v16, v4
	s_delay_alu instid0(VALU_DEP_2)
	s_or_b32 s2, s2, s3
	s_delay_alu instid0(VALU_DEP_1) | instid1(SALU_CYCLE_1)
	s_and_b32 s2, s4, s2
	s_delay_alu instid0(SALU_CYCLE_1) | instskip(NEXT) | instid1(SALU_CYCLE_1)
	s_xor_b32 s3, s2, -1
	s_and_saveexec_b32 s4, s3
	s_delay_alu instid0(SALU_CYCLE_1)
	s_xor_b32 s3, exec_lo, s4
	s_cbranch_execz .LBB8_18
; %bb.17:
	v_lshl_add_u32 v14, v17, 2, v0
	ds_load_b32 v14, v14 offset:4
.LBB8_18:
	s_or_saveexec_b32 s3, s3
	v_mov_b32_e32 v15, v13
	s_xor_b32 exec_lo, exec_lo, s3
	s_cbranch_execz .LBB8_20
; %bb.19:
	s_waitcnt lgkmcnt(0)
	v_lshl_add_u32 v14, v16, 2, v0
	ds_load_b32 v15, v14 offset:4
	v_mov_b32_e32 v14, v12
.LBB8_20:
	s_or_b32 exec_lo, exec_lo, s3
	v_add_nc_u32_e32 v18, 1, v17
	v_add_nc_u32_e32 v20, 1, v16
	s_waitcnt lgkmcnt(0)
	v_cmp_lt_i32_e64 s4, v15, v14
	s_delay_alu instid0(VALU_DEP_3) | instskip(NEXT) | instid1(VALU_DEP_3)
	v_cndmask_b32_e64 v19, v18, v17, s2
	v_cndmask_b32_e64 v18, v16, v20, s2
                                        ; implicit-def: $vgpr16
	s_delay_alu instid0(VALU_DEP_2) | instskip(NEXT) | instid1(VALU_DEP_2)
	v_cmp_ge_i32_e64 s3, v19, v5
	v_cmp_lt_i32_e64 s5, v18, v4
	s_delay_alu instid0(VALU_DEP_2)
	s_or_b32 s3, s3, s4
	s_delay_alu instid0(VALU_DEP_1) | instid1(SALU_CYCLE_1)
	s_and_b32 s3, s5, s3
	s_delay_alu instid0(SALU_CYCLE_1) | instskip(NEXT) | instid1(SALU_CYCLE_1)
	s_xor_b32 s4, s3, -1
	s_and_saveexec_b32 s5, s4
	s_delay_alu instid0(SALU_CYCLE_1)
	s_xor_b32 s4, exec_lo, s5
	s_cbranch_execz .LBB8_22
; %bb.21:
	v_lshl_add_u32 v16, v19, 2, v0
	ds_load_b32 v16, v16 offset:4
.LBB8_22:
	s_or_saveexec_b32 s4, s4
	v_mov_b32_e32 v17, v15
	s_xor_b32 exec_lo, exec_lo, s4
	s_cbranch_execz .LBB8_24
; %bb.23:
	s_waitcnt lgkmcnt(0)
	v_lshl_add_u32 v16, v18, 2, v0
	ds_load_b32 v17, v16 offset:4
	v_mov_b32_e32 v16, v14
.LBB8_24:
	s_or_b32 exec_lo, exec_lo, s4
	v_add_nc_u32_e32 v20, 1, v19
	v_add_nc_u32_e32 v22, 1, v18
	s_waitcnt lgkmcnt(0)
	v_cmp_lt_i32_e64 s5, v17, v16
	s_delay_alu instid0(VALU_DEP_3) | instskip(NEXT) | instid1(VALU_DEP_3)
	v_cndmask_b32_e64 v21, v20, v19, s3
	v_cndmask_b32_e64 v19, v18, v22, s3
                                        ; implicit-def: $vgpr18
	s_delay_alu instid0(VALU_DEP_2) | instskip(NEXT) | instid1(VALU_DEP_2)
	v_cmp_ge_i32_e64 s4, v21, v5
	v_cmp_lt_i32_e64 s6, v19, v4
	s_delay_alu instid0(VALU_DEP_2)
	s_or_b32 s4, s4, s5
	s_delay_alu instid0(VALU_DEP_1) | instid1(SALU_CYCLE_1)
	s_and_b32 s4, s6, s4
	s_delay_alu instid0(SALU_CYCLE_1) | instskip(NEXT) | instid1(SALU_CYCLE_1)
	s_xor_b32 s5, s4, -1
	s_and_saveexec_b32 s6, s5
	s_delay_alu instid0(SALU_CYCLE_1)
	s_xor_b32 s5, exec_lo, s6
	s_cbranch_execz .LBB8_26
; %bb.25:
	v_lshl_add_u32 v18, v21, 2, v0
	ds_load_b32 v18, v18 offset:4
.LBB8_26:
	s_or_saveexec_b32 s5, s5
	v_mov_b32_e32 v20, v17
	s_xor_b32 exec_lo, exec_lo, s5
	s_cbranch_execz .LBB8_28
; %bb.27:
	s_waitcnt lgkmcnt(0)
	v_lshl_add_u32 v18, v19, 2, v0
	ds_load_b32 v20, v18 offset:4
	v_mov_b32_e32 v18, v16
.LBB8_28:
	s_or_b32 exec_lo, exec_lo, s5
	v_add_nc_u32_e32 v22, 1, v21
	v_add_nc_u32_e32 v24, 1, v19
	s_waitcnt lgkmcnt(0)
	v_cmp_lt_i32_e64 s6, v20, v18
	s_delay_alu instid0(VALU_DEP_3) | instskip(NEXT) | instid1(VALU_DEP_3)
	v_cndmask_b32_e64 v23, v22, v21, s4
	v_cndmask_b32_e64 v21, v19, v24, s4
                                        ; implicit-def: $vgpr19
	s_delay_alu instid0(VALU_DEP_2) | instskip(NEXT) | instid1(VALU_DEP_2)
	v_cmp_ge_i32_e64 s5, v23, v5
	v_cmp_lt_i32_e64 s7, v21, v4
	s_delay_alu instid0(VALU_DEP_2)
	s_or_b32 s5, s5, s6
	s_delay_alu instid0(VALU_DEP_1) | instid1(SALU_CYCLE_1)
	s_and_b32 s5, s7, s5
	s_delay_alu instid0(SALU_CYCLE_1) | instskip(NEXT) | instid1(SALU_CYCLE_1)
	s_xor_b32 s6, s5, -1
	s_and_saveexec_b32 s7, s6
	s_delay_alu instid0(SALU_CYCLE_1)
	s_xor_b32 s6, exec_lo, s7
	s_cbranch_execz .LBB8_30
; %bb.29:
	v_lshl_add_u32 v19, v23, 2, v0
	ds_load_b32 v19, v19 offset:4
.LBB8_30:
	s_or_saveexec_b32 s6, s6
	v_mov_b32_e32 v22, v20
	s_xor_b32 exec_lo, exec_lo, s6
	s_cbranch_execz .LBB8_32
; %bb.31:
	s_waitcnt lgkmcnt(0)
	v_lshl_add_u32 v19, v21, 2, v0
	ds_load_b32 v22, v19 offset:4
	v_mov_b32_e32 v19, v18
.LBB8_32:
	s_or_b32 exec_lo, exec_lo, s6
	v_add_nc_u32_e32 v24, 1, v23
	v_cndmask_b32_e64 v18, v18, v20, s5
	v_add_nc_u32_e32 v20, 1, v21
	v_cndmask_b32_e64 v14, v14, v15, s3
	v_cndmask_b32_e64 v12, v12, v13, s2
	;; [unrolled: 1-line block ×5, first 2 shown]
	s_waitcnt lgkmcnt(0)
	v_cmp_lt_i32_e64 s1, v22, v19
	v_cndmask_b32_e32 v6, v6, v7, vcc_lo
	v_cmp_ge_i32_e64 s2, v15, v5
	v_cndmask_b32_e64 v5, v9, v8, s0
	v_cmp_lt_i32_e64 s0, v13, v4
	v_sub_nc_u32_e64 v8, v1, 16 clamp
	v_min_i32_e32 v4, 16, v1
	s_or_b32 s1, s2, s1
	v_cndmask_b32_e64 v16, v16, v17, s4
	s_and_b32 vcc_lo, s0, s1
	s_mov_b32 s0, exec_lo
	v_cndmask_b32_e32 v7, v19, v22, vcc_lo
	; wave barrier
	ds_store_2addr_b32 v2, v6, v5 offset1:1
	ds_store_2addr_b32 v2, v10, v12 offset0:2 offset1:3
	ds_store_2addr_b32 v2, v14, v16 offset0:4 offset1:5
	;; [unrolled: 1-line block ×3, first 2 shown]
	; wave barrier
	v_cmpx_lt_u32_e64 v8, v4
	s_cbranch_execz .LBB8_36
; %bb.33:
	v_add_nc_u32_e32 v2, 64, v2
	s_mov_b32 s1, 0
	.p2align	6
.LBB8_34:                               ; =>This Inner Loop Header: Depth=1
	v_sub_nc_u32_e32 v5, v4, v8
	s_delay_alu instid0(VALU_DEP_1) | instskip(NEXT) | instid1(VALU_DEP_1)
	v_lshrrev_b32_e32 v6, 31, v5
	v_add_nc_u32_e32 v5, v5, v6
	s_delay_alu instid0(VALU_DEP_1) | instskip(NEXT) | instid1(VALU_DEP_1)
	v_ashrrev_i32_e32 v5, 1, v5
	v_add_nc_u32_e32 v5, v5, v8
	s_delay_alu instid0(VALU_DEP_1) | instskip(SKIP_2) | instid1(VALU_DEP_3)
	v_not_b32_e32 v6, v5
	v_lshl_add_u32 v7, v5, 2, v0
	v_add_nc_u32_e32 v9, 1, v5
	v_lshl_add_u32 v6, v6, 2, v2
	ds_load_b32 v7, v7
	ds_load_b32 v6, v6
	s_waitcnt lgkmcnt(0)
	v_cmp_lt_i32_e32 vcc_lo, v6, v7
	v_cndmask_b32_e32 v4, v4, v5, vcc_lo
	v_cndmask_b32_e32 v8, v9, v8, vcc_lo
	s_delay_alu instid0(VALU_DEP_1) | instskip(SKIP_1) | instid1(SALU_CYCLE_1)
	v_cmp_ge_i32_e32 vcc_lo, v8, v4
	s_or_b32 s1, vcc_lo, s1
	s_and_not1_b32 exec_lo, exec_lo, s1
	s_cbranch_execnz .LBB8_34
; %bb.35:
	s_or_b32 exec_lo, exec_lo, s1
.LBB8_36:
	s_delay_alu instid0(SALU_CYCLE_1) | instskip(SKIP_3) | instid1(VALU_DEP_3)
	s_or_b32 exec_lo, exec_lo, s0
	v_sub_nc_u32_e32 v1, v1, v8
	v_lshl_add_u32 v9, v8, 2, v0
	v_cmp_lt_i32_e32 vcc_lo, 15, v8
                                        ; implicit-def: $vgpr6
                                        ; implicit-def: $vgpr7
	v_lshl_add_u32 v2, v1, 2, v0
	v_add_nc_u32_e32 v1, 16, v1
	ds_load_b32 v4, v9
	ds_load_b32 v5, v2 offset:64
	v_cmp_gt_i32_e64 s1, 32, v1
	s_waitcnt lgkmcnt(0)
	v_cmp_lt_i32_e64 s0, v5, v4
	s_delay_alu instid0(VALU_DEP_1)
	s_or_b32 s0, vcc_lo, s0
	s_delay_alu instid0(VALU_DEP_2) | instid1(SALU_CYCLE_1)
	s_and_b32 vcc_lo, s1, s0
	s_delay_alu instid0(SALU_CYCLE_1) | instskip(NEXT) | instid1(SALU_CYCLE_1)
	s_xor_b32 s0, vcc_lo, -1
	s_and_saveexec_b32 s1, s0
	s_delay_alu instid0(SALU_CYCLE_1)
	s_xor_b32 s0, exec_lo, s1
	s_cbranch_execz .LBB8_38
; %bb.37:
	ds_load_b32 v7, v9 offset:4
	v_mov_b32_e32 v6, v5
                                        ; implicit-def: $vgpr2
.LBB8_38:
	s_and_not1_saveexec_b32 s0, s0
	s_cbranch_execz .LBB8_40
; %bb.39:
	ds_load_b32 v6, v2 offset:68
	s_waitcnt lgkmcnt(1)
	v_mov_b32_e32 v7, v4
.LBB8_40:
	s_or_b32 exec_lo, exec_lo, s0
	v_add_nc_u32_e32 v9, 1, v1
	v_add_nc_u32_e32 v2, 1, v8
	s_waitcnt lgkmcnt(0)
	v_cmp_lt_i32_e64 s1, v6, v7
	s_delay_alu instid0(VALU_DEP_2) | instskip(NEXT) | instid1(VALU_DEP_1)
	v_dual_cndmask_b32 v1, v1, v9 :: v_dual_cndmask_b32 v2, v2, v8
                                        ; implicit-def: $vgpr8
	v_cmp_gt_i32_e64 s2, 32, v1
	s_delay_alu instid0(VALU_DEP_2) | instskip(NEXT) | instid1(VALU_DEP_1)
	v_cmp_lt_i32_e64 s0, 15, v2
	s_or_b32 s0, s0, s1
	s_delay_alu instid0(VALU_DEP_2) | instid1(SALU_CYCLE_1)
	s_and_b32 s0, s2, s0
	s_delay_alu instid0(SALU_CYCLE_1) | instskip(NEXT) | instid1(SALU_CYCLE_1)
	s_xor_b32 s1, s0, -1
	s_and_saveexec_b32 s2, s1
	s_delay_alu instid0(SALU_CYCLE_1)
	s_xor_b32 s1, exec_lo, s2
	s_cbranch_execz .LBB8_42
; %bb.41:
	v_lshl_add_u32 v8, v2, 2, v0
	ds_load_b32 v8, v8 offset:4
.LBB8_42:
	s_or_saveexec_b32 s1, s1
	v_mov_b32_e32 v9, v6
	s_xor_b32 exec_lo, exec_lo, s1
	s_cbranch_execz .LBB8_44
; %bb.43:
	s_waitcnt lgkmcnt(0)
	v_lshl_add_u32 v8, v1, 2, v0
	ds_load_b32 v9, v8 offset:4
	v_mov_b32_e32 v8, v7
.LBB8_44:
	s_or_b32 exec_lo, exec_lo, s1
	v_add_nc_u32_e32 v10, 1, v2
	v_add_nc_u32_e32 v11, 1, v1
	s_waitcnt lgkmcnt(0)
	v_cmp_lt_i32_e64 s2, v9, v8
	s_delay_alu instid0(VALU_DEP_3) | instskip(NEXT) | instid1(VALU_DEP_3)
	v_cndmask_b32_e64 v2, v10, v2, s0
	v_cndmask_b32_e64 v1, v1, v11, s0
                                        ; implicit-def: $vgpr10
	s_delay_alu instid0(VALU_DEP_2) | instskip(NEXT) | instid1(VALU_DEP_2)
	v_cmp_lt_i32_e64 s1, 15, v2
	v_cmp_gt_i32_e64 s3, 32, v1
	s_delay_alu instid0(VALU_DEP_2)
	s_or_b32 s1, s1, s2
	s_delay_alu instid0(VALU_DEP_1) | instid1(SALU_CYCLE_1)
	s_and_b32 s1, s3, s1
	s_delay_alu instid0(SALU_CYCLE_1) | instskip(NEXT) | instid1(SALU_CYCLE_1)
	s_xor_b32 s2, s1, -1
	s_and_saveexec_b32 s3, s2
	s_delay_alu instid0(SALU_CYCLE_1)
	s_xor_b32 s2, exec_lo, s3
	s_cbranch_execz .LBB8_46
; %bb.45:
	v_lshl_add_u32 v10, v2, 2, v0
	ds_load_b32 v10, v10 offset:4
.LBB8_46:
	s_or_saveexec_b32 s2, s2
	v_mov_b32_e32 v11, v9
	s_xor_b32 exec_lo, exec_lo, s2
	s_cbranch_execz .LBB8_48
; %bb.47:
	s_waitcnt lgkmcnt(0)
	v_lshl_add_u32 v10, v1, 2, v0
	ds_load_b32 v11, v10 offset:4
	v_mov_b32_e32 v10, v8
.LBB8_48:
	s_or_b32 exec_lo, exec_lo, s2
	v_add_nc_u32_e32 v12, 1, v2
	v_add_nc_u32_e32 v13, 1, v1
	s_waitcnt lgkmcnt(0)
	v_cmp_lt_i32_e64 s3, v11, v10
	s_delay_alu instid0(VALU_DEP_3) | instskip(NEXT) | instid1(VALU_DEP_3)
	v_cndmask_b32_e64 v2, v12, v2, s1
	v_cndmask_b32_e64 v1, v1, v13, s1
                                        ; implicit-def: $vgpr12
	s_delay_alu instid0(VALU_DEP_2) | instskip(NEXT) | instid1(VALU_DEP_2)
	v_cmp_lt_i32_e64 s2, 15, v2
	v_cmp_gt_i32_e64 s4, 32, v1
	s_delay_alu instid0(VALU_DEP_2)
	s_or_b32 s2, s2, s3
	s_delay_alu instid0(VALU_DEP_1) | instid1(SALU_CYCLE_1)
	s_and_b32 s2, s4, s2
	s_delay_alu instid0(SALU_CYCLE_1) | instskip(NEXT) | instid1(SALU_CYCLE_1)
	s_xor_b32 s3, s2, -1
	s_and_saveexec_b32 s4, s3
	s_delay_alu instid0(SALU_CYCLE_1)
	s_xor_b32 s3, exec_lo, s4
	s_cbranch_execz .LBB8_50
; %bb.49:
	v_lshl_add_u32 v12, v2, 2, v0
	ds_load_b32 v12, v12 offset:4
.LBB8_50:
	s_or_saveexec_b32 s3, s3
	v_mov_b32_e32 v13, v11
	s_xor_b32 exec_lo, exec_lo, s3
	s_cbranch_execz .LBB8_52
; %bb.51:
	s_waitcnt lgkmcnt(0)
	v_lshl_add_u32 v12, v1, 2, v0
	ds_load_b32 v13, v12 offset:4
	v_mov_b32_e32 v12, v10
.LBB8_52:
	s_or_b32 exec_lo, exec_lo, s3
	v_add_nc_u32_e32 v14, 1, v2
	v_add_nc_u32_e32 v16, 1, v1
	s_waitcnt lgkmcnt(0)
	v_cmp_lt_i32_e64 s4, v13, v12
	s_delay_alu instid0(VALU_DEP_3) | instskip(NEXT) | instid1(VALU_DEP_3)
	v_cndmask_b32_e64 v15, v14, v2, s2
	v_cndmask_b32_e64 v2, v1, v16, s2
                                        ; implicit-def: $vgpr1
	s_delay_alu instid0(VALU_DEP_2) | instskip(NEXT) | instid1(VALU_DEP_2)
	v_cmp_lt_i32_e64 s3, 15, v15
	v_cmp_gt_i32_e64 s5, 32, v2
	s_delay_alu instid0(VALU_DEP_2)
	s_or_b32 s3, s3, s4
	s_delay_alu instid0(VALU_DEP_1) | instid1(SALU_CYCLE_1)
	s_and_b32 s3, s5, s3
	s_delay_alu instid0(SALU_CYCLE_1) | instskip(NEXT) | instid1(SALU_CYCLE_1)
	s_xor_b32 s4, s3, -1
	s_and_saveexec_b32 s5, s4
	s_delay_alu instid0(SALU_CYCLE_1)
	s_xor_b32 s4, exec_lo, s5
	s_cbranch_execz .LBB8_54
; %bb.53:
	v_lshl_add_u32 v1, v15, 2, v0
	ds_load_b32 v1, v1 offset:4
.LBB8_54:
	s_or_saveexec_b32 s4, s4
	v_mov_b32_e32 v14, v13
	s_xor_b32 exec_lo, exec_lo, s4
	s_cbranch_execz .LBB8_56
; %bb.55:
	s_waitcnt lgkmcnt(0)
	v_lshl_add_u32 v1, v2, 2, v0
	ds_load_b32 v14, v1 offset:4
	v_mov_b32_e32 v1, v12
.LBB8_56:
	s_or_b32 exec_lo, exec_lo, s4
	v_add_nc_u32_e32 v16, 1, v15
	v_add_nc_u32_e32 v18, 1, v2
	s_waitcnt lgkmcnt(0)
	v_cmp_lt_i32_e64 s5, v14, v1
	s_delay_alu instid0(VALU_DEP_3) | instskip(NEXT) | instid1(VALU_DEP_3)
	v_cndmask_b32_e64 v17, v16, v15, s3
	v_cndmask_b32_e64 v2, v2, v18, s3
                                        ; implicit-def: $vgpr16
	s_delay_alu instid0(VALU_DEP_2) | instskip(NEXT) | instid1(VALU_DEP_2)
	v_cmp_lt_i32_e64 s4, 15, v17
	v_cmp_gt_i32_e64 s6, 32, v2
	s_delay_alu instid0(VALU_DEP_2)
	s_or_b32 s4, s4, s5
	s_delay_alu instid0(VALU_DEP_1) | instid1(SALU_CYCLE_1)
	s_and_b32 s4, s6, s4
	s_delay_alu instid0(SALU_CYCLE_1) | instskip(NEXT) | instid1(SALU_CYCLE_1)
	s_xor_b32 s5, s4, -1
	s_and_saveexec_b32 s6, s5
	s_delay_alu instid0(SALU_CYCLE_1)
	s_xor_b32 s5, exec_lo, s6
	s_cbranch_execz .LBB8_58
; %bb.57:
	v_lshl_add_u32 v15, v17, 2, v0
	ds_load_b32 v16, v15 offset:4
.LBB8_58:
	s_or_saveexec_b32 s5, s5
	v_mov_b32_e32 v15, v14
	s_xor_b32 exec_lo, exec_lo, s5
	s_cbranch_execz .LBB8_60
; %bb.59:
	v_lshl_add_u32 v15, v2, 2, v0
	s_waitcnt lgkmcnt(0)
	v_mov_b32_e32 v16, v1
	ds_load_b32 v15, v15 offset:4
.LBB8_60:
	s_or_b32 exec_lo, exec_lo, s5
	v_add_nc_u32_e32 v18, 1, v17
	v_add_nc_u32_e32 v19, 1, v2
	s_waitcnt lgkmcnt(0)
	v_cmp_ge_i32_e64 s6, v15, v16
	s_delay_alu instid0(VALU_DEP_3) | instskip(NEXT) | instid1(VALU_DEP_3)
	v_cndmask_b32_e64 v20, v18, v17, s4
	v_cndmask_b32_e64 v17, v2, v19, s4
                                        ; implicit-def: $vgpr18
                                        ; implicit-def: $vgpr19
	s_delay_alu instid0(VALU_DEP_2) | instskip(NEXT) | instid1(VALU_DEP_2)
	v_cmp_gt_i32_e64 s5, 16, v20
	v_cmp_lt_i32_e64 s7, 31, v17
	s_delay_alu instid0(VALU_DEP_2)
	s_and_b32 s5, s5, s6
	s_delay_alu instid0(VALU_DEP_1) | instid1(SALU_CYCLE_1)
	s_or_b32 s5, s7, s5
	s_delay_alu instid0(SALU_CYCLE_1) | instskip(NEXT) | instid1(SALU_CYCLE_1)
	s_and_saveexec_b32 s6, s5
	s_xor_b32 s5, exec_lo, s6
	s_cbranch_execz .LBB8_62
; %bb.61:
	v_lshl_add_u32 v0, v20, 2, v0
	v_add_nc_u32_e32 v19, 1, v20
                                        ; implicit-def: $vgpr20
	ds_load_b32 v18, v0 offset:4
                                        ; implicit-def: $vgpr0
.LBB8_62:
	s_or_saveexec_b32 s5, s5
	v_mov_b32_e32 v2, v16
	s_xor_b32 exec_lo, exec_lo, s5
	s_cbranch_execz .LBB8_64
; %bb.63:
	v_lshl_add_u32 v0, v17, 2, v0
	v_dual_mov_b32 v2, v15 :: v_dual_add_nc_u32 v17, 1, v17
	v_mov_b32_e32 v19, v20
	s_waitcnt lgkmcnt(0)
	v_mov_b32_e32 v18, v16
	ds_load_b32 v0, v0 offset:4
	s_waitcnt lgkmcnt(0)
	v_mov_b32_e32 v15, v0
.LBB8_64:
	s_or_b32 exec_lo, exec_lo, s5
	v_cndmask_b32_e64 v0, v12, v13, s3
	v_cndmask_b32_e64 v10, v10, v11, s2
	v_cmp_lt_i32_e64 s2, 15, v19
	s_waitcnt lgkmcnt(0)
	v_cmp_lt_i32_e64 s3, v15, v18
	v_cndmask_b32_e64 v9, v8, v9, s1
	v_cmp_gt_i32_e64 s1, 32, v17
	v_cndmask_b32_e64 v8, v7, v6, s0
	v_dual_cndmask_b32 v7, v4, v5 :: v_dual_lshlrev_b32 v4, 2, v3
	s_or_b32 s0, s2, s3
	v_cndmask_b32_e64 v1, v1, v14, s4
	s_and_b32 vcc_lo, s1, s0
	s_add_u32 s0, s10, s12
	v_cndmask_b32_e32 v3, v18, v15, vcc_lo
	s_addc_u32 s1, s11, s13
	s_clause 0x1
	global_store_b128 v4, v[7:10], s[0:1]
	global_store_b128 v4, v[0:3], s[0:1] offset:16
	s_nop 0
	s_sendmsg sendmsg(MSG_DEALLOC_VGPRS)
	s_endpgm
	.section	.rodata,"a",@progbits
	.p2align	6, 0x0
	.amdhsa_kernel _Z9sort_keysILj256ELj4ELj8EiN10test_utils4lessEEvPKT2_PS2_T3_
		.amdhsa_group_segment_fixed_size 8448
		.amdhsa_private_segment_fixed_size 0
		.amdhsa_kernarg_size 20
		.amdhsa_user_sgpr_count 15
		.amdhsa_user_sgpr_dispatch_ptr 0
		.amdhsa_user_sgpr_queue_ptr 0
		.amdhsa_user_sgpr_kernarg_segment_ptr 1
		.amdhsa_user_sgpr_dispatch_id 0
		.amdhsa_user_sgpr_private_segment_size 0
		.amdhsa_wavefront_size32 1
		.amdhsa_uses_dynamic_stack 0
		.amdhsa_enable_private_segment 0
		.amdhsa_system_sgpr_workgroup_id_x 1
		.amdhsa_system_sgpr_workgroup_id_y 0
		.amdhsa_system_sgpr_workgroup_id_z 0
		.amdhsa_system_sgpr_workgroup_info 0
		.amdhsa_system_vgpr_workitem_id 0
		.amdhsa_next_free_vgpr 33
		.amdhsa_next_free_sgpr 16
		.amdhsa_reserve_vcc 1
		.amdhsa_float_round_mode_32 0
		.amdhsa_float_round_mode_16_64 0
		.amdhsa_float_denorm_mode_32 3
		.amdhsa_float_denorm_mode_16_64 3
		.amdhsa_dx10_clamp 1
		.amdhsa_ieee_mode 1
		.amdhsa_fp16_overflow 0
		.amdhsa_workgroup_processor_mode 1
		.amdhsa_memory_ordered 1
		.amdhsa_forward_progress 0
		.amdhsa_shared_vgpr_count 0
		.amdhsa_exception_fp_ieee_invalid_op 0
		.amdhsa_exception_fp_denorm_src 0
		.amdhsa_exception_fp_ieee_div_zero 0
		.amdhsa_exception_fp_ieee_overflow 0
		.amdhsa_exception_fp_ieee_underflow 0
		.amdhsa_exception_fp_ieee_inexact 0
		.amdhsa_exception_int_div_zero 0
	.end_amdhsa_kernel
	.section	.text._Z9sort_keysILj256ELj4ELj8EiN10test_utils4lessEEvPKT2_PS2_T3_,"axG",@progbits,_Z9sort_keysILj256ELj4ELj8EiN10test_utils4lessEEvPKT2_PS2_T3_,comdat
.Lfunc_end8:
	.size	_Z9sort_keysILj256ELj4ELj8EiN10test_utils4lessEEvPKT2_PS2_T3_, .Lfunc_end8-_Z9sort_keysILj256ELj4ELj8EiN10test_utils4lessEEvPKT2_PS2_T3_
                                        ; -- End function
	.section	.AMDGPU.csdata,"",@progbits
; Kernel info:
; codeLenInByte = 3816
; NumSgprs: 18
; NumVgprs: 33
; ScratchSize: 0
; MemoryBound: 0
; FloatMode: 240
; IeeeMode: 1
; LDSByteSize: 8448 bytes/workgroup (compile time only)
; SGPRBlocks: 2
; VGPRBlocks: 4
; NumSGPRsForWavesPerEU: 18
; NumVGPRsForWavesPerEU: 33
; Occupancy: 16
; WaveLimiterHint : 0
; COMPUTE_PGM_RSRC2:SCRATCH_EN: 0
; COMPUTE_PGM_RSRC2:USER_SGPR: 15
; COMPUTE_PGM_RSRC2:TRAP_HANDLER: 0
; COMPUTE_PGM_RSRC2:TGID_X_EN: 1
; COMPUTE_PGM_RSRC2:TGID_Y_EN: 0
; COMPUTE_PGM_RSRC2:TGID_Z_EN: 0
; COMPUTE_PGM_RSRC2:TIDIG_COMP_CNT: 0
	.section	.text._Z10sort_pairsILj256ELj4ELj8EiN10test_utils4lessEEvPKT2_PS2_T3_,"axG",@progbits,_Z10sort_pairsILj256ELj4ELj8EiN10test_utils4lessEEvPKT2_PS2_T3_,comdat
	.protected	_Z10sort_pairsILj256ELj4ELj8EiN10test_utils4lessEEvPKT2_PS2_T3_ ; -- Begin function _Z10sort_pairsILj256ELj4ELj8EiN10test_utils4lessEEvPKT2_PS2_T3_
	.globl	_Z10sort_pairsILj256ELj4ELj8EiN10test_utils4lessEEvPKT2_PS2_T3_
	.p2align	8
	.type	_Z10sort_pairsILj256ELj4ELj8EiN10test_utils4lessEEvPKT2_PS2_T3_,@function
_Z10sort_pairsILj256ELj4ELj8EiN10test_utils4lessEEvPKT2_PS2_T3_: ; @_Z10sort_pairsILj256ELj4ELj8EiN10test_utils4lessEEvPKT2_PS2_T3_
; %bb.0:
	s_load_b128 s[20:23], s[0:1], 0x0
	s_mov_b32 s1, 0
	s_lshl_b32 s0, s15, 11
	v_lshlrev_b32_e32 v1, 5, v0
	s_lshl_b64 s[24:25], s[0:1], 2
	s_mov_b32 s12, exec_lo
	s_waitcnt lgkmcnt(0)
	s_add_u32 s0, s20, s24
	s_addc_u32 s1, s21, s25
	s_clause 0x1
	global_load_b128 v[4:7], v1, s[0:1]
	global_load_b128 v[8:11], v1, s[0:1] offset:16
	s_waitcnt vmcnt(1)
	v_add_nc_u32_e32 v1, 1, v4
	v_cmp_lt_i32_e32 vcc_lo, v5, v4
	v_add_nc_u32_e32 v12, 1, v6
	s_waitcnt vmcnt(0)
	v_add_nc_u32_e32 v14, 1, v8
	v_add_nc_u32_e32 v15, 1, v9
	;; [unrolled: 1-line block ×4, first 2 shown]
	v_cmp_lt_i32_e64 s0, v7, v6
	s_delay_alu instid0(VALU_DEP_3) | instskip(SKIP_1) | instid1(VALU_DEP_3)
	v_dual_cndmask_b32 v18, v2, v1 :: v_dual_cndmask_b32 v3, v1, v2
	v_dual_cndmask_b32 v1, v4, v5 :: v_dual_cndmask_b32 v2, v5, v4
	v_cndmask_b32_e64 v5, v13, v12, s0
	v_cndmask_b32_e64 v4, v12, v13, s0
	v_cmp_lt_i32_e32 vcc_lo, v9, v8
	v_add_nc_u32_e32 v16, 1, v10
	v_add_nc_u32_e32 v17, 1, v11
	v_cndmask_b32_e64 v12, v7, v6, s0
	v_cndmask_b32_e64 v6, v6, v7, s0
	v_cmp_lt_i32_e64 s0, v11, v10
	v_cndmask_b32_e32 v7, v15, v14, vcc_lo
	v_dual_cndmask_b32 v13, v14, v15 :: v_dual_cndmask_b32 v14, v9, v8
	v_cndmask_b32_e32 v8, v8, v9, vcc_lo
	s_delay_alu instid0(VALU_DEP_4)
	v_cndmask_b32_e64 v9, v17, v16, s0
	v_cndmask_b32_e64 v15, v16, v17, s0
	;; [unrolled: 1-line block ×4, first 2 shown]
	v_cmp_lt_i32_e32 vcc_lo, v6, v2
	v_cmp_lt_i32_e64 s0, v8, v12
	s_delay_alu instid0(VALU_DEP_3) | instskip(SKIP_1) | instid1(VALU_DEP_3)
	v_cmp_lt_i32_e64 s1, v10, v14
	v_dual_cndmask_b32 v11, v4, v18 :: v_dual_cndmask_b32 v4, v18, v4
	v_cndmask_b32_e64 v17, v13, v5, s0
	v_cndmask_b32_e32 v18, v6, v2, vcc_lo
	v_cndmask_b32_e32 v2, v2, v6, vcc_lo
	v_cndmask_b32_e64 v6, v5, v13, s0
	v_cndmask_b32_e64 v13, v8, v12, s0
	v_cndmask_b32_e64 v8, v12, v8, s0
	v_cndmask_b32_e64 v12, v10, v14, s1
	v_cndmask_b32_e64 v10, v14, v10, s1
	v_cndmask_b32_e64 v19, v15, v7, s1
	v_cndmask_b32_e64 v7, v7, v15, s1
	v_cmp_lt_i32_e32 vcc_lo, v2, v1
	v_cmp_lt_i32_e64 s0, v8, v18
	v_cmp_lt_i32_e64 s1, v10, v13
	;; [unrolled: 1-line block ×3, first 2 shown]
	v_cndmask_b32_e32 v5, v4, v3, vcc_lo
	s_delay_alu instid0(VALU_DEP_4) | instskip(NEXT) | instid1(VALU_DEP_4)
	v_cndmask_b32_e64 v14, v6, v11, s0
	v_cndmask_b32_e64 v15, v7, v17, s1
	v_cndmask_b32_e32 v21, v1, v2, vcc_lo
	v_cndmask_b32_e32 v1, v2, v1, vcc_lo
	v_cndmask_b32_e64 v6, v11, v6, s0
	v_cndmask_b32_e64 v2, v8, v18, s0
	;; [unrolled: 1-line block ×10, first 2 shown]
	v_cmp_lt_i32_e64 s0, v8, v1
	v_cmp_lt_i32_e64 s1, v10, v2
	;; [unrolled: 1-line block ×3, first 2 shown]
	s_delay_alu instid0(VALU_DEP_3) | instskip(NEXT) | instid1(VALU_DEP_3)
	v_cndmask_b32_e64 v22, v8, v1, s0
	v_cndmask_b32_e64 v16, v11, v14, s1
	;; [unrolled: 1-line block ×10, first 2 shown]
	v_cmp_lt_i32_e64 s1, v1, v21
	v_cmp_lt_i32_e64 s2, v2, v22
	;; [unrolled: 1-line block ×4, first 2 shown]
	v_cndmask_b32_e64 v7, v6, v5, s0
	v_cndmask_b32_e64 v17, v21, v1, s1
	;; [unrolled: 1-line block ×13, first 2 shown]
	v_cmp_lt_i32_e64 s3, v2, v1
	v_cmp_lt_i32_e64 s4, v8, v21
	;; [unrolled: 1-line block ×3, first 2 shown]
	v_cndmask_b32_e64 v10, v9, v7, s2
	s_delay_alu instid0(VALU_DEP_4) | instskip(SKIP_1) | instid1(VALU_DEP_4)
	v_cndmask_b32_e64 v20, v2, v1, s3
	v_cndmask_b32_e64 v24, v1, v2, s3
	;; [unrolled: 1-line block ×8, first 2 shown]
	v_cmp_lt_i32_e64 s5, v24, v17
	v_cmp_lt_i32_e64 s6, v8, v20
	v_cndmask_b32_e64 v14, v13, v10, s4
	v_cmp_lt_i32_e64 s10, v19, v23
	v_cmp_lt_i32_e64 s7, v18, v25
	v_cndmask_b32_e64 v2, v17, v24, s5
	v_cndmask_b32_e64 v26, v8, v20, s6
	;; [unrolled: 1-line block ×8, first 2 shown]
	v_cmp_lt_i32_e64 s8, v24, v17
	v_cndmask_b32_e64 v12, v16, v14, s7
	v_cmp_lt_i32_e64 s9, v18, v26
	v_cndmask_b32_e64 v21, v19, v23, s10
	v_mov_b32_e32 v29, v8
	v_cndmask_b32_e64 v22, v24, v17, s8
	v_cndmask_b32_e64 v27, v17, v24, s8
	v_cndmask_b32_e64 v23, v18, v26, s9
	v_cndmask_b32_e64 v28, v26, v18, s9
	v_mov_b32_e32 v17, v1
	v_cmpx_lt_i32_e64 v8, v20
; %bb.1:
	v_mov_b32_e32 v29, v20
	v_mov_b32_e32 v20, v8
	v_dual_mov_b32 v17, v12 :: v_dual_mov_b32 v12, v1
; %bb.2:
	s_or_b32 exec_lo, exec_lo, s12
	v_mbcnt_lo_u32_b32 v1, -1, 0
	v_lshrrev_b32_e32 v30, 2, v0
	s_mov_b32 s12, exec_lo
	; wave barrier
	s_delay_alu instid0(VALU_DEP_2) | instskip(NEXT) | instid1(VALU_DEP_1)
	v_lshlrev_b32_e32 v1, 3, v1
	v_and_b32_e32 v24, 16, v1
	v_and_b32_e32 v25, 8, v1
	;; [unrolled: 1-line block ×3, first 2 shown]
	v_lshlrev_b32_e32 v1, 3, v0
	s_delay_alu instid0(VALU_DEP_4) | instskip(SKIP_1) | instid1(VALU_DEP_4)
	v_or_b32_e32 v19, 8, v24
	v_add_nc_u32_e32 v18, 16, v24
	v_lshlrev_b32_e32 v33, 2, v8
	v_lshlrev_b32_e32 v34, 2, v24
	s_delay_alu instid0(VALU_DEP_4) | instskip(NEXT) | instid1(VALU_DEP_4)
	v_sub_nc_u32_e32 v31, v19, v24
	v_sub_nc_u32_e32 v26, v18, v19
	s_delay_alu instid0(VALU_DEP_2) | instskip(NEXT) | instid1(VALU_DEP_2)
	v_min_i32_e32 v32, v25, v31
	v_sub_nc_u32_e32 v0, v25, v26
	v_cmp_ge_i32_e64 s11, v25, v26
	v_mad_u32_u24 v31, 0x84, v30, v34
	s_delay_alu instid0(VALU_DEP_2)
	v_cndmask_b32_e64 v26, 0, v0, s11
	v_mad_u32_u24 v0, 0x84, v30, v33
	ds_store_2addr_b32 v0, v2, v27 offset1:1
	ds_store_2addr_b32 v0, v22, v28 offset0:2 offset1:3
	ds_store_2addr_b32 v0, v23, v20 offset0:4 offset1:5
	;; [unrolled: 1-line block ×3, first 2 shown]
	; wave barrier
	v_cmpx_lt_i32_e64 v26, v32
	s_cbranch_execz .LBB9_6
; %bb.3:
	v_lshlrev_b32_e32 v2, 2, v25
	s_mov_b32 s13, 0
	s_delay_alu instid0(VALU_DEP_1)
	v_add3_u32 v2, v31, v2, 32
	.p2align	6
.LBB9_4:                                ; =>This Inner Loop Header: Depth=1
	v_sub_nc_u32_e32 v20, v32, v26
	s_delay_alu instid0(VALU_DEP_1) | instskip(NEXT) | instid1(VALU_DEP_1)
	v_lshrrev_b32_e32 v21, 31, v20
	v_add_nc_u32_e32 v20, v20, v21
	s_delay_alu instid0(VALU_DEP_1) | instskip(NEXT) | instid1(VALU_DEP_1)
	v_ashrrev_i32_e32 v20, 1, v20
	v_add_nc_u32_e32 v20, v20, v26
	s_delay_alu instid0(VALU_DEP_1) | instskip(SKIP_2) | instid1(VALU_DEP_3)
	v_not_b32_e32 v21, v20
	v_lshl_add_u32 v22, v20, 2, v31
	v_add_nc_u32_e32 v23, 1, v20
	v_lshl_add_u32 v21, v21, 2, v2
	ds_load_b32 v22, v22
	ds_load_b32 v21, v21
	s_waitcnt lgkmcnt(0)
	v_cmp_lt_i32_e64 s11, v21, v22
	s_delay_alu instid0(VALU_DEP_1) | instskip(SKIP_1) | instid1(VALU_DEP_1)
	v_cndmask_b32_e64 v32, v32, v20, s11
	v_cndmask_b32_e64 v26, v23, v26, s11
	v_cmp_ge_i32_e64 s11, v26, v32
	s_delay_alu instid0(VALU_DEP_1) | instskip(NEXT) | instid1(SALU_CYCLE_1)
	s_or_b32 s13, s11, s13
	s_and_not1_b32 exec_lo, exec_lo, s13
	s_cbranch_execnz .LBB9_4
; %bb.5:
	s_or_b32 exec_lo, exec_lo, s13
.LBB9_6:
	s_delay_alu instid0(SALU_CYCLE_1)
	s_or_b32 exec_lo, exec_lo, s12
	v_add_nc_u32_e32 v20, v24, v25
	v_mul_u32_u24_e32 v2, 0x84, v30
	v_lshl_add_u32 v28, v26, 2, v31
	v_add_nc_u32_e32 v22, v19, v25
	v_cmp_lt_i32_e64 s11, 7, v26
	v_sub_nc_u32_e32 v20, v20, v26
                                        ; implicit-def: $vgpr23
	s_delay_alu instid0(VALU_DEP_3) | instskip(NEXT) | instid1(VALU_DEP_2)
	v_sub_nc_u32_e32 v25, v22, v26
                                        ; implicit-def: $vgpr22
	v_lshl_add_u32 v27, v20, 2, v2
	ds_load_b32 v20, v28
	ds_load_b32 v21, v27 offset:32
	v_cmp_gt_i32_e64 s13, v18, v25
	s_waitcnt lgkmcnt(0)
	v_cmp_lt_i32_e64 s12, v21, v20
	s_delay_alu instid0(VALU_DEP_1)
	s_or_b32 s11, s11, s12
	s_delay_alu instid0(VALU_DEP_2) | instid1(SALU_CYCLE_1)
	s_and_b32 s11, s13, s11
	s_delay_alu instid0(SALU_CYCLE_1) | instskip(NEXT) | instid1(SALU_CYCLE_1)
	s_xor_b32 s12, s11, -1
	s_and_saveexec_b32 s13, s12
	s_delay_alu instid0(SALU_CYCLE_1)
	s_xor_b32 s12, exec_lo, s13
	s_cbranch_execz .LBB9_8
; %bb.7:
	ds_load_b32 v23, v28 offset:4
	v_mov_b32_e32 v22, v21
                                        ; implicit-def: $vgpr27
.LBB9_8:
	s_and_not1_saveexec_b32 s12, s12
	s_cbranch_execz .LBB9_10
; %bb.9:
	ds_load_b32 v22, v27 offset:36
	s_waitcnt lgkmcnt(1)
	v_mov_b32_e32 v23, v20
.LBB9_10:
	s_or_b32 exec_lo, exec_lo, s12
	v_add_nc_u32_e32 v27, v26, v24
	v_add_nc_u32_e32 v26, 1, v25
	s_waitcnt lgkmcnt(0)
	v_cmp_lt_i32_e64 s13, v22, v23
	s_delay_alu instid0(VALU_DEP_3) | instskip(NEXT) | instid1(VALU_DEP_3)
	v_add_nc_u32_e32 v24, 1, v27
	v_cndmask_b32_e64 v30, v25, v26, s11
	s_delay_alu instid0(VALU_DEP_2) | instskip(NEXT) | instid1(VALU_DEP_2)
	v_cndmask_b32_e64 v28, v24, v27, s11
	v_cmp_lt_i32_e64 s14, v30, v18
                                        ; implicit-def: $vgpr24
	s_delay_alu instid0(VALU_DEP_2) | instskip(NEXT) | instid1(VALU_DEP_1)
	v_cmp_ge_i32_e64 s12, v28, v19
	s_or_b32 s12, s12, s13
	s_delay_alu instid0(VALU_DEP_2) | instid1(SALU_CYCLE_1)
	s_and_b32 s12, s14, s12
	s_delay_alu instid0(SALU_CYCLE_1) | instskip(NEXT) | instid1(SALU_CYCLE_1)
	s_xor_b32 s13, s12, -1
	s_and_saveexec_b32 s14, s13
	s_delay_alu instid0(SALU_CYCLE_1)
	s_xor_b32 s13, exec_lo, s14
	s_cbranch_execz .LBB9_12
; %bb.11:
	v_lshl_add_u32 v24, v28, 2, v2
	ds_load_b32 v24, v24 offset:4
.LBB9_12:
	s_or_saveexec_b32 s13, s13
	v_mov_b32_e32 v26, v22
	s_xor_b32 exec_lo, exec_lo, s13
	s_cbranch_execz .LBB9_14
; %bb.13:
	s_waitcnt lgkmcnt(0)
	v_lshl_add_u32 v24, v30, 2, v2
	ds_load_b32 v26, v24 offset:4
	v_mov_b32_e32 v24, v23
.LBB9_14:
	s_or_b32 exec_lo, exec_lo, s13
	v_add_nc_u32_e32 v29, 1, v28
	v_add_nc_u32_e32 v31, 1, v30
	s_waitcnt lgkmcnt(0)
	v_cmp_lt_i32_e64 s14, v26, v24
	s_delay_alu instid0(VALU_DEP_3) | instskip(NEXT) | instid1(VALU_DEP_3)
	v_cndmask_b32_e64 v33, v29, v28, s12
	v_cndmask_b32_e64 v34, v30, v31, s12
                                        ; implicit-def: $vgpr29
	s_delay_alu instid0(VALU_DEP_2) | instskip(NEXT) | instid1(VALU_DEP_2)
	v_cmp_ge_i32_e64 s13, v33, v19
	v_cmp_lt_i32_e64 s15, v34, v18
	s_delay_alu instid0(VALU_DEP_2)
	s_or_b32 s13, s13, s14
	s_delay_alu instid0(VALU_DEP_1) | instid1(SALU_CYCLE_1)
	s_and_b32 s13, s15, s13
	s_delay_alu instid0(SALU_CYCLE_1) | instskip(NEXT) | instid1(SALU_CYCLE_1)
	s_xor_b32 s14, s13, -1
	s_and_saveexec_b32 s15, s14
	s_delay_alu instid0(SALU_CYCLE_1)
	s_xor_b32 s14, exec_lo, s15
	s_cbranch_execz .LBB9_16
; %bb.15:
	v_lshl_add_u32 v29, v33, 2, v2
	ds_load_b32 v29, v29 offset:4
.LBB9_16:
	s_or_saveexec_b32 s14, s14
	v_mov_b32_e32 v31, v26
	s_xor_b32 exec_lo, exec_lo, s14
	s_cbranch_execz .LBB9_18
; %bb.17:
	s_waitcnt lgkmcnt(0)
	v_lshl_add_u32 v29, v34, 2, v2
	ds_load_b32 v31, v29 offset:4
	v_mov_b32_e32 v29, v24
.LBB9_18:
	s_or_b32 exec_lo, exec_lo, s14
	v_add_nc_u32_e32 v32, 1, v33
	v_add_nc_u32_e32 v35, 1, v34
	s_waitcnt lgkmcnt(0)
	v_cmp_lt_i32_e64 s15, v31, v29
	s_delay_alu instid0(VALU_DEP_3) | instskip(NEXT) | instid1(VALU_DEP_3)
	v_cndmask_b32_e64 v37, v32, v33, s13
	v_cndmask_b32_e64 v38, v34, v35, s13
                                        ; implicit-def: $vgpr32
	s_delay_alu instid0(VALU_DEP_2) | instskip(NEXT) | instid1(VALU_DEP_2)
	v_cmp_ge_i32_e64 s14, v37, v19
	v_cmp_lt_i32_e64 s16, v38, v18
	s_delay_alu instid0(VALU_DEP_2)
	s_or_b32 s14, s14, s15
	s_delay_alu instid0(VALU_DEP_1) | instid1(SALU_CYCLE_1)
	s_and_b32 s14, s16, s14
	s_delay_alu instid0(SALU_CYCLE_1) | instskip(NEXT) | instid1(SALU_CYCLE_1)
	s_xor_b32 s15, s14, -1
	s_and_saveexec_b32 s16, s15
	s_delay_alu instid0(SALU_CYCLE_1)
	s_xor_b32 s15, exec_lo, s16
	s_cbranch_execz .LBB9_20
; %bb.19:
	v_lshl_add_u32 v32, v37, 2, v2
	ds_load_b32 v32, v32 offset:4
.LBB9_20:
	s_or_saveexec_b32 s15, s15
	v_mov_b32_e32 v35, v31
	s_xor_b32 exec_lo, exec_lo, s15
	s_cbranch_execz .LBB9_22
; %bb.21:
	s_waitcnt lgkmcnt(0)
	v_lshl_add_u32 v32, v38, 2, v2
	ds_load_b32 v35, v32 offset:4
	v_mov_b32_e32 v32, v29
.LBB9_22:
	s_or_b32 exec_lo, exec_lo, s15
	v_add_nc_u32_e32 v36, 1, v37
	v_add_nc_u32_e32 v39, 1, v38
	s_waitcnt lgkmcnt(0)
	v_cmp_lt_i32_e64 s16, v35, v32
	s_delay_alu instid0(VALU_DEP_3) | instskip(NEXT) | instid1(VALU_DEP_3)
	v_cndmask_b32_e64 v41, v36, v37, s14
	v_cndmask_b32_e64 v42, v38, v39, s14
                                        ; implicit-def: $vgpr36
	s_delay_alu instid0(VALU_DEP_2) | instskip(NEXT) | instid1(VALU_DEP_2)
	v_cmp_ge_i32_e64 s15, v41, v19
	v_cmp_lt_i32_e64 s17, v42, v18
	s_delay_alu instid0(VALU_DEP_2)
	s_or_b32 s15, s15, s16
	s_delay_alu instid0(VALU_DEP_1) | instid1(SALU_CYCLE_1)
	s_and_b32 s15, s17, s15
	s_delay_alu instid0(SALU_CYCLE_1) | instskip(NEXT) | instid1(SALU_CYCLE_1)
	s_xor_b32 s16, s15, -1
	s_and_saveexec_b32 s17, s16
	s_delay_alu instid0(SALU_CYCLE_1)
	s_xor_b32 s16, exec_lo, s17
	s_cbranch_execz .LBB9_24
; %bb.23:
	v_lshl_add_u32 v36, v41, 2, v2
	ds_load_b32 v36, v36 offset:4
.LBB9_24:
	s_or_saveexec_b32 s16, s16
	v_mov_b32_e32 v39, v35
	s_xor_b32 exec_lo, exec_lo, s16
	s_cbranch_execz .LBB9_26
; %bb.25:
	s_waitcnt lgkmcnt(0)
	v_lshl_add_u32 v36, v42, 2, v2
	ds_load_b32 v39, v36 offset:4
	v_mov_b32_e32 v36, v32
.LBB9_26:
	s_or_b32 exec_lo, exec_lo, s16
	v_add_nc_u32_e32 v40, 1, v41
	v_add_nc_u32_e32 v43, 1, v42
	s_waitcnt lgkmcnt(0)
	v_cmp_lt_i32_e64 s17, v39, v36
	s_delay_alu instid0(VALU_DEP_3) | instskip(NEXT) | instid1(VALU_DEP_3)
	v_cndmask_b32_e64 v44, v40, v41, s15
	v_cndmask_b32_e64 v45, v42, v43, s15
                                        ; implicit-def: $vgpr40
	s_delay_alu instid0(VALU_DEP_2) | instskip(NEXT) | instid1(VALU_DEP_2)
	v_cmp_ge_i32_e64 s16, v44, v19
	v_cmp_lt_i32_e64 s18, v45, v18
	s_delay_alu instid0(VALU_DEP_2)
	s_or_b32 s16, s16, s17
	s_delay_alu instid0(VALU_DEP_1) | instid1(SALU_CYCLE_1)
	s_and_b32 s16, s18, s16
	s_delay_alu instid0(SALU_CYCLE_1) | instskip(NEXT) | instid1(SALU_CYCLE_1)
	s_xor_b32 s17, s16, -1
	s_and_saveexec_b32 s18, s17
	s_delay_alu instid0(SALU_CYCLE_1)
	s_xor_b32 s17, exec_lo, s18
	s_cbranch_execz .LBB9_28
; %bb.27:
	v_lshl_add_u32 v40, v44, 2, v2
	ds_load_b32 v40, v40 offset:4
.LBB9_28:
	s_or_saveexec_b32 s17, s17
	v_mov_b32_e32 v43, v39
	s_xor_b32 exec_lo, exec_lo, s17
	s_cbranch_execz .LBB9_30
; %bb.29:
	s_waitcnt lgkmcnt(0)
	v_lshl_add_u32 v40, v45, 2, v2
	ds_load_b32 v43, v40 offset:4
	v_mov_b32_e32 v40, v36
.LBB9_30:
	s_or_b32 exec_lo, exec_lo, s17
	v_add_nc_u32_e32 v46, 1, v44
	v_add_nc_u32_e32 v47, 1, v45
	s_waitcnt lgkmcnt(0)
	v_cmp_lt_i32_e64 s18, v43, v40
	s_delay_alu instid0(VALU_DEP_3) | instskip(NEXT) | instid1(VALU_DEP_3)
	v_cndmask_b32_e64 v48, v46, v44, s16
	v_cndmask_b32_e64 v49, v45, v47, s16
                                        ; implicit-def: $vgpr46
	s_delay_alu instid0(VALU_DEP_2) | instskip(NEXT) | instid1(VALU_DEP_2)
	v_cmp_ge_i32_e64 s17, v48, v19
	v_cmp_lt_i32_e64 s19, v49, v18
	s_delay_alu instid0(VALU_DEP_2)
	s_or_b32 s17, s17, s18
	s_delay_alu instid0(VALU_DEP_1) | instid1(SALU_CYCLE_1)
	s_and_b32 s17, s19, s17
	s_delay_alu instid0(SALU_CYCLE_1) | instskip(NEXT) | instid1(SALU_CYCLE_1)
	s_xor_b32 s18, s17, -1
	s_and_saveexec_b32 s19, s18
	s_delay_alu instid0(SALU_CYCLE_1)
	s_xor_b32 s18, exec_lo, s19
	s_cbranch_execz .LBB9_32
; %bb.31:
	v_lshl_add_u32 v46, v48, 2, v2
	ds_load_b32 v46, v46 offset:4
.LBB9_32:
	s_or_saveexec_b32 s18, s18
	v_mov_b32_e32 v47, v43
	s_xor_b32 exec_lo, exec_lo, s18
	s_cbranch_execz .LBB9_34
; %bb.33:
	s_waitcnt lgkmcnt(0)
	v_lshl_add_u32 v46, v49, 2, v2
	ds_load_b32 v47, v46 offset:4
	v_mov_b32_e32 v46, v40
.LBB9_34:
	s_or_b32 exec_lo, exec_lo, s18
	v_dual_cndmask_b32 v3, v3, v4 :: v_dual_add_nc_u32 v50, 1, v49
	v_cndmask_b32_e64 v4, v5, v6, s0
	v_cndmask_b32_e64 v44, v44, v45, s16
	;; [unrolled: 1-line block ×3, first 2 shown]
	v_add_nc_u32_e32 v51, 1, v48
	v_cndmask_b32_e64 v10, v10, v13, s4
	v_cndmask_b32_e64 v45, v4, v3, s1
	;; [unrolled: 1-line block ×8, first 2 shown]
	s_waitcnt lgkmcnt(0)
	v_cmp_lt_i32_e64 s0, v47, v46
	v_cmp_ge_i32_e32 vcc_lo, v6, v19
	v_cmp_lt_i32_e64 s1, v5, v18
	v_cndmask_b32_e64 v27, v4, v3, s5
	v_cndmask_b32_e64 v3, v3, v4, s5
	;; [unrolled: 1-line block ×7, first 2 shown]
	s_or_b32 s0, vcc_lo, s0
	v_cndmask_b32_e64 v14, v7, v27, s8
	v_cndmask_b32_e64 v7, v27, v7, s8
	;; [unrolled: 1-line block ×6, first 2 shown]
	s_and_b32 vcc_lo, s1, s0
	v_cndmask_b32_e64 v48, v48, v49, s17
	v_cndmask_b32_e32 v16, v46, v47, vcc_lo
	v_cndmask_b32_e64 v9, v41, v42, s15
	v_cndmask_b32_e32 v5, v6, v5, vcc_lo
	; wave barrier
	ds_store_2addr_b32 v0, v3, v7 offset1:1
	ds_store_2addr_b32 v0, v14, v4 offset0:2 offset1:3
	ds_store_2addr_b32 v0, v15, v12 offset0:4 offset1:5
	;; [unrolled: 1-line block ×3, first 2 shown]
	v_lshl_add_u32 v3, v25, 2, v2
	v_lshl_add_u32 v4, v13, 2, v2
	;; [unrolled: 1-line block ×7, first 2 shown]
	; wave barrier
	v_lshl_add_u32 v12, v5, 2, v2
	ds_load_b32 v3, v3
	ds_load_b32 v4, v4
	;; [unrolled: 1-line block ×8, first 2 shown]
	v_cndmask_b32_e64 v19, v23, v22, s12
	v_sub_nc_u32_e64 v12, v8, 16 clamp
	v_min_i32_e32 v13, 16, v8
	v_cndmask_b32_e64 v20, v20, v21, s11
	v_cndmask_b32_e64 v18, v29, v31, s14
	;; [unrolled: 1-line block ×6, first 2 shown]
	s_mov_b32 s0, exec_lo
	; wave barrier
	ds_store_2addr_b32 v0, v20, v19 offset1:1
	ds_store_2addr_b32 v0, v21, v18 offset0:2 offset1:3
	ds_store_2addr_b32 v0, v17, v15 offset0:4 offset1:5
	;; [unrolled: 1-line block ×3, first 2 shown]
	; wave barrier
	v_cmpx_lt_u32_e64 v12, v13
	s_cbranch_execz .LBB9_38
; %bb.35:
	v_add_nc_u32_e32 v14, 64, v0
	s_mov_b32 s1, 0
	.p2align	6
.LBB9_36:                               ; =>This Inner Loop Header: Depth=1
	v_sub_nc_u32_e32 v15, v13, v12
	s_delay_alu instid0(VALU_DEP_1) | instskip(NEXT) | instid1(VALU_DEP_1)
	v_lshrrev_b32_e32 v16, 31, v15
	v_add_nc_u32_e32 v15, v15, v16
	s_delay_alu instid0(VALU_DEP_1) | instskip(NEXT) | instid1(VALU_DEP_1)
	v_ashrrev_i32_e32 v15, 1, v15
	v_add_nc_u32_e32 v15, v15, v12
	s_delay_alu instid0(VALU_DEP_1) | instskip(SKIP_2) | instid1(VALU_DEP_3)
	v_not_b32_e32 v16, v15
	v_lshl_add_u32 v17, v15, 2, v2
	v_add_nc_u32_e32 v18, 1, v15
	v_lshl_add_u32 v16, v16, 2, v14
	ds_load_b32 v17, v17
	ds_load_b32 v16, v16
	s_waitcnt lgkmcnt(0)
	v_cmp_lt_i32_e32 vcc_lo, v16, v17
	v_dual_cndmask_b32 v13, v13, v15 :: v_dual_cndmask_b32 v12, v18, v12
	s_delay_alu instid0(VALU_DEP_1) | instskip(SKIP_1) | instid1(SALU_CYCLE_1)
	v_cmp_ge_i32_e32 vcc_lo, v12, v13
	s_or_b32 s1, vcc_lo, s1
	s_and_not1_b32 exec_lo, exec_lo, s1
	s_cbranch_execnz .LBB9_36
; %bb.37:
	s_or_b32 exec_lo, exec_lo, s1
.LBB9_38:
	s_delay_alu instid0(SALU_CYCLE_1) | instskip(SKIP_3) | instid1(VALU_DEP_3)
	s_or_b32 exec_lo, exec_lo, s0
	v_sub_nc_u32_e32 v14, v8, v12
	v_lshl_add_u32 v18, v12, 2, v2
	v_cmp_lt_i32_e32 vcc_lo, 15, v12
                                        ; implicit-def: $vgpr15
	v_lshl_add_u32 v17, v14, 2, v2
	v_add_nc_u32_e32 v16, 16, v14
                                        ; implicit-def: $vgpr14
	ds_load_b32 v8, v18
	ds_load_b32 v13, v17 offset:64
	v_cmp_gt_i32_e64 s1, 32, v16
	s_waitcnt lgkmcnt(0)
	v_cmp_lt_i32_e64 s0, v13, v8
	s_delay_alu instid0(VALU_DEP_1)
	s_or_b32 s0, vcc_lo, s0
	s_delay_alu instid0(VALU_DEP_2) | instid1(SALU_CYCLE_1)
	s_and_b32 vcc_lo, s1, s0
	s_delay_alu instid0(SALU_CYCLE_1) | instskip(NEXT) | instid1(SALU_CYCLE_1)
	s_xor_b32 s0, vcc_lo, -1
	s_and_saveexec_b32 s1, s0
	s_delay_alu instid0(SALU_CYCLE_1)
	s_xor_b32 s0, exec_lo, s1
	s_cbranch_execz .LBB9_40
; %bb.39:
	ds_load_b32 v15, v18 offset:4
	v_mov_b32_e32 v14, v13
                                        ; implicit-def: $vgpr17
.LBB9_40:
	s_and_not1_saveexec_b32 s0, s0
	s_cbranch_execz .LBB9_42
; %bb.41:
	ds_load_b32 v14, v17 offset:68
	s_waitcnt lgkmcnt(1)
	v_mov_b32_e32 v15, v8
.LBB9_42:
	s_or_b32 exec_lo, exec_lo, s0
	v_add_nc_u32_e32 v18, 1, v16
	v_add_nc_u32_e32 v17, 1, v12
	s_waitcnt lgkmcnt(0)
	v_cmp_lt_i32_e64 s1, v14, v15
	s_delay_alu instid0(VALU_DEP_2) | instskip(NEXT) | instid1(VALU_DEP_1)
	v_dual_cndmask_b32 v20, v16, v18 :: v_dual_cndmask_b32 v19, v17, v12
                                        ; implicit-def: $vgpr17
	v_cmp_gt_i32_e64 s2, 32, v20
	s_delay_alu instid0(VALU_DEP_2) | instskip(NEXT) | instid1(VALU_DEP_1)
	v_cmp_lt_i32_e64 s0, 15, v19
	s_or_b32 s0, s0, s1
	s_delay_alu instid0(VALU_DEP_2) | instid1(SALU_CYCLE_1)
	s_and_b32 s0, s2, s0
	s_delay_alu instid0(SALU_CYCLE_1) | instskip(NEXT) | instid1(SALU_CYCLE_1)
	s_xor_b32 s1, s0, -1
	s_and_saveexec_b32 s2, s1
	s_delay_alu instid0(SALU_CYCLE_1)
	s_xor_b32 s1, exec_lo, s2
	s_cbranch_execz .LBB9_44
; %bb.43:
	v_lshl_add_u32 v17, v19, 2, v2
	ds_load_b32 v17, v17 offset:4
.LBB9_44:
	s_or_saveexec_b32 s1, s1
	v_mov_b32_e32 v18, v14
	s_xor_b32 exec_lo, exec_lo, s1
	s_cbranch_execz .LBB9_46
; %bb.45:
	s_waitcnt lgkmcnt(0)
	v_lshl_add_u32 v17, v20, 2, v2
	ds_load_b32 v18, v17 offset:4
	v_mov_b32_e32 v17, v15
.LBB9_46:
	s_or_b32 exec_lo, exec_lo, s1
	v_add_nc_u32_e32 v21, 1, v19
	v_add_nc_u32_e32 v22, 1, v20
	s_waitcnt lgkmcnt(0)
	v_cmp_lt_i32_e64 s2, v18, v17
	s_delay_alu instid0(VALU_DEP_3) | instskip(NEXT) | instid1(VALU_DEP_3)
	v_cndmask_b32_e64 v23, v21, v19, s0
	v_cndmask_b32_e64 v24, v20, v22, s0
                                        ; implicit-def: $vgpr21
	s_delay_alu instid0(VALU_DEP_2) | instskip(NEXT) | instid1(VALU_DEP_2)
	v_cmp_lt_i32_e64 s1, 15, v23
	v_cmp_gt_i32_e64 s3, 32, v24
	s_delay_alu instid0(VALU_DEP_2)
	s_or_b32 s1, s1, s2
	s_delay_alu instid0(VALU_DEP_1) | instid1(SALU_CYCLE_1)
	s_and_b32 s1, s3, s1
	s_delay_alu instid0(SALU_CYCLE_1) | instskip(NEXT) | instid1(SALU_CYCLE_1)
	s_xor_b32 s2, s1, -1
	s_and_saveexec_b32 s3, s2
	s_delay_alu instid0(SALU_CYCLE_1)
	s_xor_b32 s2, exec_lo, s3
	s_cbranch_execz .LBB9_48
; %bb.47:
	v_lshl_add_u32 v21, v23, 2, v2
	ds_load_b32 v21, v21 offset:4
.LBB9_48:
	s_or_saveexec_b32 s2, s2
	v_mov_b32_e32 v22, v18
	s_xor_b32 exec_lo, exec_lo, s2
	s_cbranch_execz .LBB9_50
; %bb.49:
	s_waitcnt lgkmcnt(0)
	v_lshl_add_u32 v21, v24, 2, v2
	ds_load_b32 v22, v21 offset:4
	v_mov_b32_e32 v21, v17
.LBB9_50:
	s_or_b32 exec_lo, exec_lo, s2
	v_add_nc_u32_e32 v25, 1, v23
	v_add_nc_u32_e32 v26, 1, v24
	s_waitcnt lgkmcnt(0)
	v_cmp_lt_i32_e64 s3, v22, v21
	s_delay_alu instid0(VALU_DEP_3) | instskip(NEXT) | instid1(VALU_DEP_3)
	v_cndmask_b32_e64 v27, v25, v23, s1
	v_cndmask_b32_e64 v28, v24, v26, s1
                                        ; implicit-def: $vgpr25
	s_delay_alu instid0(VALU_DEP_2) | instskip(NEXT) | instid1(VALU_DEP_2)
	v_cmp_lt_i32_e64 s2, 15, v27
	v_cmp_gt_i32_e64 s4, 32, v28
	s_delay_alu instid0(VALU_DEP_2)
	s_or_b32 s2, s2, s3
	s_delay_alu instid0(VALU_DEP_1) | instid1(SALU_CYCLE_1)
	s_and_b32 s2, s4, s2
	s_delay_alu instid0(SALU_CYCLE_1) | instskip(NEXT) | instid1(SALU_CYCLE_1)
	s_xor_b32 s3, s2, -1
	s_and_saveexec_b32 s4, s3
	s_delay_alu instid0(SALU_CYCLE_1)
	s_xor_b32 s3, exec_lo, s4
	s_cbranch_execz .LBB9_52
; %bb.51:
	v_lshl_add_u32 v25, v27, 2, v2
	ds_load_b32 v25, v25 offset:4
.LBB9_52:
	s_or_saveexec_b32 s3, s3
	v_mov_b32_e32 v26, v22
	s_xor_b32 exec_lo, exec_lo, s3
	s_cbranch_execz .LBB9_54
; %bb.53:
	s_waitcnt lgkmcnt(0)
	v_lshl_add_u32 v25, v28, 2, v2
	ds_load_b32 v26, v25 offset:4
	v_mov_b32_e32 v25, v21
.LBB9_54:
	s_or_b32 exec_lo, exec_lo, s3
	v_add_nc_u32_e32 v29, 1, v27
	v_add_nc_u32_e32 v30, 1, v28
	s_waitcnt lgkmcnt(0)
	v_cmp_lt_i32_e64 s4, v26, v25
	s_delay_alu instid0(VALU_DEP_3) | instskip(NEXT) | instid1(VALU_DEP_3)
	v_cndmask_b32_e64 v31, v29, v27, s2
	v_cndmask_b32_e64 v32, v28, v30, s2
                                        ; implicit-def: $vgpr29
	s_delay_alu instid0(VALU_DEP_2) | instskip(NEXT) | instid1(VALU_DEP_2)
	v_cmp_lt_i32_e64 s3, 15, v31
	v_cmp_gt_i32_e64 s5, 32, v32
	s_delay_alu instid0(VALU_DEP_2)
	s_or_b32 s3, s3, s4
	s_delay_alu instid0(VALU_DEP_1) | instid1(SALU_CYCLE_1)
	s_and_b32 s3, s5, s3
	s_delay_alu instid0(SALU_CYCLE_1) | instskip(NEXT) | instid1(SALU_CYCLE_1)
	s_xor_b32 s4, s3, -1
	s_and_saveexec_b32 s5, s4
	s_delay_alu instid0(SALU_CYCLE_1)
	s_xor_b32 s4, exec_lo, s5
	s_cbranch_execz .LBB9_56
; %bb.55:
	v_lshl_add_u32 v29, v31, 2, v2
	ds_load_b32 v29, v29 offset:4
.LBB9_56:
	s_or_saveexec_b32 s4, s4
	v_mov_b32_e32 v30, v26
	s_xor_b32 exec_lo, exec_lo, s4
	s_cbranch_execz .LBB9_58
; %bb.57:
	s_waitcnt lgkmcnt(0)
	v_lshl_add_u32 v29, v32, 2, v2
	ds_load_b32 v30, v29 offset:4
	v_mov_b32_e32 v29, v25
.LBB9_58:
	s_or_b32 exec_lo, exec_lo, s4
	v_add_nc_u32_e32 v33, 1, v31
	v_add_nc_u32_e32 v34, 1, v32
	s_waitcnt lgkmcnt(0)
	v_cmp_lt_i32_e64 s5, v30, v29
                                        ; implicit-def: $vgpr38
	s_delay_alu instid0(VALU_DEP_3) | instskip(NEXT) | instid1(VALU_DEP_3)
	v_cndmask_b32_e64 v33, v33, v31, s3
	v_cndmask_b32_e64 v34, v32, v34, s3
	s_delay_alu instid0(VALU_DEP_2) | instskip(NEXT) | instid1(VALU_DEP_2)
	v_cmp_lt_i32_e64 s4, 15, v33
	v_cmp_gt_i32_e64 s6, 32, v34
	s_delay_alu instid0(VALU_DEP_2)
	s_or_b32 s4, s4, s5
	s_delay_alu instid0(VALU_DEP_1) | instid1(SALU_CYCLE_1)
	s_and_b32 s4, s6, s4
	s_delay_alu instid0(SALU_CYCLE_1) | instskip(NEXT) | instid1(SALU_CYCLE_1)
	s_xor_b32 s5, s4, -1
	s_and_saveexec_b32 s6, s5
	s_delay_alu instid0(SALU_CYCLE_1)
	s_xor_b32 s5, exec_lo, s6
	s_cbranch_execz .LBB9_60
; %bb.59:
	v_lshl_add_u32 v35, v33, 2, v2
	ds_load_b32 v38, v35 offset:4
.LBB9_60:
	s_or_saveexec_b32 s5, s5
	v_mov_b32_e32 v35, v30
	s_xor_b32 exec_lo, exec_lo, s5
	s_cbranch_execz .LBB9_62
; %bb.61:
	v_lshl_add_u32 v35, v34, 2, v2
	s_waitcnt lgkmcnt(0)
	v_mov_b32_e32 v38, v29
	ds_load_b32 v35, v35 offset:4
.LBB9_62:
	s_or_b32 exec_lo, exec_lo, s5
	v_add_nc_u32_e32 v36, 1, v33
	v_add_nc_u32_e32 v37, 1, v34
	s_waitcnt lgkmcnt(0)
	v_cmp_ge_i32_e64 s6, v35, v38
                                        ; implicit-def: $vgpr40
                                        ; implicit-def: $vgpr39
	s_delay_alu instid0(VALU_DEP_3) | instskip(NEXT) | instid1(VALU_DEP_3)
	v_cndmask_b32_e64 v42, v36, v33, s4
	v_cndmask_b32_e64 v37, v34, v37, s4
	s_delay_alu instid0(VALU_DEP_2) | instskip(NEXT) | instid1(VALU_DEP_2)
	v_cmp_gt_i32_e64 s5, 16, v42
	v_cmp_lt_i32_e64 s7, 31, v37
	s_delay_alu instid0(VALU_DEP_2)
	s_and_b32 s5, s5, s6
	s_delay_alu instid0(VALU_DEP_1) | instid1(SALU_CYCLE_1)
	s_or_b32 s5, s7, s5
	s_delay_alu instid0(SALU_CYCLE_1) | instskip(NEXT) | instid1(SALU_CYCLE_1)
	s_and_saveexec_b32 s6, s5
	s_xor_b32 s5, exec_lo, s6
	s_cbranch_execz .LBB9_64
; %bb.63:
	v_lshl_add_u32 v36, v42, 2, v2
	v_add_nc_u32_e32 v39, 1, v42
	ds_load_b32 v40, v36 offset:4
.LBB9_64:
	s_or_saveexec_b32 s5, s5
	v_mov_b32_e32 v36, v38
	v_mov_b32_e32 v41, v42
	s_xor_b32 exec_lo, exec_lo, s5
	s_cbranch_execz .LBB9_66
; %bb.65:
	v_lshl_add_u32 v36, v37, 2, v2
	s_waitcnt lgkmcnt(0)
	v_dual_mov_b32 v41, v37 :: v_dual_add_nc_u32 v40, 1, v37
	v_mov_b32_e32 v39, v42
	ds_load_b32 v43, v36 offset:4
	v_dual_mov_b32 v36, v35 :: v_dual_mov_b32 v37, v40
	s_waitcnt lgkmcnt(0)
	v_dual_mov_b32 v40, v38 :: v_dual_mov_b32 v35, v43
.LBB9_66:
	s_or_b32 exec_lo, exec_lo, s5
	v_cmp_lt_i32_e64 s5, 15, v39
	s_waitcnt lgkmcnt(0)
	s_delay_alu instid0(VALU_DEP_2)
	v_cmp_lt_i32_e64 s6, v35, v40
	v_cmp_gt_i32_e64 s7, 32, v37
	v_cndmask_b32_e32 v12, v12, v16, vcc_lo
	v_cndmask_b32_e64 v19, v19, v20, s0
	v_cndmask_b32_e64 v23, v23, v24, s1
	s_or_b32 s5, s5, s6
	v_cndmask_b32_e64 v27, v27, v28, s2
	s_and_b32 s5, s7, s5
	v_cndmask_b32_e64 v33, v33, v34, s4
	v_cndmask_b32_e64 v31, v31, v32, s3
	;; [unrolled: 1-line block ×3, first 2 shown]
	; wave barrier
	ds_store_2addr_b32 v0, v3, v4 offset1:1
	ds_store_2addr_b32 v0, v5, v6 offset0:2 offset1:3
	ds_store_2addr_b32 v0, v7, v9 offset0:4 offset1:5
	;; [unrolled: 1-line block ×3, first 2 shown]
	v_lshl_add_u32 v0, v12, 2, v2
	v_lshl_add_u32 v3, v19, 2, v2
	;; [unrolled: 1-line block ×7, first 2 shown]
	; wave barrier
	v_lshl_add_u32 v2, v20, 2, v2
	ds_load_b32 v0, v0
	ds_load_b32 v3, v3
	;; [unrolled: 1-line block ×8, first 2 shown]
	v_cndmask_b32_e32 v2, v8, v13, vcc_lo
	v_cndmask_b32_e64 v8, v15, v14, s0
	v_cndmask_b32_e64 v12, v17, v18, s1
	;; [unrolled: 1-line block ×6, first 2 shown]
	s_add_u32 s0, s22, s24
	s_addc_u32 s1, s23, s25
	s_waitcnt lgkmcnt(6)
	v_add_nc_u32_e32 v3, v3, v8
	v_add_nc_u32_e32 v2, v0, v2
	s_waitcnt lgkmcnt(5)
	v_add_nc_u32_e32 v4, v4, v12
	s_waitcnt lgkmcnt(4)
	v_add_nc_u32_e32 v5, v5, v13
	v_lshlrev_b32_e32 v0, 2, v1
	s_waitcnt lgkmcnt(3)
	v_add_nc_u32_e32 v6, v6, v14
	s_waitcnt lgkmcnt(2)
	v_add_nc_u32_e32 v7, v7, v11
	;; [unrolled: 2-line block ×4, first 2 shown]
	s_clause 0x1
	global_store_b128 v0, v[2:5], s[0:1]
	global_store_b128 v0, v[6:9], s[0:1] offset:16
	s_nop 0
	s_sendmsg sendmsg(MSG_DEALLOC_VGPRS)
	s_endpgm
	.section	.rodata,"a",@progbits
	.p2align	6, 0x0
	.amdhsa_kernel _Z10sort_pairsILj256ELj4ELj8EiN10test_utils4lessEEvPKT2_PS2_T3_
		.amdhsa_group_segment_fixed_size 8448
		.amdhsa_private_segment_fixed_size 0
		.amdhsa_kernarg_size 20
		.amdhsa_user_sgpr_count 15
		.amdhsa_user_sgpr_dispatch_ptr 0
		.amdhsa_user_sgpr_queue_ptr 0
		.amdhsa_user_sgpr_kernarg_segment_ptr 1
		.amdhsa_user_sgpr_dispatch_id 0
		.amdhsa_user_sgpr_private_segment_size 0
		.amdhsa_wavefront_size32 1
		.amdhsa_uses_dynamic_stack 0
		.amdhsa_enable_private_segment 0
		.amdhsa_system_sgpr_workgroup_id_x 1
		.amdhsa_system_sgpr_workgroup_id_y 0
		.amdhsa_system_sgpr_workgroup_id_z 0
		.amdhsa_system_sgpr_workgroup_info 0
		.amdhsa_system_vgpr_workitem_id 0
		.amdhsa_next_free_vgpr 52
		.amdhsa_next_free_sgpr 26
		.amdhsa_reserve_vcc 1
		.amdhsa_float_round_mode_32 0
		.amdhsa_float_round_mode_16_64 0
		.amdhsa_float_denorm_mode_32 3
		.amdhsa_float_denorm_mode_16_64 3
		.amdhsa_dx10_clamp 1
		.amdhsa_ieee_mode 1
		.amdhsa_fp16_overflow 0
		.amdhsa_workgroup_processor_mode 1
		.amdhsa_memory_ordered 1
		.amdhsa_forward_progress 0
		.amdhsa_shared_vgpr_count 0
		.amdhsa_exception_fp_ieee_invalid_op 0
		.amdhsa_exception_fp_denorm_src 0
		.amdhsa_exception_fp_ieee_div_zero 0
		.amdhsa_exception_fp_ieee_overflow 0
		.amdhsa_exception_fp_ieee_underflow 0
		.amdhsa_exception_fp_ieee_inexact 0
		.amdhsa_exception_int_div_zero 0
	.end_amdhsa_kernel
	.section	.text._Z10sort_pairsILj256ELj4ELj8EiN10test_utils4lessEEvPKT2_PS2_T3_,"axG",@progbits,_Z10sort_pairsILj256ELj4ELj8EiN10test_utils4lessEEvPKT2_PS2_T3_,comdat
.Lfunc_end9:
	.size	_Z10sort_pairsILj256ELj4ELj8EiN10test_utils4lessEEvPKT2_PS2_T3_, .Lfunc_end9-_Z10sort_pairsILj256ELj4ELj8EiN10test_utils4lessEEvPKT2_PS2_T3_
                                        ; -- End function
	.section	.AMDGPU.csdata,"",@progbits
; Kernel info:
; codeLenInByte = 4676
; NumSgprs: 28
; NumVgprs: 52
; ScratchSize: 0
; MemoryBound: 0
; FloatMode: 240
; IeeeMode: 1
; LDSByteSize: 8448 bytes/workgroup (compile time only)
; SGPRBlocks: 3
; VGPRBlocks: 6
; NumSGPRsForWavesPerEU: 28
; NumVGPRsForWavesPerEU: 52
; Occupancy: 16
; WaveLimiterHint : 0
; COMPUTE_PGM_RSRC2:SCRATCH_EN: 0
; COMPUTE_PGM_RSRC2:USER_SGPR: 15
; COMPUTE_PGM_RSRC2:TRAP_HANDLER: 0
; COMPUTE_PGM_RSRC2:TGID_X_EN: 1
; COMPUTE_PGM_RSRC2:TGID_Y_EN: 0
; COMPUTE_PGM_RSRC2:TGID_Z_EN: 0
; COMPUTE_PGM_RSRC2:TIDIG_COMP_CNT: 0
	.section	.text._Z19sort_keys_segmentedILj256ELj4ELj8EiN10test_utils4lessEEvPKT2_PS2_PKjT3_,"axG",@progbits,_Z19sort_keys_segmentedILj256ELj4ELj8EiN10test_utils4lessEEvPKT2_PS2_PKjT3_,comdat
	.protected	_Z19sort_keys_segmentedILj256ELj4ELj8EiN10test_utils4lessEEvPKT2_PS2_PKjT3_ ; -- Begin function _Z19sort_keys_segmentedILj256ELj4ELj8EiN10test_utils4lessEEvPKT2_PS2_PKjT3_
	.globl	_Z19sort_keys_segmentedILj256ELj4ELj8EiN10test_utils4lessEEvPKT2_PS2_PKjT3_
	.p2align	8
	.type	_Z19sort_keys_segmentedILj256ELj4ELj8EiN10test_utils4lessEEvPKT2_PS2_PKjT3_,@function
_Z19sort_keys_segmentedILj256ELj4ELj8EiN10test_utils4lessEEvPKT2_PS2_PKjT3_: ; @_Z19sort_keys_segmentedILj256ELj4ELj8EiN10test_utils4lessEEvPKT2_PS2_PKjT3_
; %bb.0:
	s_clause 0x1
	s_load_b64 s[2:3], s[0:1], 0x10
	s_load_b128 s[16:19], s[0:1], 0x0
	v_lshrrev_b32_e32 v16, 2, v0
	s_delay_alu instid0(VALU_DEP_1) | instskip(SKIP_1) | instid1(VALU_DEP_1)
	v_lshl_or_b32 v0, s15, 6, v16
	v_mov_b32_e32 v1, 0
	v_lshlrev_b64 v[2:3], 2, v[0:1]
	v_lshlrev_b32_e32 v0, 5, v0
	s_delay_alu instid0(VALU_DEP_1) | instskip(SKIP_1) | instid1(VALU_DEP_3)
	v_lshlrev_b64 v[8:9], 2, v[0:1]
	s_waitcnt lgkmcnt(0)
	v_add_co_u32 v2, vcc_lo, s2, v2
	s_delay_alu instid0(VALU_DEP_4) | instskip(NEXT) | instid1(VALU_DEP_3)
	v_add_co_ci_u32_e32 v3, vcc_lo, s3, v3, vcc_lo
	v_add_co_u32 v0, vcc_lo, s16, v8
	global_load_b32 v13, v[2:3], off
	v_mbcnt_lo_u32_b32 v2, -1, 0
	v_add_co_ci_u32_e32 v1, vcc_lo, s17, v9, vcc_lo
	s_delay_alu instid0(VALU_DEP_2) | instskip(NEXT) | instid1(VALU_DEP_1)
	v_lshlrev_b32_e32 v15, 3, v2
	v_and_b32_e32 v14, 24, v15
	s_delay_alu instid0(VALU_DEP_1) | instskip(NEXT) | instid1(VALU_DEP_1)
	v_lshlrev_b32_e32 v12, 2, v14
	v_add_co_u32 v10, vcc_lo, v0, v12
	v_add_co_ci_u32_e32 v11, vcc_lo, 0, v1, vcc_lo
                                        ; implicit-def: $vgpr0_vgpr1_vgpr2_vgpr3_vgpr4_vgpr5_vgpr6_vgpr7
	s_waitcnt vmcnt(0)
	v_cmp_lt_u32_e32 vcc_lo, v14, v13
	s_and_saveexec_b32 s0, vcc_lo
	s_cbranch_execz .LBB10_2
; %bb.1:
	global_load_b32 v0, v[10:11], off
.LBB10_2:
	s_or_b32 exec_lo, exec_lo, s0
	v_or_b32_e32 v17, 1, v14
	s_delay_alu instid0(VALU_DEP_1) | instskip(NEXT) | instid1(VALU_DEP_1)
	v_cmp_lt_u32_e64 s0, v17, v13
	s_and_saveexec_b32 s1, s0
	s_cbranch_execz .LBB10_4
; %bb.3:
	global_load_b32 v1, v[10:11], off offset:4
.LBB10_4:
	s_or_b32 exec_lo, exec_lo, s1
	v_or_b32_e32 v18, 2, v14
	s_delay_alu instid0(VALU_DEP_1) | instskip(NEXT) | instid1(VALU_DEP_1)
	v_cmp_lt_u32_e64 s1, v18, v13
	s_and_saveexec_b32 s2, s1
	s_cbranch_execz .LBB10_6
; %bb.5:
	global_load_b32 v2, v[10:11], off offset:8
.LBB10_6:
	;; [unrolled: 9-line block ×7, first 2 shown]
	s_or_b32 exec_lo, exec_lo, s7
	v_cmp_lt_i32_e64 s9, v22, v13
	v_cmp_lt_i32_e64 s10, v23, v13
	;; [unrolled: 1-line block ×6, first 2 shown]
	s_or_b32 s9, s10, s9
	v_cmp_lt_i32_e64 s7, v17, v13
	s_waitcnt vmcnt(0)
	v_cndmask_b32_e64 v6, 0x7fffffff, v6, s9
	s_or_b32 s9, s9, s12
	v_cndmask_b32_e64 v7, 0x7fffffff, v7, s10
	v_cndmask_b32_e64 v5, 0x7fffffff, v5, s9
	s_or_b32 s9, s9, s13
	s_mov_b32 s10, exec_lo
	v_cndmask_b32_e64 v4, 0x7fffffff, v4, s9
	s_or_b32 s9, s9, s11
	s_delay_alu instid0(SALU_CYCLE_1)
	s_or_b32 s8, s9, s8
	v_cndmask_b32_e64 v3, 0x7fffffff, v3, s9
	s_or_b32 s7, s8, s7
	v_cndmask_b32_e64 v2, 0x7fffffff, v2, s8
	v_cndmask_b32_e64 v1, 0x7fffffff, v1, s7
	v_cmpx_lt_i32_e64 v14, v13
	s_cbranch_execz .LBB10_18
; %bb.17:
	s_delay_alu instid0(VALU_DEP_2)
	v_cmp_lt_i32_e64 s7, v1, v0
	v_min_i32_e32 v11, v1, v0
	v_cmp_lt_i32_e64 s8, v3, v2
	v_max_i32_e32 v17, v1, v0
	v_max_i32_e32 v19, v3, v2
	v_cndmask_b32_e64 v10, v0, v1, s7
	v_cndmask_b32_e64 v0, v1, v0, s7
	v_cmp_lt_i32_e64 s7, v5, v4
	v_cndmask_b32_e64 v1, v3, v2, s8
	v_cndmask_b32_e64 v18, v2, v3, s8
	v_min_i32_e32 v2, v3, v2
	v_max_i32_e32 v21, v5, v4
	v_cndmask_b32_e64 v3, v5, v4, s7
	v_cndmask_b32_e64 v20, v4, v5, s7
	v_cmp_lt_i32_e64 s7, v7, v6
	v_min_i32_e32 v4, v5, v4
	v_cmp_lt_i32_e64 s8, v2, v17
	v_max_i32_e32 v23, v7, v6
	s_delay_alu instid0(VALU_DEP_4)
	v_cndmask_b32_e64 v5, v7, v6, s7
	v_cndmask_b32_e64 v22, v6, v7, s7
	v_min_i32_e32 v6, v7, v6
	v_cmp_lt_i32_e64 s7, v4, v19
	v_cndmask_b32_e64 v7, v18, v17, s8
	v_cndmask_b32_e64 v0, v0, v2, s8
	v_max_i32_e32 v18, v2, v17
	v_cmp_lt_i32_e64 s8, v6, v21
	v_cndmask_b32_e64 v1, v1, v4, s7
	v_max_i32_e32 v24, v4, v19
	v_min_i32_e32 v4, v4, v19
	v_min_i32_e32 v17, v2, v17
	v_cndmask_b32_e64 v20, v20, v19, s7
	v_cndmask_b32_e64 v19, v22, v21, s8
	;; [unrolled: 1-line block ×3, first 2 shown]
	v_cmp_lt_i32_e64 s7, v2, v11
	v_max_i32_e32 v2, v6, v21
	v_min_i32_e32 v6, v6, v21
	v_cmp_lt_i32_e64 s8, v4, v18
	s_delay_alu instid0(VALU_DEP_4)
	v_cndmask_b32_e64 v10, v10, v17, s7
	v_cndmask_b32_e64 v0, v0, v11, s7
	;; [unrolled: 1-line block ×6, first 2 shown]
	v_cmp_lt_i32_e64 s7, v6, v24
	v_max_i32_e32 v17, v4, v18
	v_min_i32_e32 v4, v4, v18
	v_cmp_gt_i32_e64 s8, v21, v23
	s_delay_alu instid0(VALU_DEP_4)
	v_cndmask_b32_e64 v3, v3, v24, s7
	v_cndmask_b32_e64 v18, v20, v6, s7
	v_max_i32_e32 v20, v6, v24
	v_min_i32_e32 v6, v6, v24
	v_cndmask_b32_e64 v5, v5, v2, s8
	v_cmp_lt_i32_e64 s7, v4, v11
	v_cndmask_b32_e64 v21, v23, v2, s8
	v_cndmask_b32_e64 v2, v2, v23, s8
	;; [unrolled: 1-line block ×3, first 2 shown]
	v_cmp_lt_i32_e64 s8, v6, v17
	v_cndmask_b32_e64 v7, v7, v11, s7
	v_cndmask_b32_e64 v0, v0, v4, s7
	v_max_i32_e32 v23, v4, v11
	v_min_i32_e32 v4, v4, v11
	v_cmp_lt_i32_e64 s7, v2, v20
	v_cndmask_b32_e64 v11, v18, v17, s8
	v_cndmask_b32_e64 v1, v1, v6, s8
	v_max_i32_e32 v18, v6, v17
	v_min_i32_e32 v6, v6, v17
	v_cndmask_b32_e64 v17, v19, v20, s7
	v_cmp_lt_i32_e64 s8, v4, v22
	v_cndmask_b32_e64 v3, v3, v2, s7
	v_max_i32_e32 v19, v2, v20
	v_min_i32_e32 v2, v2, v20
	v_cmp_lt_i32_e64 s7, v6, v23
	v_cndmask_b32_e64 v10, v10, v4, s8
	v_cndmask_b32_e64 v0, v0, v22, s8
	v_min_i32_e32 v20, v4, v22
	v_cmp_lt_i32_e64 s8, v2, v18
	v_max_i32_e32 v4, v4, v22
	v_cndmask_b32_e64 v1, v1, v23, s7
	v_cndmask_b32_e64 v7, v7, v6, s7
	v_max_i32_e32 v22, v6, v23
	v_min_i32_e32 v6, v6, v23
	v_cndmask_b32_e64 v11, v11, v2, s8
	v_cmp_lt_i32_e64 s7, v21, v19
	v_max_i32_e32 v23, v2, v18
	v_min_i32_e32 v2, v2, v18
	v_cndmask_b32_e64 v3, v3, v18, s8
	v_cmp_lt_i32_e64 s8, v6, v4
	v_cndmask_b32_e64 v5, v5, v19, s7
	v_cndmask_b32_e64 v17, v17, v21, s7
	v_max_i32_e32 v18, v21, v19
	v_min_i32_e32 v19, v21, v19
	v_cmp_lt_i32_e64 s7, v2, v22
	v_cndmask_b32_e64 v21, v0, v6, s8
	v_cndmask_b32_e64 v7, v7, v4, s8
	v_max_i32_e32 v24, v6, v4
	v_cmp_lt_i32_e64 s8, v19, v23
	v_cndmask_b32_e64 v1, v1, v2, s7
	v_max_i32_e32 v25, v2, v22
	v_min_i32_e32 v2, v2, v22
	v_min_i32_e32 v4, v6, v4
	v_cndmask_b32_e64 v11, v11, v22, s7
	v_cndmask_b32_e64 v17, v17, v23, s8
	;; [unrolled: 1-line block ×3, first 2 shown]
	v_cmp_lt_i32_e64 s7, v6, v20
	v_max_i32_e32 v6, v19, v23
	v_min_i32_e32 v19, v19, v23
	v_cmp_lt_i32_e64 s8, v2, v24
	v_max_i32_e32 v22, v2, v24
	v_cndmask_b32_e64 v0, v10, v4, s7
	v_cndmask_b32_e64 v10, v21, v20, s7
	;; [unrolled: 1-line block ×5, first 2 shown]
	v_cmp_lt_i32_e64 s7, v19, v25
	v_cmp_gt_i32_e64 s8, v23, v18
	v_min_i32_e32 v1, v2, v24
	s_delay_alu instid0(VALU_DEP_3)
	v_cndmask_b32_e64 v24, v3, v25, s7
	v_cndmask_b32_e64 v3, v11, v19, s7
	v_max_i32_e32 v11, v19, v25
	v_min_i32_e32 v19, v19, v25
	v_cndmask_b32_e64 v7, v5, v6, s8
	v_cndmask_b32_e64 v5, v6, v18, s8
	v_cmp_lt_i32_e64 s7, v1, v4
	v_cndmask_b32_e64 v6, v17, v18, s8
	v_cmp_lt_i32_e64 s8, v19, v22
	s_delay_alu instid0(VALU_DEP_4) | instskip(NEXT) | instid1(VALU_DEP_4)
	v_cmp_lt_i32_e64 s9, v5, v11
	v_cndmask_b32_e64 v2, v20, v4, s7
	v_cndmask_b32_e64 v1, v10, v1, s7
	s_delay_alu instid0(VALU_DEP_4)
	v_cndmask_b32_e64 v4, v3, v22, s8
	v_cndmask_b32_e64 v3, v21, v19, s8
	;; [unrolled: 1-line block ×4, first 2 shown]
.LBB10_18:
	s_or_b32 exec_lo, exec_lo, s10
	v_and_b32_e32 v10, 16, v15
	v_and_b32_e32 v17, 8, v15
	s_mov_b32 s9, 0
	s_mov_b32 s8, exec_lo
	s_delay_alu instid0(VALU_DEP_2) | instskip(NEXT) | instid1(VALU_DEP_2)
	v_min_i32_e32 v18, v13, v10
	v_min_i32_e32 v19, v13, v17
	; wave barrier
	s_delay_alu instid0(VALU_DEP_2) | instskip(SKIP_1) | instid1(VALU_DEP_2)
	v_add_nc_u32_e32 v10, 8, v18
	v_lshlrev_b32_e32 v23, 2, v18
	v_min_i32_e32 v11, v13, v10
	s_delay_alu instid0(VALU_DEP_1) | instskip(SKIP_1) | instid1(VALU_DEP_2)
	v_add_nc_u32_e32 v10, 8, v11
	v_sub_nc_u32_e32 v20, v11, v18
	v_min_i32_e32 v15, v13, v10
	v_mul_u32_u24_e32 v10, 0x84, v16
	s_delay_alu instid0(VALU_DEP_3) | instskip(NEXT) | instid1(VALU_DEP_3)
	v_min_i32_e32 v21, v19, v20
	v_sub_nc_u32_e32 v17, v15, v11
	s_delay_alu instid0(VALU_DEP_1)
	v_sub_nc_u32_e32 v22, v19, v17
	v_cmp_ge_i32_e64 s7, v19, v17
	v_mad_u32_u24 v17, 0x84, v16, v12
	v_mad_u32_u24 v16, 0x84, v16, v23
	ds_store_2addr_b32 v17, v0, v1 offset1:1
	ds_store_2addr_b32 v17, v2, v3 offset0:2 offset1:3
	ds_store_2addr_b32 v17, v4, v5 offset0:4 offset1:5
	;; [unrolled: 1-line block ×3, first 2 shown]
	v_cndmask_b32_e64 v20, 0, v22, s7
	; wave barrier
	s_delay_alu instid0(VALU_DEP_1)
	v_cmpx_lt_i32_e64 v20, v21
	s_cbranch_execz .LBB10_22
; %bb.19:
	v_lshlrev_b32_e32 v0, 2, v11
	v_lshlrev_b32_e32 v1, 2, v19
	s_delay_alu instid0(VALU_DEP_1)
	v_add3_u32 v0, v10, v0, v1
	.p2align	6
.LBB10_20:                              ; =>This Inner Loop Header: Depth=1
	v_sub_nc_u32_e32 v1, v21, v20
	s_delay_alu instid0(VALU_DEP_1) | instskip(NEXT) | instid1(VALU_DEP_1)
	v_lshrrev_b32_e32 v2, 31, v1
	v_add_nc_u32_e32 v1, v1, v2
	s_delay_alu instid0(VALU_DEP_1) | instskip(NEXT) | instid1(VALU_DEP_1)
	v_ashrrev_i32_e32 v1, 1, v1
	v_add_nc_u32_e32 v1, v1, v20
	s_delay_alu instid0(VALU_DEP_1) | instskip(SKIP_2) | instid1(VALU_DEP_3)
	v_not_b32_e32 v2, v1
	v_lshl_add_u32 v3, v1, 2, v16
	v_add_nc_u32_e32 v4, 1, v1
	v_lshl_add_u32 v2, v2, 2, v0
	ds_load_b32 v3, v3
	ds_load_b32 v2, v2
	s_waitcnt lgkmcnt(0)
	v_cmp_lt_i32_e64 s7, v2, v3
	s_delay_alu instid0(VALU_DEP_1) | instskip(SKIP_1) | instid1(VALU_DEP_1)
	v_cndmask_b32_e64 v21, v21, v1, s7
	v_cndmask_b32_e64 v20, v4, v20, s7
	v_cmp_ge_i32_e64 s7, v20, v21
	s_delay_alu instid0(VALU_DEP_1) | instskip(NEXT) | instid1(SALU_CYCLE_1)
	s_or_b32 s9, s7, s9
	s_and_not1_b32 exec_lo, exec_lo, s9
	s_cbranch_execnz .LBB10_20
; %bb.21:
	s_or_b32 exec_lo, exec_lo, s9
.LBB10_22:
	s_delay_alu instid0(SALU_CYCLE_1) | instskip(SKIP_3) | instid1(VALU_DEP_3)
	s_or_b32 exec_lo, exec_lo, s8
	v_add_nc_u32_e32 v0, v11, v19
	v_lshl_add_u32 v7, v20, 2, v16
	v_add_nc_u32_e32 v5, v20, v18
                                        ; implicit-def: $vgpr3
                                        ; implicit-def: $vgpr4
	v_sub_nc_u32_e32 v2, v0, v20
	s_delay_alu instid0(VALU_DEP_2) | instskip(NEXT) | instid1(VALU_DEP_2)
	v_cmp_le_i32_e64 s7, v11, v5
	v_lshl_add_u32 v6, v2, 2, v10
	v_cmp_gt_i32_e64 s9, v15, v2
	ds_load_b32 v0, v7
	ds_load_b32 v1, v6
	s_waitcnt lgkmcnt(0)
	v_cmp_lt_i32_e64 s8, v1, v0
	s_delay_alu instid0(VALU_DEP_1) | instskip(NEXT) | instid1(SALU_CYCLE_1)
	s_or_b32 s7, s7, s8
	s_and_b32 s7, s9, s7
	s_delay_alu instid0(SALU_CYCLE_1) | instskip(NEXT) | instid1(SALU_CYCLE_1)
	s_xor_b32 s8, s7, -1
	s_and_saveexec_b32 s9, s8
	s_delay_alu instid0(SALU_CYCLE_1)
	s_xor_b32 s8, exec_lo, s9
	s_cbranch_execz .LBB10_24
; %bb.23:
	ds_load_b32 v4, v7 offset:4
	v_mov_b32_e32 v3, v1
                                        ; implicit-def: $vgpr6
.LBB10_24:
	s_and_not1_saveexec_b32 s8, s8
	s_cbranch_execz .LBB10_26
; %bb.25:
	ds_load_b32 v3, v6 offset:4
	s_waitcnt lgkmcnt(1)
	v_mov_b32_e32 v4, v0
.LBB10_26:
	s_or_b32 exec_lo, exec_lo, s8
	v_add_nc_u32_e32 v6, 1, v5
	v_add_nc_u32_e32 v16, 1, v2
	s_waitcnt lgkmcnt(0)
	v_cmp_lt_i32_e64 s9, v3, v4
	s_delay_alu instid0(VALU_DEP_3) | instskip(NEXT) | instid1(VALU_DEP_3)
	v_cndmask_b32_e64 v7, v6, v5, s7
	v_cndmask_b32_e64 v2, v2, v16, s7
                                        ; implicit-def: $vgpr5
	s_delay_alu instid0(VALU_DEP_2) | instskip(NEXT) | instid1(VALU_DEP_2)
	v_cmp_ge_i32_e64 s8, v7, v11
	v_cmp_lt_i32_e64 s10, v2, v15
	s_delay_alu instid0(VALU_DEP_2)
	s_or_b32 s8, s8, s9
	s_delay_alu instid0(VALU_DEP_1) | instid1(SALU_CYCLE_1)
	s_and_b32 s8, s10, s8
	s_delay_alu instid0(SALU_CYCLE_1) | instskip(NEXT) | instid1(SALU_CYCLE_1)
	s_xor_b32 s9, s8, -1
	s_and_saveexec_b32 s10, s9
	s_delay_alu instid0(SALU_CYCLE_1)
	s_xor_b32 s9, exec_lo, s10
	s_cbranch_execz .LBB10_28
; %bb.27:
	v_lshl_add_u32 v5, v7, 2, v10
	ds_load_b32 v5, v5 offset:4
.LBB10_28:
	s_or_saveexec_b32 s9, s9
	v_mov_b32_e32 v6, v3
	s_xor_b32 exec_lo, exec_lo, s9
	s_cbranch_execz .LBB10_30
; %bb.29:
	s_waitcnt lgkmcnt(0)
	v_lshl_add_u32 v5, v2, 2, v10
	ds_load_b32 v6, v5 offset:4
	v_mov_b32_e32 v5, v4
.LBB10_30:
	s_or_b32 exec_lo, exec_lo, s9
	v_add_nc_u32_e32 v16, 1, v7
	v_add_nc_u32_e32 v19, 1, v2
	s_waitcnt lgkmcnt(0)
	v_cmp_lt_i32_e64 s10, v6, v5
	s_delay_alu instid0(VALU_DEP_3) | instskip(NEXT) | instid1(VALU_DEP_3)
	v_cndmask_b32_e64 v18, v16, v7, s8
	v_cndmask_b32_e64 v2, v2, v19, s8
                                        ; implicit-def: $vgpr7
	s_delay_alu instid0(VALU_DEP_2) | instskip(NEXT) | instid1(VALU_DEP_2)
	v_cmp_ge_i32_e64 s9, v18, v11
	v_cmp_lt_i32_e64 s11, v2, v15
	s_delay_alu instid0(VALU_DEP_2)
	s_or_b32 s9, s9, s10
	s_delay_alu instid0(VALU_DEP_1) | instid1(SALU_CYCLE_1)
	s_and_b32 s9, s11, s9
	s_delay_alu instid0(SALU_CYCLE_1) | instskip(NEXT) | instid1(SALU_CYCLE_1)
	s_xor_b32 s10, s9, -1
	s_and_saveexec_b32 s11, s10
	s_delay_alu instid0(SALU_CYCLE_1)
	s_xor_b32 s10, exec_lo, s11
	s_cbranch_execz .LBB10_32
; %bb.31:
	v_lshl_add_u32 v7, v18, 2, v10
	ds_load_b32 v7, v7 offset:4
.LBB10_32:
	s_or_saveexec_b32 s10, s10
	v_mov_b32_e32 v16, v6
	s_xor_b32 exec_lo, exec_lo, s10
	s_cbranch_execz .LBB10_34
; %bb.33:
	s_waitcnt lgkmcnt(0)
	v_lshl_add_u32 v7, v2, 2, v10
	ds_load_b32 v16, v7 offset:4
	v_mov_b32_e32 v7, v5
.LBB10_34:
	s_or_b32 exec_lo, exec_lo, s10
	v_add_nc_u32_e32 v19, 1, v18
	v_add_nc_u32_e32 v21, 1, v2
	s_waitcnt lgkmcnt(0)
	v_cmp_lt_i32_e64 s11, v16, v7
	s_delay_alu instid0(VALU_DEP_3) | instskip(NEXT) | instid1(VALU_DEP_3)
	v_cndmask_b32_e64 v20, v19, v18, s9
	v_cndmask_b32_e64 v2, v2, v21, s9
                                        ; implicit-def: $vgpr18
	s_delay_alu instid0(VALU_DEP_2) | instskip(NEXT) | instid1(VALU_DEP_2)
	v_cmp_ge_i32_e64 s10, v20, v11
	v_cmp_lt_i32_e64 s12, v2, v15
	s_delay_alu instid0(VALU_DEP_2)
	s_or_b32 s10, s10, s11
	s_delay_alu instid0(VALU_DEP_1) | instid1(SALU_CYCLE_1)
	s_and_b32 s10, s12, s10
	s_delay_alu instid0(SALU_CYCLE_1) | instskip(NEXT) | instid1(SALU_CYCLE_1)
	s_xor_b32 s11, s10, -1
	s_and_saveexec_b32 s12, s11
	s_delay_alu instid0(SALU_CYCLE_1)
	s_xor_b32 s11, exec_lo, s12
	s_cbranch_execz .LBB10_36
; %bb.35:
	v_lshl_add_u32 v18, v20, 2, v10
	ds_load_b32 v18, v18 offset:4
.LBB10_36:
	s_or_saveexec_b32 s11, s11
	v_mov_b32_e32 v19, v16
	s_xor_b32 exec_lo, exec_lo, s11
	s_cbranch_execz .LBB10_38
; %bb.37:
	s_waitcnt lgkmcnt(0)
	v_lshl_add_u32 v18, v2, 2, v10
	ds_load_b32 v19, v18 offset:4
	v_mov_b32_e32 v18, v7
.LBB10_38:
	s_or_b32 exec_lo, exec_lo, s11
	v_add_nc_u32_e32 v21, 1, v20
	v_add_nc_u32_e32 v23, 1, v2
	s_waitcnt lgkmcnt(0)
	v_cmp_lt_i32_e64 s12, v19, v18
	s_delay_alu instid0(VALU_DEP_3) | instskip(NEXT) | instid1(VALU_DEP_3)
	v_cndmask_b32_e64 v22, v21, v20, s10
	v_cndmask_b32_e64 v2, v2, v23, s10
                                        ; implicit-def: $vgpr20
	s_delay_alu instid0(VALU_DEP_2) | instskip(NEXT) | instid1(VALU_DEP_2)
	v_cmp_ge_i32_e64 s11, v22, v11
	v_cmp_lt_i32_e64 s13, v2, v15
	s_delay_alu instid0(VALU_DEP_2)
	s_or_b32 s11, s11, s12
	s_delay_alu instid0(VALU_DEP_1) | instid1(SALU_CYCLE_1)
	s_and_b32 s11, s13, s11
	s_delay_alu instid0(SALU_CYCLE_1) | instskip(NEXT) | instid1(SALU_CYCLE_1)
	s_xor_b32 s12, s11, -1
	s_and_saveexec_b32 s13, s12
	s_delay_alu instid0(SALU_CYCLE_1)
	s_xor_b32 s12, exec_lo, s13
	s_cbranch_execz .LBB10_40
; %bb.39:
	v_lshl_add_u32 v20, v22, 2, v10
	ds_load_b32 v20, v20 offset:4
.LBB10_40:
	s_or_saveexec_b32 s12, s12
	v_mov_b32_e32 v21, v19
	s_xor_b32 exec_lo, exec_lo, s12
	s_cbranch_execz .LBB10_42
; %bb.41:
	s_waitcnt lgkmcnt(0)
	v_lshl_add_u32 v20, v2, 2, v10
	ds_load_b32 v21, v20 offset:4
	v_mov_b32_e32 v20, v18
.LBB10_42:
	s_or_b32 exec_lo, exec_lo, s12
	v_add_nc_u32_e32 v23, 1, v22
	v_add_nc_u32_e32 v24, 1, v2
	s_waitcnt lgkmcnt(0)
	v_cmp_lt_i32_e64 s13, v21, v20
	s_delay_alu instid0(VALU_DEP_3) | instskip(NEXT) | instid1(VALU_DEP_3)
	v_cndmask_b32_e64 v22, v23, v22, s11
	v_cndmask_b32_e64 v2, v2, v24, s11
                                        ; implicit-def: $vgpr23
	s_delay_alu instid0(VALU_DEP_2) | instskip(NEXT) | instid1(VALU_DEP_2)
	v_cmp_ge_i32_e64 s12, v22, v11
	v_cmp_lt_i32_e64 s14, v2, v15
	s_delay_alu instid0(VALU_DEP_2)
	s_or_b32 s12, s12, s13
	s_delay_alu instid0(VALU_DEP_1) | instid1(SALU_CYCLE_1)
	s_and_b32 s12, s14, s12
	s_delay_alu instid0(SALU_CYCLE_1) | instskip(NEXT) | instid1(SALU_CYCLE_1)
	s_xor_b32 s13, s12, -1
	s_and_saveexec_b32 s14, s13
	s_delay_alu instid0(SALU_CYCLE_1)
	s_xor_b32 s13, exec_lo, s14
	s_cbranch_execz .LBB10_44
; %bb.43:
	v_lshl_add_u32 v23, v22, 2, v10
	ds_load_b32 v23, v23 offset:4
.LBB10_44:
	s_or_saveexec_b32 s13, s13
	v_mov_b32_e32 v27, v21
	s_xor_b32 exec_lo, exec_lo, s13
	s_cbranch_execz .LBB10_46
; %bb.45:
	s_waitcnt lgkmcnt(0)
	v_lshl_add_u32 v23, v2, 2, v10
	ds_load_b32 v27, v23 offset:4
	v_mov_b32_e32 v23, v20
.LBB10_46:
	s_or_b32 exec_lo, exec_lo, s13
	v_add_nc_u32_e32 v24, 1, v22
	v_add_nc_u32_e32 v25, 1, v2
	s_waitcnt lgkmcnt(0)
	v_cmp_lt_i32_e64 s14, v27, v23
	s_delay_alu instid0(VALU_DEP_3) | instskip(NEXT) | instid1(VALU_DEP_3)
	v_cndmask_b32_e64 v26, v24, v22, s12
	v_cndmask_b32_e64 v25, v2, v25, s12
                                        ; implicit-def: $vgpr24
	s_delay_alu instid0(VALU_DEP_2) | instskip(NEXT) | instid1(VALU_DEP_2)
	v_cmp_ge_i32_e64 s13, v26, v11
	v_cmp_lt_i32_e64 s15, v25, v15
	s_delay_alu instid0(VALU_DEP_2)
	s_or_b32 s13, s13, s14
	s_delay_alu instid0(VALU_DEP_1) | instid1(SALU_CYCLE_1)
	s_and_b32 s13, s15, s13
	s_delay_alu instid0(SALU_CYCLE_1) | instskip(NEXT) | instid1(SALU_CYCLE_1)
	s_xor_b32 s14, s13, -1
	s_and_saveexec_b32 s15, s14
	s_delay_alu instid0(SALU_CYCLE_1)
	s_xor_b32 s14, exec_lo, s15
	s_cbranch_execz .LBB10_48
; %bb.47:
	v_lshl_add_u32 v2, v26, 2, v10
	ds_load_b32 v24, v2 offset:4
.LBB10_48:
	s_or_saveexec_b32 s14, s14
	v_mov_b32_e32 v28, v27
	s_xor_b32 exec_lo, exec_lo, s14
	s_cbranch_execz .LBB10_50
; %bb.49:
	v_lshl_add_u32 v2, v25, 2, v10
	s_waitcnt lgkmcnt(0)
	v_mov_b32_e32 v24, v23
	ds_load_b32 v28, v2 offset:4
.LBB10_50:
	s_or_b32 exec_lo, exec_lo, s14
	v_min_i32_e32 v22, 0, v13
	v_cndmask_b32_e64 v20, v20, v21, s12
	v_add_nc_u32_e32 v29, 1, v26
	v_cndmask_b32_e64 v7, v7, v16, s10
	v_cndmask_b32_e64 v16, v4, v3, s8
	v_add_nc_u32_e32 v2, 16, v22
	v_cndmask_b32_e64 v23, v23, v27, s13
	v_add_nc_u32_e32 v27, 1, v25
	v_cndmask_b32_e64 v4, v29, v26, s13
	v_cndmask_b32_e64 v18, v18, v19, s11
	v_min_i32_e32 v2, v13, v2
	v_cndmask_b32_e64 v19, v0, v1, s7
	v_min_i32_e32 v0, v13, v14
	v_cndmask_b32_e64 v6, v5, v6, s9
	v_cndmask_b32_e64 v5, v25, v27, s13
	v_add_nc_u32_e32 v21, 16, v2
	s_waitcnt lgkmcnt(0)
	v_cmp_lt_i32_e64 s7, v28, v24
	v_cmp_ge_i32_e64 s8, v4, v11
	v_lshl_add_u32 v4, v22, 2, v10
	v_cmp_lt_i32_e64 s9, v5, v15
	v_min_i32_e32 v3, v13, v21
	v_sub_nc_u32_e32 v13, v2, v22
	s_or_b32 s7, s8, s7
	s_mov_b32 s8, exec_lo
	s_and_b32 s7, s9, s7
	v_sub_nc_u32_e32 v1, v3, v2
	v_min_i32_e32 v5, v0, v13
	v_cndmask_b32_e64 v11, v24, v28, s7
	s_mov_b32 s9, 0
	s_delay_alu instid0(VALU_DEP_3)
	v_sub_nc_u32_e32 v14, v0, v1
	v_cmp_ge_i32_e64 s10, v0, v1
	; wave barrier
	ds_store_2addr_b32 v17, v19, v16 offset1:1
	ds_store_2addr_b32 v17, v6, v7 offset0:2 offset1:3
	ds_store_2addr_b32 v17, v18, v20 offset0:4 offset1:5
	;; [unrolled: 1-line block ×3, first 2 shown]
	; wave barrier
	v_cndmask_b32_e64 v1, 0, v14, s10
	s_delay_alu instid0(VALU_DEP_1)
	v_cmpx_lt_i32_e64 v1, v5
	s_cbranch_execz .LBB10_54
; %bb.51:
	v_lshlrev_b32_e32 v6, 2, v2
	v_lshlrev_b32_e32 v7, 2, v0
	s_delay_alu instid0(VALU_DEP_1)
	v_add3_u32 v6, v10, v6, v7
	.p2align	6
.LBB10_52:                              ; =>This Inner Loop Header: Depth=1
	v_sub_nc_u32_e32 v7, v5, v1
	s_delay_alu instid0(VALU_DEP_1) | instskip(NEXT) | instid1(VALU_DEP_1)
	v_lshrrev_b32_e32 v11, 31, v7
	v_add_nc_u32_e32 v7, v7, v11
	s_delay_alu instid0(VALU_DEP_1) | instskip(NEXT) | instid1(VALU_DEP_1)
	v_ashrrev_i32_e32 v7, 1, v7
	v_add_nc_u32_e32 v7, v7, v1
	s_delay_alu instid0(VALU_DEP_1) | instskip(SKIP_2) | instid1(VALU_DEP_3)
	v_not_b32_e32 v11, v7
	v_lshl_add_u32 v13, v7, 2, v4
	v_add_nc_u32_e32 v14, 1, v7
	v_lshl_add_u32 v11, v11, 2, v6
	ds_load_b32 v13, v13
	ds_load_b32 v11, v11
	s_waitcnt lgkmcnt(0)
	v_cmp_lt_i32_e64 s7, v11, v13
	s_delay_alu instid0(VALU_DEP_1) | instskip(SKIP_1) | instid1(VALU_DEP_1)
	v_cndmask_b32_e64 v5, v5, v7, s7
	v_cndmask_b32_e64 v1, v14, v1, s7
	v_cmp_ge_i32_e64 s7, v1, v5
	s_delay_alu instid0(VALU_DEP_1) | instskip(NEXT) | instid1(SALU_CYCLE_1)
	s_or_b32 s9, s7, s9
	s_and_not1_b32 exec_lo, exec_lo, s9
	s_cbranch_execnz .LBB10_52
; %bb.53:
	s_or_b32 exec_lo, exec_lo, s9
.LBB10_54:
	s_delay_alu instid0(SALU_CYCLE_1) | instskip(SKIP_2) | instid1(VALU_DEP_2)
	s_or_b32 exec_lo, exec_lo, s8
	v_add_nc_u32_e32 v0, v2, v0
	v_lshl_add_u32 v13, v1, 2, v4
                                        ; implicit-def: $vgpr6
                                        ; implicit-def: $vgpr7
	v_sub_nc_u32_e32 v0, v0, v1
	v_add_nc_u32_e32 v1, v1, v22
	s_delay_alu instid0(VALU_DEP_2) | instskip(NEXT) | instid1(VALU_DEP_2)
	v_lshl_add_u32 v11, v0, 2, v10
	v_cmp_le_i32_e64 s7, v2, v1
	v_cmp_gt_i32_e64 s9, v3, v0
	ds_load_b32 v4, v13
	ds_load_b32 v5, v11
	s_waitcnt lgkmcnt(0)
	v_cmp_lt_i32_e64 s8, v5, v4
	s_delay_alu instid0(VALU_DEP_1) | instskip(NEXT) | instid1(SALU_CYCLE_1)
	s_or_b32 s7, s7, s8
	s_and_b32 s7, s9, s7
	s_delay_alu instid0(SALU_CYCLE_1) | instskip(NEXT) | instid1(SALU_CYCLE_1)
	s_xor_b32 s8, s7, -1
	s_and_saveexec_b32 s9, s8
	s_delay_alu instid0(SALU_CYCLE_1)
	s_xor_b32 s8, exec_lo, s9
	s_cbranch_execz .LBB10_56
; %bb.55:
	ds_load_b32 v7, v13 offset:4
	v_mov_b32_e32 v6, v5
                                        ; implicit-def: $vgpr11
.LBB10_56:
	s_and_not1_saveexec_b32 s8, s8
	s_cbranch_execz .LBB10_58
; %bb.57:
	ds_load_b32 v6, v11 offset:4
	s_waitcnt lgkmcnt(1)
	v_mov_b32_e32 v7, v4
.LBB10_58:
	s_or_b32 exec_lo, exec_lo, s8
	v_add_nc_u32_e32 v11, 1, v1
	v_add_nc_u32_e32 v13, 1, v0
	s_waitcnt lgkmcnt(0)
	v_cmp_lt_i32_e64 s9, v6, v7
	s_delay_alu instid0(VALU_DEP_3) | instskip(NEXT) | instid1(VALU_DEP_3)
	v_cndmask_b32_e64 v1, v11, v1, s7
	v_cndmask_b32_e64 v0, v0, v13, s7
                                        ; implicit-def: $vgpr11
	s_delay_alu instid0(VALU_DEP_2) | instskip(NEXT) | instid1(VALU_DEP_2)
	v_cmp_ge_i32_e64 s8, v1, v2
	v_cmp_lt_i32_e64 s10, v0, v3
	s_delay_alu instid0(VALU_DEP_2)
	s_or_b32 s8, s8, s9
	s_delay_alu instid0(VALU_DEP_1) | instid1(SALU_CYCLE_1)
	s_and_b32 s8, s10, s8
	s_delay_alu instid0(SALU_CYCLE_1) | instskip(NEXT) | instid1(SALU_CYCLE_1)
	s_xor_b32 s9, s8, -1
	s_and_saveexec_b32 s10, s9
	s_delay_alu instid0(SALU_CYCLE_1)
	s_xor_b32 s9, exec_lo, s10
	s_cbranch_execz .LBB10_60
; %bb.59:
	v_lshl_add_u32 v11, v1, 2, v10
	ds_load_b32 v11, v11 offset:4
.LBB10_60:
	s_or_saveexec_b32 s9, s9
	v_mov_b32_e32 v13, v6
	s_xor_b32 exec_lo, exec_lo, s9
	s_cbranch_execz .LBB10_62
; %bb.61:
	s_waitcnt lgkmcnt(0)
	v_lshl_add_u32 v11, v0, 2, v10
	ds_load_b32 v13, v11 offset:4
	v_mov_b32_e32 v11, v7
.LBB10_62:
	s_or_b32 exec_lo, exec_lo, s9
	v_add_nc_u32_e32 v14, 1, v1
	v_add_nc_u32_e32 v15, 1, v0
	s_waitcnt lgkmcnt(0)
	v_cmp_lt_i32_e64 s10, v13, v11
	s_delay_alu instid0(VALU_DEP_3) | instskip(NEXT) | instid1(VALU_DEP_3)
	v_cndmask_b32_e64 v1, v14, v1, s8
	v_cndmask_b32_e64 v0, v0, v15, s8
                                        ; implicit-def: $vgpr14
	s_delay_alu instid0(VALU_DEP_2) | instskip(NEXT) | instid1(VALU_DEP_2)
	v_cmp_ge_i32_e64 s9, v1, v2
	v_cmp_lt_i32_e64 s11, v0, v3
	s_delay_alu instid0(VALU_DEP_2)
	s_or_b32 s9, s9, s10
	s_delay_alu instid0(VALU_DEP_1) | instid1(SALU_CYCLE_1)
	s_and_b32 s9, s11, s9
	s_delay_alu instid0(SALU_CYCLE_1) | instskip(NEXT) | instid1(SALU_CYCLE_1)
	s_xor_b32 s10, s9, -1
	s_and_saveexec_b32 s11, s10
	s_delay_alu instid0(SALU_CYCLE_1)
	s_xor_b32 s10, exec_lo, s11
	s_cbranch_execz .LBB10_64
; %bb.63:
	v_lshl_add_u32 v14, v1, 2, v10
	ds_load_b32 v14, v14 offset:4
.LBB10_64:
	s_or_saveexec_b32 s10, s10
	v_mov_b32_e32 v15, v13
	s_xor_b32 exec_lo, exec_lo, s10
	s_cbranch_execz .LBB10_66
; %bb.65:
	s_waitcnt lgkmcnt(0)
	v_lshl_add_u32 v14, v0, 2, v10
	ds_load_b32 v15, v14 offset:4
	v_mov_b32_e32 v14, v11
.LBB10_66:
	s_or_b32 exec_lo, exec_lo, s10
	v_add_nc_u32_e32 v16, 1, v1
	v_add_nc_u32_e32 v17, 1, v0
	s_waitcnt lgkmcnt(0)
	v_cmp_lt_i32_e64 s11, v15, v14
	s_delay_alu instid0(VALU_DEP_3) | instskip(NEXT) | instid1(VALU_DEP_3)
	v_cndmask_b32_e64 v1, v16, v1, s9
	v_cndmask_b32_e64 v0, v0, v17, s9
                                        ; implicit-def: $vgpr16
	s_delay_alu instid0(VALU_DEP_2) | instskip(NEXT) | instid1(VALU_DEP_2)
	v_cmp_ge_i32_e64 s10, v1, v2
	v_cmp_lt_i32_e64 s12, v0, v3
	s_delay_alu instid0(VALU_DEP_2)
	s_or_b32 s10, s10, s11
	s_delay_alu instid0(VALU_DEP_1) | instid1(SALU_CYCLE_1)
	s_and_b32 s10, s12, s10
	s_delay_alu instid0(SALU_CYCLE_1) | instskip(NEXT) | instid1(SALU_CYCLE_1)
	s_xor_b32 s11, s10, -1
	s_and_saveexec_b32 s12, s11
	s_delay_alu instid0(SALU_CYCLE_1)
	s_xor_b32 s11, exec_lo, s12
	s_cbranch_execz .LBB10_68
; %bb.67:
	v_lshl_add_u32 v16, v1, 2, v10
	ds_load_b32 v16, v16 offset:4
.LBB10_68:
	s_or_saveexec_b32 s11, s11
	v_mov_b32_e32 v17, v15
	s_xor_b32 exec_lo, exec_lo, s11
	s_cbranch_execz .LBB10_70
; %bb.69:
	s_waitcnt lgkmcnt(0)
	v_lshl_add_u32 v16, v0, 2, v10
	ds_load_b32 v17, v16 offset:4
	v_mov_b32_e32 v16, v14
.LBB10_70:
	s_or_b32 exec_lo, exec_lo, s11
	v_add_nc_u32_e32 v18, 1, v1
	v_add_nc_u32_e32 v19, 1, v0
	s_waitcnt lgkmcnt(0)
	v_cmp_lt_i32_e64 s12, v17, v16
	s_delay_alu instid0(VALU_DEP_3) | instskip(NEXT) | instid1(VALU_DEP_3)
	v_cndmask_b32_e64 v1, v18, v1, s10
	v_cndmask_b32_e64 v0, v0, v19, s10
                                        ; implicit-def: $vgpr18
	s_delay_alu instid0(VALU_DEP_2) | instskip(NEXT) | instid1(VALU_DEP_2)
	v_cmp_ge_i32_e64 s11, v1, v2
	v_cmp_lt_i32_e64 s13, v0, v3
	s_delay_alu instid0(VALU_DEP_2)
	s_or_b32 s11, s11, s12
	s_delay_alu instid0(VALU_DEP_1) | instid1(SALU_CYCLE_1)
	s_and_b32 s11, s13, s11
	s_delay_alu instid0(SALU_CYCLE_1) | instskip(NEXT) | instid1(SALU_CYCLE_1)
	s_xor_b32 s12, s11, -1
	s_and_saveexec_b32 s13, s12
	s_delay_alu instid0(SALU_CYCLE_1)
	s_xor_b32 s12, exec_lo, s13
	s_cbranch_execz .LBB10_72
; %bb.71:
	v_lshl_add_u32 v18, v1, 2, v10
	ds_load_b32 v18, v18 offset:4
.LBB10_72:
	s_or_saveexec_b32 s12, s12
	v_mov_b32_e32 v19, v17
	s_xor_b32 exec_lo, exec_lo, s12
	s_cbranch_execz .LBB10_74
; %bb.73:
	s_waitcnt lgkmcnt(0)
	v_lshl_add_u32 v18, v0, 2, v10
	ds_load_b32 v19, v18 offset:4
	v_mov_b32_e32 v18, v16
.LBB10_74:
	s_or_b32 exec_lo, exec_lo, s12
	v_add_nc_u32_e32 v20, 1, v1
	v_add_nc_u32_e32 v21, 1, v0
	s_waitcnt lgkmcnt(0)
	v_cmp_lt_i32_e64 s13, v19, v18
	s_delay_alu instid0(VALU_DEP_3) | instskip(NEXT) | instid1(VALU_DEP_3)
	v_cndmask_b32_e64 v22, v20, v1, s11
	v_cndmask_b32_e64 v1, v0, v21, s11
                                        ; implicit-def: $vgpr20
	s_delay_alu instid0(VALU_DEP_2) | instskip(NEXT) | instid1(VALU_DEP_2)
	v_cmp_ge_i32_e64 s12, v22, v2
	v_cmp_lt_i32_e64 s14, v1, v3
	s_delay_alu instid0(VALU_DEP_2)
	s_or_b32 s12, s12, s13
	s_delay_alu instid0(VALU_DEP_1) | instid1(SALU_CYCLE_1)
	s_and_b32 s12, s14, s12
	s_delay_alu instid0(SALU_CYCLE_1) | instskip(NEXT) | instid1(SALU_CYCLE_1)
	s_xor_b32 s13, s12, -1
	s_and_saveexec_b32 s14, s13
	s_delay_alu instid0(SALU_CYCLE_1)
	s_xor_b32 s13, exec_lo, s14
	s_cbranch_execz .LBB10_76
; %bb.75:
	v_lshl_add_u32 v0, v22, 2, v10
	ds_load_b32 v20, v0 offset:4
.LBB10_76:
	s_or_saveexec_b32 s13, s13
	v_mov_b32_e32 v21, v19
	s_xor_b32 exec_lo, exec_lo, s13
	s_cbranch_execz .LBB10_78
; %bb.77:
	v_lshl_add_u32 v0, v1, 2, v10
	s_waitcnt lgkmcnt(0)
	v_mov_b32_e32 v20, v18
	ds_load_b32 v21, v0 offset:4
.LBB10_78:
	s_or_b32 exec_lo, exec_lo, s13
	v_add_nc_u32_e32 v0, 1, v22
	v_add_nc_u32_e32 v23, 1, v1
	s_waitcnt lgkmcnt(0)
	v_cmp_lt_i32_e64 s14, v21, v20
                                        ; implicit-def: $vgpr24
	s_delay_alu instid0(VALU_DEP_3) | instskip(NEXT) | instid1(VALU_DEP_3)
	v_cndmask_b32_e64 v0, v0, v22, s12
	v_cndmask_b32_e64 v22, v1, v23, s12
                                        ; implicit-def: $vgpr23
	s_delay_alu instid0(VALU_DEP_2) | instskip(NEXT) | instid1(VALU_DEP_2)
	v_cmp_ge_i32_e64 s13, v0, v2
	v_cmp_lt_i32_e64 s15, v22, v3
	s_delay_alu instid0(VALU_DEP_2)
	s_or_b32 s13, s13, s14
	s_delay_alu instid0(VALU_DEP_1) | instid1(SALU_CYCLE_1)
	s_and_b32 s13, s15, s13
	s_delay_alu instid0(SALU_CYCLE_1) | instskip(NEXT) | instid1(SALU_CYCLE_1)
	s_xor_b32 s14, s13, -1
	s_and_saveexec_b32 s15, s14
	s_delay_alu instid0(SALU_CYCLE_1)
	s_xor_b32 s14, exec_lo, s15
	s_cbranch_execz .LBB10_80
; %bb.79:
	v_lshl_add_u32 v1, v0, 2, v10
	v_add_nc_u32_e32 v24, 1, v0
                                        ; implicit-def: $vgpr0
                                        ; implicit-def: $vgpr10
	ds_load_b32 v23, v1 offset:4
.LBB10_80:
	s_or_saveexec_b32 s14, s14
	v_mov_b32_e32 v25, v21
	s_xor_b32 exec_lo, exec_lo, s14
	s_cbranch_execz .LBB10_82
; %bb.81:
	v_lshl_add_u32 v1, v22, 2, v10
	s_waitcnt lgkmcnt(0)
	v_dual_mov_b32 v23, v20 :: v_dual_add_nc_u32 v22, 1, v22
	v_mov_b32_e32 v24, v0
	ds_load_b32 v25, v1 offset:4
.LBB10_82:
	s_or_b32 exec_lo, exec_lo, s14
	v_add_co_u32 v0, s14, s18, v8
	s_delay_alu instid0(VALU_DEP_1) | instskip(NEXT) | instid1(VALU_DEP_2)
	v_add_co_ci_u32_e64 v1, s14, s19, v9, s14
	v_add_co_u32 v0, s14, v0, v12
	s_delay_alu instid0(VALU_DEP_1)
	v_add_co_ci_u32_e64 v1, s14, 0, v1, s14
	s_and_saveexec_b32 s14, vcc_lo
	s_cbranch_execnz .LBB10_91
; %bb.83:
	s_or_b32 exec_lo, exec_lo, s14
	s_and_saveexec_b32 s7, s0
	s_cbranch_execnz .LBB10_92
.LBB10_84:
	s_or_b32 exec_lo, exec_lo, s7
	s_and_saveexec_b32 s0, s1
	s_cbranch_execnz .LBB10_93
.LBB10_85:
	s_or_b32 exec_lo, exec_lo, s0
	s_and_saveexec_b32 s0, s2
	s_cbranch_execnz .LBB10_94
.LBB10_86:
	s_or_b32 exec_lo, exec_lo, s0
	s_and_saveexec_b32 s0, s3
	s_cbranch_execnz .LBB10_95
.LBB10_87:
	s_or_b32 exec_lo, exec_lo, s0
	s_and_saveexec_b32 s0, s4
	s_cbranch_execnz .LBB10_96
.LBB10_88:
	s_or_b32 exec_lo, exec_lo, s0
	s_and_saveexec_b32 s0, s5
	s_cbranch_execnz .LBB10_97
.LBB10_89:
	s_or_b32 exec_lo, exec_lo, s0
	s_and_saveexec_b32 s0, s6
	s_cbranch_execnz .LBB10_98
.LBB10_90:
	s_nop 0
	s_sendmsg sendmsg(MSG_DEALLOC_VGPRS)
	s_endpgm
.LBB10_91:
	v_cndmask_b32_e64 v4, v4, v5, s7
	global_store_b32 v[0:1], v4, off
	s_or_b32 exec_lo, exec_lo, s14
	s_and_saveexec_b32 s7, s0
	s_cbranch_execz .LBB10_84
.LBB10_92:
	v_cndmask_b32_e64 v4, v7, v6, s8
	global_store_b32 v[0:1], v4, off offset:4
	s_or_b32 exec_lo, exec_lo, s7
	s_and_saveexec_b32 s0, s1
	s_cbranch_execz .LBB10_85
.LBB10_93:
	v_cndmask_b32_e64 v4, v11, v13, s9
	global_store_b32 v[0:1], v4, off offset:8
	s_or_b32 exec_lo, exec_lo, s0
	s_and_saveexec_b32 s0, s2
	s_cbranch_execz .LBB10_86
.LBB10_94:
	v_cndmask_b32_e64 v4, v14, v15, s10
	global_store_b32 v[0:1], v4, off offset:12
	s_or_b32 exec_lo, exec_lo, s0
	s_and_saveexec_b32 s0, s3
	s_cbranch_execz .LBB10_87
.LBB10_95:
	v_cndmask_b32_e64 v4, v16, v17, s11
	global_store_b32 v[0:1], v4, off offset:16
	s_or_b32 exec_lo, exec_lo, s0
	s_and_saveexec_b32 s0, s4
	s_cbranch_execz .LBB10_88
.LBB10_96:
	v_cndmask_b32_e64 v4, v18, v19, s12
	global_store_b32 v[0:1], v4, off offset:20
	s_or_b32 exec_lo, exec_lo, s0
	s_and_saveexec_b32 s0, s5
	s_cbranch_execz .LBB10_89
.LBB10_97:
	v_cndmask_b32_e64 v4, v20, v21, s13
	global_store_b32 v[0:1], v4, off offset:24
	s_or_b32 exec_lo, exec_lo, s0
	s_and_saveexec_b32 s0, s6
	s_cbranch_execz .LBB10_90
.LBB10_98:
	v_cmp_ge_i32_e32 vcc_lo, v24, v2
	s_waitcnt lgkmcnt(0)
	v_cmp_lt_i32_e64 s0, v25, v23
	v_cmp_lt_i32_e64 s1, v22, v3
	s_delay_alu instid0(VALU_DEP_2)
	s_or_b32 s0, vcc_lo, s0
	s_delay_alu instid0(VALU_DEP_1) | instid1(SALU_CYCLE_1)
	s_and_b32 vcc_lo, s1, s0
	v_cndmask_b32_e32 v2, v23, v25, vcc_lo
	global_store_b32 v[0:1], v2, off offset:28
	s_nop 0
	s_sendmsg sendmsg(MSG_DEALLOC_VGPRS)
	s_endpgm
	.section	.rodata,"a",@progbits
	.p2align	6, 0x0
	.amdhsa_kernel _Z19sort_keys_segmentedILj256ELj4ELj8EiN10test_utils4lessEEvPKT2_PS2_PKjT3_
		.amdhsa_group_segment_fixed_size 8448
		.amdhsa_private_segment_fixed_size 0
		.amdhsa_kernarg_size 28
		.amdhsa_user_sgpr_count 15
		.amdhsa_user_sgpr_dispatch_ptr 0
		.amdhsa_user_sgpr_queue_ptr 0
		.amdhsa_user_sgpr_kernarg_segment_ptr 1
		.amdhsa_user_sgpr_dispatch_id 0
		.amdhsa_user_sgpr_private_segment_size 0
		.amdhsa_wavefront_size32 1
		.amdhsa_uses_dynamic_stack 0
		.amdhsa_enable_private_segment 0
		.amdhsa_system_sgpr_workgroup_id_x 1
		.amdhsa_system_sgpr_workgroup_id_y 0
		.amdhsa_system_sgpr_workgroup_id_z 0
		.amdhsa_system_sgpr_workgroup_info 0
		.amdhsa_system_vgpr_workitem_id 0
		.amdhsa_next_free_vgpr 30
		.amdhsa_next_free_sgpr 20
		.amdhsa_reserve_vcc 1
		.amdhsa_float_round_mode_32 0
		.amdhsa_float_round_mode_16_64 0
		.amdhsa_float_denorm_mode_32 3
		.amdhsa_float_denorm_mode_16_64 3
		.amdhsa_dx10_clamp 1
		.amdhsa_ieee_mode 1
		.amdhsa_fp16_overflow 0
		.amdhsa_workgroup_processor_mode 1
		.amdhsa_memory_ordered 1
		.amdhsa_forward_progress 0
		.amdhsa_shared_vgpr_count 0
		.amdhsa_exception_fp_ieee_invalid_op 0
		.amdhsa_exception_fp_denorm_src 0
		.amdhsa_exception_fp_ieee_div_zero 0
		.amdhsa_exception_fp_ieee_overflow 0
		.amdhsa_exception_fp_ieee_underflow 0
		.amdhsa_exception_fp_ieee_inexact 0
		.amdhsa_exception_int_div_zero 0
	.end_amdhsa_kernel
	.section	.text._Z19sort_keys_segmentedILj256ELj4ELj8EiN10test_utils4lessEEvPKT2_PS2_PKjT3_,"axG",@progbits,_Z19sort_keys_segmentedILj256ELj4ELj8EiN10test_utils4lessEEvPKT2_PS2_PKjT3_,comdat
.Lfunc_end10:
	.size	_Z19sort_keys_segmentedILj256ELj4ELj8EiN10test_utils4lessEEvPKT2_PS2_PKjT3_, .Lfunc_end10-_Z19sort_keys_segmentedILj256ELj4ELj8EiN10test_utils4lessEEvPKT2_PS2_PKjT3_
                                        ; -- End function
	.section	.AMDGPU.csdata,"",@progbits
; Kernel info:
; codeLenInByte = 4916
; NumSgprs: 22
; NumVgprs: 30
; ScratchSize: 0
; MemoryBound: 0
; FloatMode: 240
; IeeeMode: 1
; LDSByteSize: 8448 bytes/workgroup (compile time only)
; SGPRBlocks: 2
; VGPRBlocks: 3
; NumSGPRsForWavesPerEU: 22
; NumVGPRsForWavesPerEU: 30
; Occupancy: 16
; WaveLimiterHint : 0
; COMPUTE_PGM_RSRC2:SCRATCH_EN: 0
; COMPUTE_PGM_RSRC2:USER_SGPR: 15
; COMPUTE_PGM_RSRC2:TRAP_HANDLER: 0
; COMPUTE_PGM_RSRC2:TGID_X_EN: 1
; COMPUTE_PGM_RSRC2:TGID_Y_EN: 0
; COMPUTE_PGM_RSRC2:TGID_Z_EN: 0
; COMPUTE_PGM_RSRC2:TIDIG_COMP_CNT: 0
	.section	.text._Z20sort_pairs_segmentedILj256ELj4ELj8EiN10test_utils4lessEEvPKT2_PS2_PKjT3_,"axG",@progbits,_Z20sort_pairs_segmentedILj256ELj4ELj8EiN10test_utils4lessEEvPKT2_PS2_PKjT3_,comdat
	.protected	_Z20sort_pairs_segmentedILj256ELj4ELj8EiN10test_utils4lessEEvPKT2_PS2_PKjT3_ ; -- Begin function _Z20sort_pairs_segmentedILj256ELj4ELj8EiN10test_utils4lessEEvPKT2_PS2_PKjT3_
	.globl	_Z20sort_pairs_segmentedILj256ELj4ELj8EiN10test_utils4lessEEvPKT2_PS2_PKjT3_
	.p2align	8
	.type	_Z20sort_pairs_segmentedILj256ELj4ELj8EiN10test_utils4lessEEvPKT2_PS2_PKjT3_,@function
_Z20sort_pairs_segmentedILj256ELj4ELj8EiN10test_utils4lessEEvPKT2_PS2_PKjT3_: ; @_Z20sort_pairs_segmentedILj256ELj4ELj8EiN10test_utils4lessEEvPKT2_PS2_PKjT3_
; %bb.0:
	s_clause 0x1
	s_load_b64 s[2:3], s[0:1], 0x10
	s_load_b128 s[16:19], s[0:1], 0x0
	v_lshrrev_b32_e32 v21, 2, v0
	v_mov_b32_e32 v1, 0
	s_delay_alu instid0(VALU_DEP_2) | instskip(NEXT) | instid1(VALU_DEP_1)
	v_lshl_or_b32 v0, s15, 6, v21
	v_lshlrev_b64 v[2:3], 2, v[0:1]
	v_lshlrev_b32_e32 v0, 5, v0
	s_waitcnt lgkmcnt(0)
	s_delay_alu instid0(VALU_DEP_2) | instskip(NEXT) | instid1(VALU_DEP_3)
	v_add_co_u32 v2, vcc_lo, s2, v2
	v_add_co_ci_u32_e32 v3, vcc_lo, s3, v3, vcc_lo
	global_load_b32 v13, v[2:3], off
	v_mbcnt_lo_u32_b32 v2, -1, 0
	s_delay_alu instid0(VALU_DEP_1) | instskip(SKIP_1) | instid1(VALU_DEP_2)
	v_lshlrev_b32_e32 v22, 3, v2
	v_lshlrev_b64 v[8:9], 2, v[0:1]
	v_and_b32_e32 v14, 24, v22
	s_delay_alu instid0(VALU_DEP_2) | instskip(NEXT) | instid1(VALU_DEP_3)
	v_add_co_u32 v0, vcc_lo, s16, v8
	v_add_co_ci_u32_e32 v1, vcc_lo, s17, v9, vcc_lo
	s_delay_alu instid0(VALU_DEP_3) | instskip(NEXT) | instid1(VALU_DEP_1)
	v_lshlrev_b32_e32 v12, 2, v14
	v_add_co_u32 v10, vcc_lo, v0, v12
	s_delay_alu instid0(VALU_DEP_3)
	v_add_co_ci_u32_e32 v11, vcc_lo, 0, v1, vcc_lo
                                        ; implicit-def: $vgpr0_vgpr1_vgpr2_vgpr3_vgpr4_vgpr5_vgpr6_vgpr7
	s_waitcnt vmcnt(0)
	v_cmp_lt_u32_e32 vcc_lo, v14, v13
	s_and_saveexec_b32 s0, vcc_lo
	s_cbranch_execz .LBB11_2
; %bb.1:
	global_load_b32 v0, v[10:11], off
.LBB11_2:
	s_or_b32 exec_lo, exec_lo, s0
	v_or_b32_e32 v23, 1, v14
	s_delay_alu instid0(VALU_DEP_1) | instskip(NEXT) | instid1(VALU_DEP_1)
	v_cmp_lt_u32_e64 s0, v23, v13
	s_and_saveexec_b32 s1, s0
	s_cbranch_execz .LBB11_4
; %bb.3:
	global_load_b32 v1, v[10:11], off offset:4
.LBB11_4:
	s_or_b32 exec_lo, exec_lo, s1
	v_or_b32_e32 v24, 2, v14
	s_delay_alu instid0(VALU_DEP_1) | instskip(NEXT) | instid1(VALU_DEP_1)
	v_cmp_lt_u32_e64 s1, v24, v13
	s_and_saveexec_b32 s2, s1
	s_cbranch_execz .LBB11_6
; %bb.5:
	global_load_b32 v2, v[10:11], off offset:8
.LBB11_6:
	;; [unrolled: 9-line block ×7, first 2 shown]
	s_or_b32 exec_lo, exec_lo, s7
	v_cmp_lt_i32_e64 s9, v28, v13
	v_cmp_lt_i32_e64 s10, v29, v13
	;; [unrolled: 1-line block ×5, first 2 shown]
	s_waitcnt vmcnt(0)
	v_add_nc_u32_e32 v10, 1, v6
	s_or_b32 s9, s10, s9
	v_cmp_lt_i32_e64 s8, v24, v13
	v_cndmask_b32_e64 v6, 0x7fffffff, v6, s9
	s_or_b32 s9, s9, s12
	v_add_nc_u32_e32 v11, 1, v5
	v_cndmask_b32_e64 v5, 0x7fffffff, v5, s9
	s_or_b32 s9, s9, s13
	v_cmp_lt_i32_e64 s7, v23, v13
	v_cndmask_b32_e64 v23, 0x7fffffff, v4, s9
	s_or_b32 s9, s9, s11
	v_add_nc_u32_e32 v19, 1, v0
	s_or_b32 s8, s9, s8
	v_add_nc_u32_e32 v20, 1, v1
	;; [unrolled: 2-line block ×3, first 2 shown]
	v_add_nc_u32_e32 v18, 1, v3
	v_add_nc_u32_e32 v16, 1, v4
	;; [unrolled: 1-line block ×3, first 2 shown]
	v_cndmask_b32_e64 v7, 0x7fffffff, v7, s10
	v_cndmask_b32_e64 v25, 0x7fffffff, v3, s9
	;; [unrolled: 1-line block ×4, first 2 shown]
	s_mov_b32 s12, exec_lo
	v_cmpx_lt_i32_e64 v14, v13
	s_cbranch_execz .LBB11_20
; %bb.17:
	s_delay_alu instid0(VALU_DEP_2) | instskip(SKIP_2) | instid1(VALU_DEP_2)
	v_cmp_lt_i32_e64 s7, v26, v0
	v_cmp_lt_i32_e64 s8, v25, v24
	s_mov_b32 s13, exec_lo
	v_cndmask_b32_e64 v1, v20, v19, s7
	v_cndmask_b32_e64 v2, v19, v20, s7
	;; [unrolled: 1-line block ×5, first 2 shown]
	v_cmp_lt_i32_e64 s7, v5, v23
	v_cndmask_b32_e64 v17, v17, v18, s8
	v_cndmask_b32_e64 v18, v25, v24, s8
	;; [unrolled: 1-line block ×3, first 2 shown]
	v_cmp_lt_i32_e64 s8, v7, v6
	v_cndmask_b32_e64 v20, v11, v16, s7
	v_cndmask_b32_e64 v11, v16, v11, s7
	;; [unrolled: 1-line block ×5, first 2 shown]
	v_cmp_lt_i32_e64 s7, v19, v0
	v_cndmask_b32_e64 v10, v10, v15, s8
	v_cndmask_b32_e64 v15, v7, v6, s8
	v_cndmask_b32_e64 v6, v6, v7, s8
	v_cmp_lt_i32_e64 s8, v5, v18
	v_cndmask_b32_e64 v7, v17, v1, s7
	v_cndmask_b32_e64 v1, v1, v17, s7
	;; [unrolled: 1-line block ×4, first 2 shown]
	v_cmp_lt_i32_e64 s7, v6, v16
	v_cndmask_b32_e64 v19, v11, v4, s8
	v_cndmask_b32_e64 v4, v4, v11, s8
	;; [unrolled: 1-line block ×6, first 2 shown]
	v_cmp_lt_i32_e64 s8, v0, v3
	v_cndmask_b32_e64 v20, v6, v16, s7
	v_cndmask_b32_e64 v6, v16, v6, s7
	v_cmp_lt_i32_e64 s7, v5, v17
	s_delay_alu instid0(VALU_DEP_4)
	v_cndmask_b32_e64 v16, v1, v2, s8
	v_cndmask_b32_e64 v1, v2, v1, s8
	;; [unrolled: 1-line block ×4, first 2 shown]
	v_cmp_lt_i32_e64 s8, v6, v11
	v_cndmask_b32_e64 v3, v4, v7, s7
	v_cndmask_b32_e64 v4, v7, v4, s7
	;; [unrolled: 1-line block ×5, first 2 shown]
	v_cmp_lt_i32_e64 s7, v15, v20
	v_cndmask_b32_e64 v10, v19, v10, s8
	v_cndmask_b32_e64 v19, v6, v11, s8
	;; [unrolled: 1-line block ×3, first 2 shown]
	v_cmp_lt_i32_e64 s8, v5, v0
	v_cndmask_b32_e64 v11, v23, v18, s7
	v_cndmask_b32_e64 v18, v18, v23, s7
	;; [unrolled: 1-line block ×4, first 2 shown]
	v_cmp_lt_i32_e64 s7, v6, v7
	v_cndmask_b32_e64 v20, v4, v16, s8
	v_cndmask_b32_e64 v4, v16, v4, s8
	;; [unrolled: 1-line block ×6, first 2 shown]
	v_cmp_lt_i32_e64 s8, v15, v19
	v_cndmask_b32_e64 v10, v6, v7, s7
	v_cndmask_b32_e64 v6, v7, v6, s7
	v_cmp_lt_i32_e64 s7, v0, v2
	s_delay_alu instid0(VALU_DEP_4)
	v_cndmask_b32_e64 v7, v18, v17, s8
	v_cndmask_b32_e64 v17, v17, v18, s8
	;; [unrolled: 1-line block ×4, first 2 shown]
	v_cmp_lt_i32_e64 s8, v6, v16
	v_cndmask_b32_e64 v19, v4, v1, s7
	v_cndmask_b32_e64 v1, v1, v4, s7
	;; [unrolled: 1-line block ×5, first 2 shown]
	v_cmp_lt_i32_e64 s7, v15, v10
	v_cndmask_b32_e64 v3, v20, v3, s8
	v_cndmask_b32_e64 v20, v6, v16, s8
	;; [unrolled: 1-line block ×3, first 2 shown]
	v_cmp_lt_i32_e64 s8, v23, v18
	v_cndmask_b32_e64 v16, v17, v5, s7
	v_cndmask_b32_e64 v5, v5, v17, s7
	;; [unrolled: 1-line block ×6, first 2 shown]
	v_cmp_lt_i32_e64 s7, v6, v0
	v_cndmask_b32_e64 v7, v7, v11, s8
	v_cndmask_b32_e64 v11, v23, v18, s8
	v_cmp_lt_i32_e64 s8, v10, v20
	v_cmp_lt_i32_e64 s9, v15, v17
	v_cndmask_b32_e64 v23, v3, v19, s7
	v_cndmask_b32_e64 v3, v19, v3, s7
	;; [unrolled: 1-line block ×12, first 2 shown]
	v_cmp_lt_i32_e64 s7, v6, v24
	v_cmp_lt_i32_e64 s8, v10, v19
	;; [unrolled: 1-line block ×3, first 2 shown]
	s_delay_alu instid0(VALU_DEP_3) | instskip(NEXT) | instid1(VALU_DEP_3)
	v_cndmask_b32_e64 v29, v6, v24, s7
	v_cndmask_b32_e64 v30, v10, v19, s8
	;; [unrolled: 1-line block ×3, first 2 shown]
	s_delay_alu instid0(VALU_DEP_4)
	v_cndmask_b32_e64 v15, v7, v25, s9
	v_cndmask_b32_e64 v27, v25, v7, s9
	;; [unrolled: 1-line block ×5, first 2 shown]
	v_cmp_lt_i32_e64 s8, v11, v28
	v_cndmask_b32_e64 v5, v17, v26, s9
	v_cmp_lt_i32_e64 s9, v19, v29
	v_cmp_lt_i32_e64 s10, v25, v30
	v_cndmask_b32_e64 v16, v3, v1, s7
	v_cndmask_b32_e64 v0, v24, v6, s7
	;; [unrolled: 1-line block ×9, first 2 shown]
	v_mov_b32_e32 v11, v15
	v_cmpx_lt_i32_e64 v6, v5
; %bb.18:
	v_mov_b32_e32 v17, v6
	v_swap_b32 v6, v5
	v_dual_mov_b32 v11, v10 :: v_dual_mov_b32 v10, v15
; %bb.19:
	s_or_b32 exec_lo, exec_lo, s13
	v_cndmask_b32_e64 v19, v1, v3, s7
	v_cndmask_b32_e64 v15, v2, v4, s8
	;; [unrolled: 1-line block ×6, first 2 shown]
.LBB11_20:
	s_or_b32 exec_lo, exec_lo, s12
	v_and_b32_e32 v1, 16, v22
	v_and_b32_e32 v2, 8, v22
	s_mov_b32 s9, 0
	s_mov_b32 s8, exec_lo
	s_delay_alu instid0(VALU_DEP_2) | instskip(NEXT) | instid1(VALU_DEP_2)
	v_min_i32_e32 v27, v13, v1
	v_min_i32_e32 v22, v13, v2
	; wave barrier
	s_delay_alu instid0(VALU_DEP_2) | instskip(SKIP_1) | instid1(VALU_DEP_2)
	v_add_nc_u32_e32 v1, 8, v27
	v_lshlrev_b32_e32 v31, 2, v27
	v_min_i32_e32 v4, v13, v1
	s_delay_alu instid0(VALU_DEP_1) | instskip(SKIP_1) | instid1(VALU_DEP_2)
	v_add_nc_u32_e32 v1, 8, v4
	v_sub_nc_u32_e32 v28, v4, v27
	v_min_i32_e32 v3, v13, v1
	v_mul_u32_u24_e32 v1, 0x84, v21
	s_delay_alu instid0(VALU_DEP_3) | instskip(NEXT) | instid1(VALU_DEP_3)
	v_min_i32_e32 v29, v22, v28
	v_sub_nc_u32_e32 v2, v3, v4
	s_delay_alu instid0(VALU_DEP_1)
	v_sub_nc_u32_e32 v30, v22, v2
	v_cmp_ge_i32_e64 s7, v22, v2
	v_mad_u32_u24 v2, 0x84, v21, v12
	v_mad_u32_u24 v21, 0x84, v21, v31
	ds_store_2addr_b32 v2, v0, v26 offset1:1
	ds_store_2addr_b32 v2, v24, v25 offset0:2 offset1:3
	ds_store_2addr_b32 v2, v23, v5 offset0:4 offset1:5
	ds_store_2addr_b32 v2, v6, v7 offset0:6 offset1:7
	v_cndmask_b32_e64 v28, 0, v30, s7
	; wave barrier
	s_delay_alu instid0(VALU_DEP_1)
	v_cmpx_lt_i32_e64 v28, v29
	s_cbranch_execz .LBB11_24
; %bb.21:
	v_lshlrev_b32_e32 v0, 2, v4
	v_lshlrev_b32_e32 v5, 2, v22
	s_delay_alu instid0(VALU_DEP_1)
	v_add3_u32 v0, v1, v0, v5
	.p2align	6
.LBB11_22:                              ; =>This Inner Loop Header: Depth=1
	v_sub_nc_u32_e32 v5, v29, v28
	s_delay_alu instid0(VALU_DEP_1) | instskip(NEXT) | instid1(VALU_DEP_1)
	v_lshrrev_b32_e32 v6, 31, v5
	v_add_nc_u32_e32 v5, v5, v6
	s_delay_alu instid0(VALU_DEP_1) | instskip(NEXT) | instid1(VALU_DEP_1)
	v_ashrrev_i32_e32 v5, 1, v5
	v_add_nc_u32_e32 v5, v5, v28
	s_delay_alu instid0(VALU_DEP_1) | instskip(SKIP_2) | instid1(VALU_DEP_3)
	v_not_b32_e32 v6, v5
	v_lshl_add_u32 v7, v5, 2, v21
	v_add_nc_u32_e32 v23, 1, v5
	v_lshl_add_u32 v6, v6, 2, v0
	ds_load_b32 v7, v7
	ds_load_b32 v6, v6
	s_waitcnt lgkmcnt(0)
	v_cmp_lt_i32_e64 s7, v6, v7
	s_delay_alu instid0(VALU_DEP_1) | instskip(SKIP_1) | instid1(VALU_DEP_1)
	v_cndmask_b32_e64 v29, v29, v5, s7
	v_cndmask_b32_e64 v28, v23, v28, s7
	v_cmp_ge_i32_e64 s7, v28, v29
	s_delay_alu instid0(VALU_DEP_1) | instskip(NEXT) | instid1(SALU_CYCLE_1)
	s_or_b32 s9, s7, s9
	s_and_not1_b32 exec_lo, exec_lo, s9
	s_cbranch_execnz .LBB11_22
; %bb.23:
	s_or_b32 exec_lo, exec_lo, s9
.LBB11_24:
	s_delay_alu instid0(SALU_CYCLE_1) | instskip(SKIP_3) | instid1(VALU_DEP_3)
	s_or_b32 exec_lo, exec_lo, s8
	v_add_nc_u32_e32 v0, v4, v22
	v_lshl_add_u32 v7, v28, 2, v21
	v_add_nc_u32_e32 v5, v28, v27
                                        ; implicit-def: $vgpr23
                                        ; implicit-def: $vgpr24
	v_sub_nc_u32_e32 v0, v0, v28
	s_delay_alu instid0(VALU_DEP_2) | instskip(NEXT) | instid1(VALU_DEP_2)
	v_cmp_le_i32_e64 s7, v4, v5
	v_lshl_add_u32 v6, v0, 2, v1
	v_cmp_gt_i32_e64 s9, v3, v0
	ds_load_b32 v21, v7
	ds_load_b32 v22, v6
	s_waitcnt lgkmcnt(0)
	v_cmp_lt_i32_e64 s8, v22, v21
	s_delay_alu instid0(VALU_DEP_1) | instskip(NEXT) | instid1(SALU_CYCLE_1)
	s_or_b32 s7, s7, s8
	s_and_b32 s7, s9, s7
	s_delay_alu instid0(SALU_CYCLE_1) | instskip(NEXT) | instid1(SALU_CYCLE_1)
	s_xor_b32 s8, s7, -1
	s_and_saveexec_b32 s9, s8
	s_delay_alu instid0(SALU_CYCLE_1)
	s_xor_b32 s8, exec_lo, s9
	s_cbranch_execz .LBB11_26
; %bb.25:
	ds_load_b32 v24, v7 offset:4
	v_mov_b32_e32 v23, v22
                                        ; implicit-def: $vgpr6
.LBB11_26:
	s_and_not1_saveexec_b32 s8, s8
	s_cbranch_execz .LBB11_28
; %bb.27:
	ds_load_b32 v23, v6 offset:4
	s_waitcnt lgkmcnt(1)
	v_mov_b32_e32 v24, v21
.LBB11_28:
	s_or_b32 exec_lo, exec_lo, s8
	v_add_nc_u32_e32 v6, 1, v5
	v_add_nc_u32_e32 v7, 1, v0
	s_waitcnt lgkmcnt(0)
	v_cmp_lt_i32_e64 s9, v23, v24
                                        ; implicit-def: $vgpr25
	s_delay_alu instid0(VALU_DEP_3) | instskip(NEXT) | instid1(VALU_DEP_3)
	v_cndmask_b32_e64 v6, v6, v5, s7
	v_cndmask_b32_e64 v7, v0, v7, s7
	s_delay_alu instid0(VALU_DEP_2) | instskip(NEXT) | instid1(VALU_DEP_2)
	v_cmp_ge_i32_e64 s8, v6, v4
	v_cmp_lt_i32_e64 s10, v7, v3
	s_delay_alu instid0(VALU_DEP_2)
	s_or_b32 s8, s8, s9
	s_delay_alu instid0(VALU_DEP_1) | instid1(SALU_CYCLE_1)
	s_and_b32 s8, s10, s8
	s_delay_alu instid0(SALU_CYCLE_1) | instskip(NEXT) | instid1(SALU_CYCLE_1)
	s_xor_b32 s9, s8, -1
	s_and_saveexec_b32 s10, s9
	s_delay_alu instid0(SALU_CYCLE_1)
	s_xor_b32 s9, exec_lo, s10
	s_cbranch_execz .LBB11_30
; %bb.29:
	v_lshl_add_u32 v25, v6, 2, v1
	ds_load_b32 v25, v25 offset:4
.LBB11_30:
	s_or_saveexec_b32 s9, s9
	v_mov_b32_e32 v26, v23
	s_xor_b32 exec_lo, exec_lo, s9
	s_cbranch_execz .LBB11_32
; %bb.31:
	s_waitcnt lgkmcnt(0)
	v_lshl_add_u32 v25, v7, 2, v1
	ds_load_b32 v26, v25 offset:4
	v_mov_b32_e32 v25, v24
.LBB11_32:
	s_or_b32 exec_lo, exec_lo, s9
	v_add_nc_u32_e32 v27, 1, v6
	v_add_nc_u32_e32 v28, 1, v7
	s_waitcnt lgkmcnt(0)
	v_cmp_lt_i32_e64 s10, v26, v25
                                        ; implicit-def: $vgpr29
	s_delay_alu instid0(VALU_DEP_3) | instskip(NEXT) | instid1(VALU_DEP_3)
	v_cndmask_b32_e64 v27, v27, v6, s8
	v_cndmask_b32_e64 v28, v7, v28, s8
	s_delay_alu instid0(VALU_DEP_2) | instskip(NEXT) | instid1(VALU_DEP_2)
	v_cmp_ge_i32_e64 s9, v27, v4
	v_cmp_lt_i32_e64 s11, v28, v3
	s_delay_alu instid0(VALU_DEP_2)
	s_or_b32 s9, s9, s10
	s_delay_alu instid0(VALU_DEP_1) | instid1(SALU_CYCLE_1)
	s_and_b32 s9, s11, s9
	s_delay_alu instid0(SALU_CYCLE_1) | instskip(NEXT) | instid1(SALU_CYCLE_1)
	s_xor_b32 s10, s9, -1
	s_and_saveexec_b32 s11, s10
	s_delay_alu instid0(SALU_CYCLE_1)
	s_xor_b32 s10, exec_lo, s11
	s_cbranch_execz .LBB11_34
; %bb.33:
	v_lshl_add_u32 v29, v27, 2, v1
	ds_load_b32 v29, v29 offset:4
.LBB11_34:
	s_or_saveexec_b32 s10, s10
	v_mov_b32_e32 v30, v26
	s_xor_b32 exec_lo, exec_lo, s10
	s_cbranch_execz .LBB11_36
; %bb.35:
	s_waitcnt lgkmcnt(0)
	v_lshl_add_u32 v29, v28, 2, v1
	ds_load_b32 v30, v29 offset:4
	v_mov_b32_e32 v29, v25
.LBB11_36:
	s_or_b32 exec_lo, exec_lo, s10
	v_add_nc_u32_e32 v31, 1, v27
	v_add_nc_u32_e32 v32, 1, v28
	s_waitcnt lgkmcnt(0)
	v_cmp_lt_i32_e64 s11, v30, v29
                                        ; implicit-def: $vgpr33
	s_delay_alu instid0(VALU_DEP_3) | instskip(NEXT) | instid1(VALU_DEP_3)
	v_cndmask_b32_e64 v31, v31, v27, s9
	v_cndmask_b32_e64 v32, v28, v32, s9
	s_delay_alu instid0(VALU_DEP_2) | instskip(NEXT) | instid1(VALU_DEP_2)
	v_cmp_ge_i32_e64 s10, v31, v4
	v_cmp_lt_i32_e64 s12, v32, v3
	s_delay_alu instid0(VALU_DEP_2)
	s_or_b32 s10, s10, s11
	s_delay_alu instid0(VALU_DEP_1) | instid1(SALU_CYCLE_1)
	s_and_b32 s10, s12, s10
	s_delay_alu instid0(SALU_CYCLE_1) | instskip(NEXT) | instid1(SALU_CYCLE_1)
	s_xor_b32 s11, s10, -1
	s_and_saveexec_b32 s12, s11
	s_delay_alu instid0(SALU_CYCLE_1)
	s_xor_b32 s11, exec_lo, s12
	s_cbranch_execz .LBB11_38
; %bb.37:
	v_lshl_add_u32 v33, v31, 2, v1
	ds_load_b32 v33, v33 offset:4
.LBB11_38:
	s_or_saveexec_b32 s11, s11
	v_mov_b32_e32 v34, v30
	s_xor_b32 exec_lo, exec_lo, s11
	s_cbranch_execz .LBB11_40
; %bb.39:
	s_waitcnt lgkmcnt(0)
	v_lshl_add_u32 v33, v32, 2, v1
	ds_load_b32 v34, v33 offset:4
	v_mov_b32_e32 v33, v29
.LBB11_40:
	s_or_b32 exec_lo, exec_lo, s11
	v_add_nc_u32_e32 v35, 1, v31
	v_add_nc_u32_e32 v36, 1, v32
	s_waitcnt lgkmcnt(0)
	v_cmp_lt_i32_e64 s12, v34, v33
                                        ; implicit-def: $vgpr37
	s_delay_alu instid0(VALU_DEP_3) | instskip(NEXT) | instid1(VALU_DEP_3)
	v_cndmask_b32_e64 v35, v35, v31, s10
	v_cndmask_b32_e64 v36, v32, v36, s10
	s_delay_alu instid0(VALU_DEP_2) | instskip(NEXT) | instid1(VALU_DEP_2)
	v_cmp_ge_i32_e64 s11, v35, v4
	v_cmp_lt_i32_e64 s13, v36, v3
	s_delay_alu instid0(VALU_DEP_2)
	s_or_b32 s11, s11, s12
	s_delay_alu instid0(VALU_DEP_1) | instid1(SALU_CYCLE_1)
	s_and_b32 s11, s13, s11
	s_delay_alu instid0(SALU_CYCLE_1) | instskip(NEXT) | instid1(SALU_CYCLE_1)
	s_xor_b32 s12, s11, -1
	s_and_saveexec_b32 s13, s12
	s_delay_alu instid0(SALU_CYCLE_1)
	s_xor_b32 s12, exec_lo, s13
	s_cbranch_execz .LBB11_42
; %bb.41:
	v_lshl_add_u32 v37, v35, 2, v1
	ds_load_b32 v37, v37 offset:4
.LBB11_42:
	s_or_saveexec_b32 s12, s12
	v_mov_b32_e32 v38, v34
	s_xor_b32 exec_lo, exec_lo, s12
	s_cbranch_execz .LBB11_44
; %bb.43:
	s_waitcnt lgkmcnt(0)
	v_lshl_add_u32 v37, v36, 2, v1
	ds_load_b32 v38, v37 offset:4
	v_mov_b32_e32 v37, v33
.LBB11_44:
	s_or_b32 exec_lo, exec_lo, s12
	v_add_nc_u32_e32 v39, 1, v35
	v_add_nc_u32_e32 v41, 1, v36
	s_waitcnt lgkmcnt(0)
	v_cmp_lt_i32_e64 s13, v38, v37
                                        ; implicit-def: $vgpr43
	s_delay_alu instid0(VALU_DEP_3) | instskip(NEXT) | instid1(VALU_DEP_3)
	v_cndmask_b32_e64 v40, v39, v35, s11
	v_cndmask_b32_e64 v41, v36, v41, s11
	s_delay_alu instid0(VALU_DEP_2) | instskip(NEXT) | instid1(VALU_DEP_2)
	v_cmp_ge_i32_e64 s12, v40, v4
	v_cmp_lt_i32_e64 s14, v41, v3
	s_delay_alu instid0(VALU_DEP_2)
	s_or_b32 s12, s12, s13
	s_delay_alu instid0(VALU_DEP_1) | instid1(SALU_CYCLE_1)
	s_and_b32 s12, s14, s12
	s_delay_alu instid0(SALU_CYCLE_1) | instskip(NEXT) | instid1(SALU_CYCLE_1)
	s_xor_b32 s13, s12, -1
	s_and_saveexec_b32 s14, s13
	s_delay_alu instid0(SALU_CYCLE_1)
	s_xor_b32 s13, exec_lo, s14
	s_cbranch_execz .LBB11_46
; %bb.45:
	v_lshl_add_u32 v39, v40, 2, v1
	ds_load_b32 v43, v39 offset:4
.LBB11_46:
	s_or_saveexec_b32 s13, s13
	v_mov_b32_e32 v44, v38
	s_xor_b32 exec_lo, exec_lo, s13
	s_cbranch_execz .LBB11_48
; %bb.47:
	v_lshl_add_u32 v39, v41, 2, v1
	s_waitcnt lgkmcnt(0)
	v_mov_b32_e32 v43, v37
	ds_load_b32 v44, v39 offset:4
.LBB11_48:
	s_or_b32 exec_lo, exec_lo, s13
	v_add_nc_u32_e32 v39, 1, v40
	v_add_nc_u32_e32 v42, 1, v41
	s_waitcnt lgkmcnt(0)
	v_cmp_lt_i32_e64 s14, v44, v43
	s_delay_alu instid0(VALU_DEP_3) | instskip(NEXT) | instid1(VALU_DEP_3)
	v_cndmask_b32_e64 v45, v39, v40, s12
	v_cndmask_b32_e64 v46, v41, v42, s12
                                        ; implicit-def: $vgpr39
	s_delay_alu instid0(VALU_DEP_2) | instskip(NEXT) | instid1(VALU_DEP_2)
	v_cmp_ge_i32_e64 s13, v45, v4
	v_cmp_lt_i32_e64 s15, v46, v3
	s_delay_alu instid0(VALU_DEP_2)
	s_or_b32 s13, s13, s14
	s_delay_alu instid0(VALU_DEP_1) | instid1(SALU_CYCLE_1)
	s_and_b32 s13, s15, s13
	s_delay_alu instid0(SALU_CYCLE_1) | instskip(NEXT) | instid1(SALU_CYCLE_1)
	s_xor_b32 s14, s13, -1
	s_and_saveexec_b32 s15, s14
	s_delay_alu instid0(SALU_CYCLE_1)
	s_xor_b32 s14, exec_lo, s15
	s_cbranch_execz .LBB11_50
; %bb.49:
	v_lshl_add_u32 v39, v45, 2, v1
	ds_load_b32 v39, v39 offset:4
.LBB11_50:
	s_or_saveexec_b32 s14, s14
	v_mov_b32_e32 v42, v44
	s_xor_b32 exec_lo, exec_lo, s14
	s_cbranch_execz .LBB11_52
; %bb.51:
	s_waitcnt lgkmcnt(0)
	v_lshl_add_u32 v39, v46, 2, v1
	ds_load_b32 v42, v39 offset:4
	v_mov_b32_e32 v39, v43
.LBB11_52:
	s_or_b32 exec_lo, exec_lo, s14
	v_add_nc_u32_e32 v48, 1, v45
	v_add_nc_u32_e32 v47, 1, v46
	v_cndmask_b32_e64 v43, v43, v44, s13
	v_cndmask_b32_e64 v44, v45, v46, s13
	;; [unrolled: 1-line block ×4, first 2 shown]
	v_min_i32_e32 v27, 0, v13
	v_cndmask_b32_e64 v46, v46, v47, s13
	v_cndmask_b32_e64 v29, v29, v30, s10
	;; [unrolled: 1-line block ×3, first 2 shown]
	v_cmp_ge_i32_e64 s10, v45, v4
	v_add_nc_u32_e32 v4, 16, v27
	v_cndmask_b32_e64 v33, v33, v34, s11
	v_cndmask_b32_e64 v34, v35, v36, s11
	s_waitcnt lgkmcnt(0)
	v_cmp_lt_i32_e64 s11, v42, v39
	v_cndmask_b32_e64 v37, v37, v38, s12
	v_cndmask_b32_e64 v38, v40, v41, s12
	v_cmp_lt_i32_e64 s12, v46, v3
	v_cndmask_b32_e64 v3, v6, v7, s8
	v_cndmask_b32_e64 v0, v5, v0, s7
	v_min_i32_e32 v7, v13, v4
	s_or_b32 s10, s10, s11
	v_lshl_add_u32 v6, v28, 2, v1
	s_and_b32 s10, s12, s10
	v_lshl_add_u32 v0, v0, 2, v1
	v_cndmask_b32_e64 v5, v45, v46, s10
	v_add_nc_u32_e32 v4, 16, v7
	v_lshl_add_u32 v3, v3, 2, v1
	; wave barrier
	ds_store_2addr_b32 v2, v19, v20 offset1:1
	ds_store_2addr_b32 v2, v17, v18 offset0:2 offset1:3
	ds_store_2addr_b32 v2, v16, v11 offset0:4 offset1:5
	;; [unrolled: 1-line block ×3, first 2 shown]
	v_lshl_add_u32 v10, v30, 2, v1
	v_lshl_add_u32 v11, v34, 2, v1
	; wave barrier
	v_min_i32_e32 v15, v13, v4
	v_lshl_add_u32 v16, v38, 2, v1
	v_lshl_add_u32 v17, v44, 2, v1
	v_lshl_add_u32 v18, v5, 2, v1
	v_min_i32_e32 v14, v13, v14
	ds_load_b32 v0, v0
	ds_load_b32 v3, v3
	;; [unrolled: 1-line block ×8, first 2 shown]
	v_sub_nc_u32_e32 v19, v15, v7
	v_sub_nc_u32_e32 v17, v7, v27
	v_cndmask_b32_e64 v23, v24, v23, s8
	v_cndmask_b32_e64 v20, v25, v26, s9
	;; [unrolled: 1-line block ×3, first 2 shown]
	v_sub_nc_u32_e32 v16, v14, v19
	v_cmp_ge_i32_e64 s8, v14, v19
	v_min_i32_e32 v18, v14, v17
	v_cndmask_b32_e64 v19, v21, v22, s7
	v_lshl_add_u32 v17, v27, 2, v1
	s_mov_b32 s9, 0
	v_cndmask_b32_e64 v16, 0, v16, s8
	s_mov_b32 s8, exec_lo
	; wave barrier
	ds_store_2addr_b32 v2, v19, v23 offset1:1
	ds_store_2addr_b32 v2, v20, v29 offset0:2 offset1:3
	ds_store_2addr_b32 v2, v33, v37 offset0:4 offset1:5
	;; [unrolled: 1-line block ×3, first 2 shown]
	; wave barrier
	v_cmpx_lt_i32_e64 v16, v18
	s_cbranch_execz .LBB11_56
; %bb.53:
	v_lshlrev_b32_e32 v19, 2, v7
	v_lshlrev_b32_e32 v20, 2, v14
	s_delay_alu instid0(VALU_DEP_1)
	v_add3_u32 v19, v1, v19, v20
	.p2align	6
.LBB11_54:                              ; =>This Inner Loop Header: Depth=1
	v_sub_nc_u32_e32 v20, v18, v16
	s_delay_alu instid0(VALU_DEP_1) | instskip(NEXT) | instid1(VALU_DEP_1)
	v_lshrrev_b32_e32 v21, 31, v20
	v_add_nc_u32_e32 v20, v20, v21
	s_delay_alu instid0(VALU_DEP_1) | instskip(NEXT) | instid1(VALU_DEP_1)
	v_ashrrev_i32_e32 v20, 1, v20
	v_add_nc_u32_e32 v20, v20, v16
	s_delay_alu instid0(VALU_DEP_1) | instskip(SKIP_2) | instid1(VALU_DEP_3)
	v_not_b32_e32 v21, v20
	v_lshl_add_u32 v22, v20, 2, v17
	v_add_nc_u32_e32 v23, 1, v20
	v_lshl_add_u32 v21, v21, 2, v19
	ds_load_b32 v22, v22
	ds_load_b32 v21, v21
	s_waitcnt lgkmcnt(0)
	v_cmp_lt_i32_e64 s7, v21, v22
	s_delay_alu instid0(VALU_DEP_1) | instskip(SKIP_1) | instid1(VALU_DEP_1)
	v_cndmask_b32_e64 v18, v18, v20, s7
	v_cndmask_b32_e64 v16, v23, v16, s7
	v_cmp_ge_i32_e64 s7, v16, v18
	s_delay_alu instid0(VALU_DEP_1) | instskip(NEXT) | instid1(SALU_CYCLE_1)
	s_or_b32 s9, s7, s9
	s_and_not1_b32 exec_lo, exec_lo, s9
	s_cbranch_execnz .LBB11_54
; %bb.55:
	s_or_b32 exec_lo, exec_lo, s9
.LBB11_56:
	s_delay_alu instid0(SALU_CYCLE_1) | instskip(SKIP_2) | instid1(VALU_DEP_2)
	s_or_b32 exec_lo, exec_lo, s8
	v_add_nc_u32_e32 v14, v7, v14
	v_lshl_add_u32 v22, v16, 2, v17
                                        ; implicit-def: $vgpr19
                                        ; implicit-def: $vgpr20
	v_sub_nc_u32_e32 v14, v14, v16
	v_add_nc_u32_e32 v16, v16, v27
	s_delay_alu instid0(VALU_DEP_2) | instskip(NEXT) | instid1(VALU_DEP_2)
	v_lshl_add_u32 v21, v14, 2, v1
	v_cmp_le_i32_e64 s7, v7, v16
	v_cmp_gt_i32_e64 s9, v15, v14
	ds_load_b32 v17, v22
	ds_load_b32 v18, v21
	s_waitcnt lgkmcnt(0)
	v_cmp_lt_i32_e64 s8, v18, v17
	s_delay_alu instid0(VALU_DEP_1) | instskip(NEXT) | instid1(SALU_CYCLE_1)
	s_or_b32 s7, s7, s8
	s_and_b32 s7, s9, s7
	s_delay_alu instid0(SALU_CYCLE_1) | instskip(NEXT) | instid1(SALU_CYCLE_1)
	s_xor_b32 s8, s7, -1
	s_and_saveexec_b32 s9, s8
	s_delay_alu instid0(SALU_CYCLE_1)
	s_xor_b32 s8, exec_lo, s9
	s_cbranch_execz .LBB11_58
; %bb.57:
	ds_load_b32 v20, v22 offset:4
	v_mov_b32_e32 v19, v18
                                        ; implicit-def: $vgpr21
.LBB11_58:
	s_and_not1_saveexec_b32 s8, s8
	s_cbranch_execz .LBB11_60
; %bb.59:
	ds_load_b32 v19, v21 offset:4
	s_waitcnt lgkmcnt(1)
	v_mov_b32_e32 v20, v17
.LBB11_60:
	s_or_b32 exec_lo, exec_lo, s8
	v_add_nc_u32_e32 v21, 1, v16
	v_add_nc_u32_e32 v22, 1, v14
	s_waitcnt lgkmcnt(0)
	v_cmp_lt_i32_e64 s9, v19, v20
	s_delay_alu instid0(VALU_DEP_3) | instskip(NEXT) | instid1(VALU_DEP_3)
	v_cndmask_b32_e64 v23, v21, v16, s7
	v_cndmask_b32_e64 v24, v14, v22, s7
                                        ; implicit-def: $vgpr21
	s_delay_alu instid0(VALU_DEP_2) | instskip(NEXT) | instid1(VALU_DEP_2)
	v_cmp_ge_i32_e64 s8, v23, v7
	v_cmp_lt_i32_e64 s10, v24, v15
	s_delay_alu instid0(VALU_DEP_2)
	s_or_b32 s8, s8, s9
	s_delay_alu instid0(VALU_DEP_1) | instid1(SALU_CYCLE_1)
	s_and_b32 s8, s10, s8
	s_delay_alu instid0(SALU_CYCLE_1) | instskip(NEXT) | instid1(SALU_CYCLE_1)
	s_xor_b32 s9, s8, -1
	s_and_saveexec_b32 s10, s9
	s_delay_alu instid0(SALU_CYCLE_1)
	s_xor_b32 s9, exec_lo, s10
	s_cbranch_execz .LBB11_62
; %bb.61:
	v_lshl_add_u32 v21, v23, 2, v1
	ds_load_b32 v21, v21 offset:4
.LBB11_62:
	s_or_saveexec_b32 s9, s9
	v_mov_b32_e32 v22, v19
	s_xor_b32 exec_lo, exec_lo, s9
	s_cbranch_execz .LBB11_64
; %bb.63:
	s_waitcnt lgkmcnt(0)
	v_lshl_add_u32 v21, v24, 2, v1
	ds_load_b32 v22, v21 offset:4
	v_mov_b32_e32 v21, v20
.LBB11_64:
	s_or_b32 exec_lo, exec_lo, s9
	v_add_nc_u32_e32 v25, 1, v23
	v_add_nc_u32_e32 v26, 1, v24
	s_waitcnt lgkmcnt(0)
	v_cmp_lt_i32_e64 s10, v22, v21
	s_delay_alu instid0(VALU_DEP_3) | instskip(NEXT) | instid1(VALU_DEP_3)
	v_cndmask_b32_e64 v27, v25, v23, s8
	v_cndmask_b32_e64 v28, v24, v26, s8
                                        ; implicit-def: $vgpr25
	s_delay_alu instid0(VALU_DEP_2) | instskip(NEXT) | instid1(VALU_DEP_2)
	v_cmp_ge_i32_e64 s9, v27, v7
	v_cmp_lt_i32_e64 s11, v28, v15
	s_delay_alu instid0(VALU_DEP_2)
	s_or_b32 s9, s9, s10
	s_delay_alu instid0(VALU_DEP_1) | instid1(SALU_CYCLE_1)
	s_and_b32 s9, s11, s9
	s_delay_alu instid0(SALU_CYCLE_1) | instskip(NEXT) | instid1(SALU_CYCLE_1)
	s_xor_b32 s10, s9, -1
	s_and_saveexec_b32 s11, s10
	s_delay_alu instid0(SALU_CYCLE_1)
	s_xor_b32 s10, exec_lo, s11
	s_cbranch_execz .LBB11_66
; %bb.65:
	v_lshl_add_u32 v25, v27, 2, v1
	ds_load_b32 v25, v25 offset:4
.LBB11_66:
	s_or_saveexec_b32 s10, s10
	v_mov_b32_e32 v26, v22
	s_xor_b32 exec_lo, exec_lo, s10
	s_cbranch_execz .LBB11_68
; %bb.67:
	s_waitcnt lgkmcnt(0)
	v_lshl_add_u32 v25, v28, 2, v1
	ds_load_b32 v26, v25 offset:4
	v_mov_b32_e32 v25, v21
.LBB11_68:
	s_or_b32 exec_lo, exec_lo, s10
	v_add_nc_u32_e32 v29, 1, v27
	v_add_nc_u32_e32 v30, 1, v28
	s_waitcnt lgkmcnt(0)
	v_cmp_lt_i32_e64 s11, v26, v25
	s_delay_alu instid0(VALU_DEP_3) | instskip(NEXT) | instid1(VALU_DEP_3)
	v_cndmask_b32_e64 v31, v29, v27, s9
	v_cndmask_b32_e64 v32, v28, v30, s9
                                        ; implicit-def: $vgpr29
	s_delay_alu instid0(VALU_DEP_2) | instskip(NEXT) | instid1(VALU_DEP_2)
	v_cmp_ge_i32_e64 s10, v31, v7
	v_cmp_lt_i32_e64 s12, v32, v15
	s_delay_alu instid0(VALU_DEP_2)
	s_or_b32 s10, s10, s11
	s_delay_alu instid0(VALU_DEP_1) | instid1(SALU_CYCLE_1)
	s_and_b32 s10, s12, s10
	s_delay_alu instid0(SALU_CYCLE_1) | instskip(NEXT) | instid1(SALU_CYCLE_1)
	s_xor_b32 s11, s10, -1
	s_and_saveexec_b32 s12, s11
	s_delay_alu instid0(SALU_CYCLE_1)
	s_xor_b32 s11, exec_lo, s12
	s_cbranch_execz .LBB11_70
; %bb.69:
	v_lshl_add_u32 v29, v31, 2, v1
	ds_load_b32 v29, v29 offset:4
.LBB11_70:
	s_or_saveexec_b32 s11, s11
	v_mov_b32_e32 v30, v26
	s_xor_b32 exec_lo, exec_lo, s11
	s_cbranch_execz .LBB11_72
; %bb.71:
	s_waitcnt lgkmcnt(0)
	v_lshl_add_u32 v29, v32, 2, v1
	ds_load_b32 v30, v29 offset:4
	v_mov_b32_e32 v29, v25
.LBB11_72:
	s_or_b32 exec_lo, exec_lo, s11
	v_add_nc_u32_e32 v33, 1, v31
	v_add_nc_u32_e32 v34, 1, v32
	s_waitcnt lgkmcnt(0)
	v_cmp_lt_i32_e64 s12, v30, v29
	s_delay_alu instid0(VALU_DEP_3) | instskip(NEXT) | instid1(VALU_DEP_3)
	v_cndmask_b32_e64 v35, v33, v31, s10
	v_cndmask_b32_e64 v36, v32, v34, s10
                                        ; implicit-def: $vgpr33
	s_delay_alu instid0(VALU_DEP_2) | instskip(NEXT) | instid1(VALU_DEP_2)
	v_cmp_ge_i32_e64 s11, v35, v7
	v_cmp_lt_i32_e64 s13, v36, v15
	s_delay_alu instid0(VALU_DEP_2)
	s_or_b32 s11, s11, s12
	s_delay_alu instid0(VALU_DEP_1) | instid1(SALU_CYCLE_1)
	s_and_b32 s11, s13, s11
	s_delay_alu instid0(SALU_CYCLE_1) | instskip(NEXT) | instid1(SALU_CYCLE_1)
	s_xor_b32 s12, s11, -1
	s_and_saveexec_b32 s13, s12
	s_delay_alu instid0(SALU_CYCLE_1)
	s_xor_b32 s12, exec_lo, s13
	s_cbranch_execz .LBB11_74
; %bb.73:
	v_lshl_add_u32 v33, v35, 2, v1
	ds_load_b32 v33, v33 offset:4
.LBB11_74:
	s_or_saveexec_b32 s12, s12
	v_mov_b32_e32 v34, v30
	s_xor_b32 exec_lo, exec_lo, s12
	s_cbranch_execz .LBB11_76
; %bb.75:
	s_waitcnt lgkmcnt(0)
	v_lshl_add_u32 v33, v36, 2, v1
	ds_load_b32 v34, v33 offset:4
	v_mov_b32_e32 v33, v29
.LBB11_76:
	s_or_b32 exec_lo, exec_lo, s12
	v_add_nc_u32_e32 v37, 1, v35
	v_add_nc_u32_e32 v38, 1, v36
	s_waitcnt lgkmcnt(0)
	v_cmp_lt_i32_e64 s13, v34, v33
	s_delay_alu instid0(VALU_DEP_3) | instskip(NEXT) | instid1(VALU_DEP_3)
	v_cndmask_b32_e64 v39, v37, v35, s11
	v_cndmask_b32_e64 v40, v36, v38, s11
                                        ; implicit-def: $vgpr37
	s_delay_alu instid0(VALU_DEP_2) | instskip(NEXT) | instid1(VALU_DEP_2)
	v_cmp_ge_i32_e64 s12, v39, v7
	v_cmp_lt_i32_e64 s14, v40, v15
	s_delay_alu instid0(VALU_DEP_2)
	s_or_b32 s12, s12, s13
	s_delay_alu instid0(VALU_DEP_1) | instid1(SALU_CYCLE_1)
	s_and_b32 s12, s14, s12
	s_delay_alu instid0(SALU_CYCLE_1) | instskip(NEXT) | instid1(SALU_CYCLE_1)
	s_xor_b32 s13, s12, -1
	s_and_saveexec_b32 s14, s13
	s_delay_alu instid0(SALU_CYCLE_1)
	s_xor_b32 s13, exec_lo, s14
	s_cbranch_execz .LBB11_78
; %bb.77:
	v_lshl_add_u32 v37, v39, 2, v1
	ds_load_b32 v37, v37 offset:4
.LBB11_78:
	s_or_saveexec_b32 s13, s13
	v_mov_b32_e32 v38, v34
	s_xor_b32 exec_lo, exec_lo, s13
	s_cbranch_execz .LBB11_80
; %bb.79:
	s_waitcnt lgkmcnt(0)
	v_lshl_add_u32 v37, v40, 2, v1
	ds_load_b32 v38, v37 offset:4
	v_mov_b32_e32 v37, v33
.LBB11_80:
	s_or_b32 exec_lo, exec_lo, s13
	v_add_nc_u32_e32 v41, 1, v39
	v_add_nc_u32_e32 v42, 1, v40
	s_waitcnt lgkmcnt(0)
	v_cmp_lt_i32_e64 s14, v38, v37
                                        ; implicit-def: $vgpr44
                                        ; implicit-def: $vgpr43
	s_delay_alu instid0(VALU_DEP_3) | instskip(NEXT) | instid1(VALU_DEP_3)
	v_cndmask_b32_e64 v45, v41, v39, s12
	v_cndmask_b32_e64 v41, v40, v42, s12
	s_delay_alu instid0(VALU_DEP_2) | instskip(NEXT) | instid1(VALU_DEP_2)
	v_cmp_ge_i32_e64 s13, v45, v7
	v_cmp_lt_i32_e64 s15, v41, v15
	s_delay_alu instid0(VALU_DEP_2)
	s_or_b32 s13, s13, s14
	s_delay_alu instid0(VALU_DEP_1) | instid1(SALU_CYCLE_1)
	s_and_b32 s13, s15, s13
	s_delay_alu instid0(SALU_CYCLE_1) | instskip(NEXT) | instid1(SALU_CYCLE_1)
	s_xor_b32 s14, s13, -1
	s_and_saveexec_b32 s15, s14
	s_delay_alu instid0(SALU_CYCLE_1)
	s_xor_b32 s14, exec_lo, s15
	s_cbranch_execz .LBB11_82
; %bb.81:
	v_lshl_add_u32 v42, v45, 2, v1
	v_add_nc_u32_e32 v43, 1, v45
	ds_load_b32 v44, v42 offset:4
.LBB11_82:
	s_or_saveexec_b32 s14, s14
	v_mov_b32_e32 v42, v45
	v_mov_b32_e32 v46, v38
	s_xor_b32 exec_lo, exec_lo, s14
	s_cbranch_execz .LBB11_84
; %bb.83:
	v_lshl_add_u32 v42, v41, 2, v1
	s_waitcnt lgkmcnt(0)
	v_dual_mov_b32 v43, v45 :: v_dual_add_nc_u32 v44, 1, v41
	ds_load_b32 v46, v42 offset:4
	v_dual_mov_b32 v42, v41 :: v_dual_mov_b32 v41, v44
	v_mov_b32_e32 v44, v37
.LBB11_84:
	s_or_b32 exec_lo, exec_lo, s14
	v_cmp_ge_i32_e64 s14, v43, v7
	s_waitcnt lgkmcnt(0)
	s_delay_alu instid0(VALU_DEP_2)
	v_cmp_lt_i32_e64 s15, v46, v44
	v_cmp_lt_i32_e64 s16, v41, v15
	v_cndmask_b32_e64 v23, v23, v24, s8
	v_cndmask_b32_e64 v27, v27, v28, s9
	;; [unrolled: 1-line block ×3, first 2 shown]
	s_or_b32 s14, s14, s15
	v_cndmask_b32_e64 v35, v35, v36, s11
	s_and_b32 s14, s16, s14
	v_cndmask_b32_e64 v39, v39, v40, s12
	v_cndmask_b32_e64 v24, v43, v41, s14
	; wave barrier
	ds_store_2addr_b32 v2, v0, v3 offset1:1
	ds_store_2addr_b32 v2, v4, v5 offset0:2 offset1:3
	ds_store_2addr_b32 v2, v6, v10 offset0:4 offset1:5
	ds_store_2addr_b32 v2, v11, v13 offset0:6 offset1:7
	v_lshl_add_u32 v0, v23, 2, v1
	v_lshl_add_u32 v2, v27, 2, v1
	;; [unrolled: 1-line block ×5, first 2 shown]
	; wave barrier
	v_lshl_add_u32 v6, v42, 2, v1
	v_lshl_add_u32 v10, v24, 2, v1
	ds_load_b32 v24, v0
	ds_load_b32 v23, v2
	;; [unrolled: 1-line block ×7, first 2 shown]
	v_cndmask_b32_e64 v7, v44, v46, s14
	v_cndmask_b32_e64 v5, v17, v18, s7
	;; [unrolled: 1-line block ×8, first 2 shown]
	s_and_saveexec_b32 s8, vcc_lo
	s_cbranch_execz .LBB11_86
; %bb.85:
	v_cndmask_b32_e64 v14, v16, v14, s7
	s_delay_alu instid0(VALU_DEP_1)
	v_lshl_add_u32 v1, v14, 2, v1
	ds_load_b32 v1, v1
	s_waitcnt lgkmcnt(0)
	v_add_nc_u32_e32 v5, v1, v5
.LBB11_86:
	s_or_b32 exec_lo, exec_lo, s8
	s_waitcnt lgkmcnt(6)
	v_add_nc_u32_e32 v1, v18, v24
	s_waitcnt lgkmcnt(5)
	v_add_nc_u32_e32 v16, v6, v23
	;; [unrolled: 2-line block ×4, first 2 shown]
	v_add_nc_u32_e32 v19, v10, v11
	v_cndmask_b32_e64 v14, v18, v1, s0
	s_waitcnt lgkmcnt(1)
	v_add_nc_u32_e32 v1, v17, v2
	v_cndmask_b32_e64 v11, v6, v16, s1
	v_cndmask_b32_e64 v6, v13, v4, s3
	;; [unrolled: 1-line block ×3, first 2 shown]
	s_waitcnt lgkmcnt(0)
	v_add_nc_u32_e32 v0, v7, v0
	v_cndmask_b32_e64 v3, v17, v1, s5
	v_add_co_u32 v1, s7, s18, v8
	s_delay_alu instid0(VALU_DEP_1) | instskip(NEXT) | instid1(VALU_DEP_4)
	v_add_co_ci_u32_e64 v8, s7, s19, v9, s7
	v_cndmask_b32_e64 v2, v7, v0, s6
	s_delay_alu instid0(VALU_DEP_3) | instskip(SKIP_1) | instid1(VALU_DEP_4)
	v_add_co_u32 v0, s7, v1, v12
	v_cndmask_b32_e64 v10, v10, v19, s2
	v_add_co_ci_u32_e64 v1, s7, 0, v8, s7
	s_and_saveexec_b32 s7, vcc_lo
	s_delay_alu instid0(SALU_CYCLE_1)
	s_xor_b32 s7, exec_lo, s7
	s_cbranch_execnz .LBB11_95
; %bb.87:
	s_or_b32 exec_lo, exec_lo, s7
	s_and_saveexec_b32 s7, s0
	s_cbranch_execnz .LBB11_96
.LBB11_88:
	s_or_b32 exec_lo, exec_lo, s7
	s_and_saveexec_b32 s0, s1
	s_cbranch_execnz .LBB11_97
.LBB11_89:
	s_or_b32 exec_lo, exec_lo, s0
	s_and_saveexec_b32 s0, s2
	s_cbranch_execnz .LBB11_98
.LBB11_90:
	s_or_b32 exec_lo, exec_lo, s0
	s_and_saveexec_b32 s0, s3
	s_cbranch_execnz .LBB11_99
.LBB11_91:
	s_or_b32 exec_lo, exec_lo, s0
	s_and_saveexec_b32 s0, s4
	s_cbranch_execnz .LBB11_100
.LBB11_92:
	s_or_b32 exec_lo, exec_lo, s0
	s_and_saveexec_b32 s0, s5
	s_cbranch_execnz .LBB11_101
.LBB11_93:
	s_or_b32 exec_lo, exec_lo, s0
	s_and_saveexec_b32 s0, s6
	s_cbranch_execnz .LBB11_102
.LBB11_94:
	s_nop 0
	s_sendmsg sendmsg(MSG_DEALLOC_VGPRS)
	s_endpgm
.LBB11_95:
	global_store_b32 v[0:1], v5, off
	s_or_b32 exec_lo, exec_lo, s7
	s_and_saveexec_b32 s7, s0
	s_cbranch_execz .LBB11_88
.LBB11_96:
	global_store_b32 v[0:1], v14, off offset:4
	s_or_b32 exec_lo, exec_lo, s7
	s_and_saveexec_b32 s0, s1
	s_cbranch_execz .LBB11_89
.LBB11_97:
	global_store_b32 v[0:1], v11, off offset:8
	s_or_b32 exec_lo, exec_lo, s0
	s_and_saveexec_b32 s0, s2
	s_cbranch_execz .LBB11_90
.LBB11_98:
	global_store_b32 v[0:1], v10, off offset:12
	s_or_b32 exec_lo, exec_lo, s0
	s_and_saveexec_b32 s0, s3
	s_cbranch_execz .LBB11_91
.LBB11_99:
	global_store_b32 v[0:1], v6, off offset:16
	s_or_b32 exec_lo, exec_lo, s0
	s_and_saveexec_b32 s0, s4
	s_cbranch_execz .LBB11_92
.LBB11_100:
	global_store_b32 v[0:1], v4, off offset:20
	s_or_b32 exec_lo, exec_lo, s0
	s_and_saveexec_b32 s0, s5
	s_cbranch_execz .LBB11_93
.LBB11_101:
	global_store_b32 v[0:1], v3, off offset:24
	s_or_b32 exec_lo, exec_lo, s0
	s_and_saveexec_b32 s0, s6
	s_cbranch_execz .LBB11_94
.LBB11_102:
	global_store_b32 v[0:1], v2, off offset:28
	s_nop 0
	s_sendmsg sendmsg(MSG_DEALLOC_VGPRS)
	s_endpgm
	.section	.rodata,"a",@progbits
	.p2align	6, 0x0
	.amdhsa_kernel _Z20sort_pairs_segmentedILj256ELj4ELj8EiN10test_utils4lessEEvPKT2_PS2_PKjT3_
		.amdhsa_group_segment_fixed_size 8448
		.amdhsa_private_segment_fixed_size 0
		.amdhsa_kernarg_size 28
		.amdhsa_user_sgpr_count 15
		.amdhsa_user_sgpr_dispatch_ptr 0
		.amdhsa_user_sgpr_queue_ptr 0
		.amdhsa_user_sgpr_kernarg_segment_ptr 1
		.amdhsa_user_sgpr_dispatch_id 0
		.amdhsa_user_sgpr_private_segment_size 0
		.amdhsa_wavefront_size32 1
		.amdhsa_uses_dynamic_stack 0
		.amdhsa_enable_private_segment 0
		.amdhsa_system_sgpr_workgroup_id_x 1
		.amdhsa_system_sgpr_workgroup_id_y 0
		.amdhsa_system_sgpr_workgroup_id_z 0
		.amdhsa_system_sgpr_workgroup_info 0
		.amdhsa_system_vgpr_workitem_id 0
		.amdhsa_next_free_vgpr 49
		.amdhsa_next_free_sgpr 20
		.amdhsa_reserve_vcc 1
		.amdhsa_float_round_mode_32 0
		.amdhsa_float_round_mode_16_64 0
		.amdhsa_float_denorm_mode_32 3
		.amdhsa_float_denorm_mode_16_64 3
		.amdhsa_dx10_clamp 1
		.amdhsa_ieee_mode 1
		.amdhsa_fp16_overflow 0
		.amdhsa_workgroup_processor_mode 1
		.amdhsa_memory_ordered 1
		.amdhsa_forward_progress 0
		.amdhsa_shared_vgpr_count 0
		.amdhsa_exception_fp_ieee_invalid_op 0
		.amdhsa_exception_fp_denorm_src 0
		.amdhsa_exception_fp_ieee_div_zero 0
		.amdhsa_exception_fp_ieee_overflow 0
		.amdhsa_exception_fp_ieee_underflow 0
		.amdhsa_exception_fp_ieee_inexact 0
		.amdhsa_exception_int_div_zero 0
	.end_amdhsa_kernel
	.section	.text._Z20sort_pairs_segmentedILj256ELj4ELj8EiN10test_utils4lessEEvPKT2_PS2_PKjT3_,"axG",@progbits,_Z20sort_pairs_segmentedILj256ELj4ELj8EiN10test_utils4lessEEvPKT2_PS2_PKjT3_,comdat
.Lfunc_end11:
	.size	_Z20sort_pairs_segmentedILj256ELj4ELj8EiN10test_utils4lessEEvPKT2_PS2_PKjT3_, .Lfunc_end11-_Z20sort_pairs_segmentedILj256ELj4ELj8EiN10test_utils4lessEEvPKT2_PS2_PKjT3_
                                        ; -- End function
	.section	.AMDGPU.csdata,"",@progbits
; Kernel info:
; codeLenInByte = 5756
; NumSgprs: 22
; NumVgprs: 49
; ScratchSize: 0
; MemoryBound: 0
; FloatMode: 240
; IeeeMode: 1
; LDSByteSize: 8448 bytes/workgroup (compile time only)
; SGPRBlocks: 2
; VGPRBlocks: 6
; NumSGPRsForWavesPerEU: 22
; NumVGPRsForWavesPerEU: 49
; Occupancy: 16
; WaveLimiterHint : 0
; COMPUTE_PGM_RSRC2:SCRATCH_EN: 0
; COMPUTE_PGM_RSRC2:USER_SGPR: 15
; COMPUTE_PGM_RSRC2:TRAP_HANDLER: 0
; COMPUTE_PGM_RSRC2:TGID_X_EN: 1
; COMPUTE_PGM_RSRC2:TGID_Y_EN: 0
; COMPUTE_PGM_RSRC2:TGID_Z_EN: 0
; COMPUTE_PGM_RSRC2:TIDIG_COMP_CNT: 0
	.section	.text._Z9sort_keysILj256ELj16ELj1EiN10test_utils4lessEEvPKT2_PS2_T3_,"axG",@progbits,_Z9sort_keysILj256ELj16ELj1EiN10test_utils4lessEEvPKT2_PS2_T3_,comdat
	.protected	_Z9sort_keysILj256ELj16ELj1EiN10test_utils4lessEEvPKT2_PS2_T3_ ; -- Begin function _Z9sort_keysILj256ELj16ELj1EiN10test_utils4lessEEvPKT2_PS2_T3_
	.globl	_Z9sort_keysILj256ELj16ELj1EiN10test_utils4lessEEvPKT2_PS2_T3_
	.p2align	8
	.type	_Z9sort_keysILj256ELj16ELj1EiN10test_utils4lessEEvPKT2_PS2_T3_,@function
_Z9sort_keysILj256ELj16ELj1EiN10test_utils4lessEEvPKT2_PS2_T3_: ; @_Z9sort_keysILj256ELj16ELj1EiN10test_utils4lessEEvPKT2_PS2_T3_
; %bb.0:
	s_load_b128 s[0:3], s[0:1], 0x0
	s_mov_b32 s7, 0
	s_lshl_b32 s6, s15, 8
	v_lshlrev_b32_e32 v1, 2, v0
	s_lshl_b64 s[4:5], s[6:7], 2
	v_mbcnt_lo_u32_b32 v4, -1, 0
	v_lshrrev_b32_e32 v0, 4, v0
	s_delay_alu instid0(VALU_DEP_2) | instskip(SKIP_1) | instid1(VALU_DEP_2)
	v_and_b32_e32 v5, 14, v4
	v_and_b32_e32 v8, 1, v4
	v_or_b32_e32 v6, 1, v5
	s_delay_alu instid0(VALU_DEP_1)
	v_sub_nc_u32_e32 v2, v5, v6
	s_waitcnt lgkmcnt(0)
	s_add_u32 s0, s0, s4
	s_addc_u32 s1, s1, s5
	v_sub_nc_u32_e32 v7, v6, v5
	global_load_b32 v10, v1, s[0:1]
	v_add_nc_u32_e32 v3, 2, v2
	v_and_b32_e32 v2, 15, v4
	s_mov_b32 s0, exec_lo
	; wave barrier
	s_delay_alu instid0(VALU_DEP_2) | instskip(NEXT) | instid1(VALU_DEP_2)
	v_sub_nc_u32_e32 v9, v8, v3
	v_lshlrev_b32_e32 v11, 2, v2
	v_cmp_ge_i32_e32 vcc_lo, v8, v3
	s_delay_alu instid0(VALU_DEP_2) | instskip(NEXT) | instid1(VALU_DEP_4)
	v_mad_u32_u24 v3, 0x44, v0, v11
	v_cndmask_b32_e32 v9, 0, v9, vcc_lo
	v_min_i32_e32 v7, v8, v7
	v_mul_u32_u24_e32 v0, 0x44, v0
	s_waitcnt vmcnt(0)
	ds_store_b32 v3, v10
	; wave barrier
	v_cmpx_lt_i32_e64 v9, v7
	s_cbranch_execz .LBB12_4
; %bb.1:
	v_lshl_add_u32 v10, v5, 2, v0
	v_lshlrev_b32_e32 v11, 2, v8
	s_delay_alu instid0(VALU_DEP_1)
	v_add3_u32 v11, v10, v11, 4
	.p2align	6
.LBB12_2:                               ; =>This Inner Loop Header: Depth=1
	v_sub_nc_u32_e32 v12, v7, v9
	s_delay_alu instid0(VALU_DEP_1) | instskip(NEXT) | instid1(VALU_DEP_1)
	v_lshrrev_b32_e32 v13, 31, v12
	v_add_nc_u32_e32 v12, v12, v13
	s_delay_alu instid0(VALU_DEP_1) | instskip(NEXT) | instid1(VALU_DEP_1)
	v_ashrrev_i32_e32 v12, 1, v12
	v_add_nc_u32_e32 v12, v12, v9
	s_delay_alu instid0(VALU_DEP_1) | instskip(SKIP_2) | instid1(VALU_DEP_3)
	v_not_b32_e32 v13, v12
	v_lshl_add_u32 v14, v12, 2, v10
	v_add_nc_u32_e32 v15, 1, v12
	v_lshl_add_u32 v13, v13, 2, v11
	ds_load_b32 v14, v14
	ds_load_b32 v13, v13
	s_waitcnt lgkmcnt(0)
	v_cmp_lt_i32_e32 vcc_lo, v13, v14
	v_cndmask_b32_e32 v7, v7, v12, vcc_lo
	v_cndmask_b32_e32 v9, v15, v9, vcc_lo
	s_delay_alu instid0(VALU_DEP_1) | instskip(SKIP_1) | instid1(SALU_CYCLE_1)
	v_cmp_ge_i32_e32 vcc_lo, v9, v7
	s_or_b32 s7, vcc_lo, s7
	s_and_not1_b32 exec_lo, exec_lo, s7
	s_cbranch_execnz .LBB12_2
; %bb.3:
	s_or_b32 exec_lo, exec_lo, s7
.LBB12_4:
	s_delay_alu instid0(SALU_CYCLE_1)
	s_or_b32 exec_lo, exec_lo, s0
	v_add_nc_u32_e32 v7, v5, v8
	v_lshlrev_b32_e32 v10, 2, v9
	v_lshlrev_b32_e32 v5, 2, v5
	v_add_nc_u32_e32 v13, v6, v8
	v_cmp_lt_i32_e32 vcc_lo, 0, v9
	v_sub_nc_u32_e32 v7, v7, v9
	v_and_b32_e32 v8, 3, v4
	v_add3_u32 v5, v0, v10, v5
	v_and_b32_e32 v10, 12, v4
	v_sub_nc_u32_e32 v9, v13, v9
	v_lshl_add_u32 v7, v7, 2, v0
	ds_load_b32 v11, v5
	ds_load_b32 v12, v7 offset:4
	v_or_b32_e32 v7, 2, v10
	v_add_nc_u32_e32 v5, 4, v10
	v_cmp_ge_i32_e64 s1, v6, v9
	; wave barrier
	s_delay_alu instid0(VALU_DEP_3) | instskip(NEXT) | instid1(VALU_DEP_3)
	v_sub_nc_u32_e32 v13, v7, v10
	v_sub_nc_u32_e32 v14, v5, v7
	s_delay_alu instid0(VALU_DEP_2) | instskip(NEXT) | instid1(VALU_DEP_2)
	v_min_i32_e32 v6, v8, v13
	v_sub_nc_u32_e32 v15, v8, v14
	s_waitcnt lgkmcnt(0)
	v_cmp_lt_i32_e64 s0, v12, v11
	s_delay_alu instid0(VALU_DEP_1)
	s_or_b32 s0, vcc_lo, s0
	v_cmp_ge_i32_e32 vcc_lo, v8, v14
	v_cndmask_b32_e32 v9, 0, v15, vcc_lo
	s_and_b32 vcc_lo, s1, s0
	s_mov_b32 s0, 0
	v_cndmask_b32_e32 v11, v11, v12, vcc_lo
	s_mov_b32 s1, exec_lo
	ds_store_b32 v3, v11
	; wave barrier
	v_cmpx_lt_i32_e64 v9, v6
	s_cbranch_execz .LBB12_8
; %bb.5:
	v_lshl_add_u32 v11, v10, 2, v0
	v_lshlrev_b32_e32 v12, 2, v8
	s_delay_alu instid0(VALU_DEP_1)
	v_add3_u32 v12, v11, v12, 8
	.p2align	6
.LBB12_6:                               ; =>This Inner Loop Header: Depth=1
	v_sub_nc_u32_e32 v13, v6, v9
	s_delay_alu instid0(VALU_DEP_1) | instskip(NEXT) | instid1(VALU_DEP_1)
	v_lshrrev_b32_e32 v14, 31, v13
	v_add_nc_u32_e32 v13, v13, v14
	s_delay_alu instid0(VALU_DEP_1) | instskip(NEXT) | instid1(VALU_DEP_1)
	v_ashrrev_i32_e32 v13, 1, v13
	v_add_nc_u32_e32 v13, v13, v9
	s_delay_alu instid0(VALU_DEP_1) | instskip(SKIP_2) | instid1(VALU_DEP_3)
	v_not_b32_e32 v14, v13
	v_lshl_add_u32 v15, v13, 2, v11
	v_add_nc_u32_e32 v16, 1, v13
	v_lshl_add_u32 v14, v14, 2, v12
	ds_load_b32 v15, v15
	ds_load_b32 v14, v14
	s_waitcnt lgkmcnt(0)
	v_cmp_lt_i32_e32 vcc_lo, v14, v15
	v_cndmask_b32_e32 v6, v6, v13, vcc_lo
	v_cndmask_b32_e32 v9, v16, v9, vcc_lo
	s_delay_alu instid0(VALU_DEP_1) | instskip(SKIP_1) | instid1(SALU_CYCLE_1)
	v_cmp_ge_i32_e32 vcc_lo, v9, v6
	s_or_b32 s0, vcc_lo, s0
	s_and_not1_b32 exec_lo, exec_lo, s0
	s_cbranch_execnz .LBB12_6
; %bb.7:
	s_or_b32 exec_lo, exec_lo, s0
.LBB12_8:
	s_delay_alu instid0(SALU_CYCLE_1)
	s_or_b32 exec_lo, exec_lo, s1
	v_add_nc_u32_e32 v6, v10, v8
	v_lshlrev_b32_e32 v11, 2, v9
	v_lshlrev_b32_e32 v10, 2, v10
	v_add_nc_u32_e32 v7, v7, v8
	v_cmp_lt_i32_e32 vcc_lo, 1, v9
	v_sub_nc_u32_e32 v6, v6, v9
	s_delay_alu instid0(VALU_DEP_4) | instskip(NEXT) | instid1(VALU_DEP_4)
	v_add3_u32 v10, v0, v11, v10
	v_sub_nc_u32_e32 v7, v7, v9
	s_delay_alu instid0(VALU_DEP_3)
	v_lshl_add_u32 v6, v6, 2, v0
	ds_load_b32 v12, v10
	ds_load_b32 v13, v6 offset:8
	v_and_b32_e32 v11, 8, v4
	v_and_b32_e32 v4, 7, v4
	v_cmp_gt_i32_e64 s1, v5, v7
	; wave barrier
	s_delay_alu instid0(VALU_DEP_3) | instskip(SKIP_1) | instid1(VALU_DEP_1)
	v_or_b32_e32 v10, 4, v11
	v_add_nc_u32_e32 v6, 8, v11
	v_sub_nc_u32_e32 v8, v6, v10
	s_delay_alu instid0(VALU_DEP_1) | instskip(SKIP_2) | instid1(VALU_DEP_1)
	v_sub_nc_u32_e32 v14, v4, v8
	s_waitcnt lgkmcnt(0)
	v_cmp_lt_i32_e64 s0, v13, v12
	s_or_b32 s0, vcc_lo, s0
	v_cmp_ge_i32_e32 vcc_lo, v4, v8
	v_cndmask_b32_e32 v5, 0, v14, vcc_lo
	s_and_b32 vcc_lo, s1, s0
	s_mov_b32 s0, 0
	v_cndmask_b32_e32 v8, v12, v13, vcc_lo
	v_sub_nc_u32_e32 v9, v10, v11
	s_mov_b32 s1, exec_lo
	ds_store_b32 v3, v8
	v_min_i32_e32 v7, v4, v9
	; wave barrier
	s_delay_alu instid0(VALU_DEP_1)
	v_cmpx_lt_i32_e64 v5, v7
	s_cbranch_execz .LBB12_12
; %bb.9:
	v_lshl_add_u32 v8, v11, 2, v0
	v_lshlrev_b32_e32 v9, 2, v4
	s_delay_alu instid0(VALU_DEP_1)
	v_add3_u32 v9, v8, v9, 16
	.p2align	6
.LBB12_10:                              ; =>This Inner Loop Header: Depth=1
	v_sub_nc_u32_e32 v12, v7, v5
	s_delay_alu instid0(VALU_DEP_1) | instskip(NEXT) | instid1(VALU_DEP_1)
	v_lshrrev_b32_e32 v13, 31, v12
	v_add_nc_u32_e32 v12, v12, v13
	s_delay_alu instid0(VALU_DEP_1) | instskip(NEXT) | instid1(VALU_DEP_1)
	v_ashrrev_i32_e32 v12, 1, v12
	v_add_nc_u32_e32 v12, v12, v5
	s_delay_alu instid0(VALU_DEP_1) | instskip(SKIP_2) | instid1(VALU_DEP_3)
	v_not_b32_e32 v13, v12
	v_lshl_add_u32 v14, v12, 2, v8
	v_add_nc_u32_e32 v15, 1, v12
	v_lshl_add_u32 v13, v13, 2, v9
	ds_load_b32 v14, v14
	ds_load_b32 v13, v13
	s_waitcnt lgkmcnt(0)
	v_cmp_lt_i32_e32 vcc_lo, v13, v14
	v_cndmask_b32_e32 v7, v7, v12, vcc_lo
	v_cndmask_b32_e32 v5, v15, v5, vcc_lo
	s_delay_alu instid0(VALU_DEP_1) | instskip(SKIP_1) | instid1(SALU_CYCLE_1)
	v_cmp_ge_i32_e32 vcc_lo, v5, v7
	s_or_b32 s0, vcc_lo, s0
	s_and_not1_b32 exec_lo, exec_lo, s0
	s_cbranch_execnz .LBB12_10
; %bb.11:
	s_or_b32 exec_lo, exec_lo, s0
.LBB12_12:
	s_delay_alu instid0(SALU_CYCLE_1)
	s_or_b32 exec_lo, exec_lo, s1
	v_add_nc_u32_e32 v7, v11, v4
	v_lshlrev_b32_e32 v8, 2, v5
	v_lshlrev_b32_e32 v9, 2, v11
	v_add_nc_u32_e32 v4, v10, v4
	v_cmp_lt_i32_e32 vcc_lo, 3, v5
	v_sub_nc_u32_e32 v7, v7, v5
	s_delay_alu instid0(VALU_DEP_4) | instskip(NEXT) | instid1(VALU_DEP_4)
	v_add3_u32 v8, v0, v8, v9
	v_sub_nc_u32_e32 v4, v4, v5
	v_min_i32_e32 v5, 8, v2
	s_delay_alu instid0(VALU_DEP_4)
	v_lshl_add_u32 v7, v7, 2, v0
	ds_load_b32 v8, v8
	ds_load_b32 v7, v7 offset:16
	v_cmp_gt_i32_e64 s1, v6, v4
	v_sub_nc_u32_e64 v4, v2, 8 clamp
	; wave barrier
	s_waitcnt lgkmcnt(0)
	v_cmp_lt_i32_e64 s0, v7, v8
	s_delay_alu instid0(VALU_DEP_1) | instskip(NEXT) | instid1(SALU_CYCLE_1)
	s_or_b32 s0, vcc_lo, s0
	s_and_b32 vcc_lo, s1, s0
	s_mov_b32 s0, exec_lo
	v_cndmask_b32_e32 v6, v8, v7, vcc_lo
	ds_store_b32 v3, v6
	; wave barrier
	v_cmpx_lt_u32_e64 v4, v5
	s_cbranch_execz .LBB12_16
; %bb.13:
	v_add_nc_u32_e32 v3, 32, v3
	s_mov_b32 s1, 0
	.p2align	6
.LBB12_14:                              ; =>This Inner Loop Header: Depth=1
	v_sub_nc_u32_e32 v6, v5, v4
	s_delay_alu instid0(VALU_DEP_1) | instskip(NEXT) | instid1(VALU_DEP_1)
	v_lshrrev_b32_e32 v7, 31, v6
	v_add_nc_u32_e32 v6, v6, v7
	s_delay_alu instid0(VALU_DEP_1) | instskip(NEXT) | instid1(VALU_DEP_1)
	v_ashrrev_i32_e32 v6, 1, v6
	v_add_nc_u32_e32 v6, v6, v4
	s_delay_alu instid0(VALU_DEP_1) | instskip(SKIP_2) | instid1(VALU_DEP_3)
	v_not_b32_e32 v7, v6
	v_lshl_add_u32 v8, v6, 2, v0
	v_add_nc_u32_e32 v9, 1, v6
	v_lshl_add_u32 v7, v7, 2, v3
	ds_load_b32 v8, v8
	ds_load_b32 v7, v7
	s_waitcnt lgkmcnt(0)
	v_cmp_lt_i32_e32 vcc_lo, v7, v8
	v_cndmask_b32_e32 v5, v5, v6, vcc_lo
	v_cndmask_b32_e32 v4, v9, v4, vcc_lo
	s_delay_alu instid0(VALU_DEP_1) | instskip(SKIP_1) | instid1(SALU_CYCLE_1)
	v_cmp_ge_i32_e32 vcc_lo, v4, v5
	s_or_b32 s1, vcc_lo, s1
	s_and_not1_b32 exec_lo, exec_lo, s1
	s_cbranch_execnz .LBB12_14
; %bb.15:
	s_or_b32 exec_lo, exec_lo, s1
.LBB12_16:
	s_delay_alu instid0(SALU_CYCLE_1) | instskip(SKIP_3) | instid1(VALU_DEP_3)
	s_or_b32 exec_lo, exec_lo, s0
	v_sub_nc_u32_e32 v2, v2, v4
	v_lshl_add_u32 v3, v4, 2, v0
	v_cmp_lt_i32_e32 vcc_lo, 7, v4
	v_lshl_add_u32 v0, v2, 2, v0
	v_add_nc_u32_e32 v2, 8, v2
	ds_load_b32 v3, v3
	ds_load_b32 v0, v0 offset:32
	v_cmp_gt_i32_e64 s1, 16, v2
	s_waitcnt lgkmcnt(0)
	v_cmp_lt_i32_e64 s0, v0, v3
	s_delay_alu instid0(VALU_DEP_1)
	s_or_b32 s0, vcc_lo, s0
	s_delay_alu instid0(VALU_DEP_2) | instid1(SALU_CYCLE_1)
	s_and_b32 vcc_lo, s1, s0
	s_add_u32 s0, s2, s4
	v_cndmask_b32_e32 v0, v3, v0, vcc_lo
	s_addc_u32 s1, s3, s5
	global_store_b32 v1, v0, s[0:1]
	s_nop 0
	s_sendmsg sendmsg(MSG_DEALLOC_VGPRS)
	s_endpgm
	.section	.rodata,"a",@progbits
	.p2align	6, 0x0
	.amdhsa_kernel _Z9sort_keysILj256ELj16ELj1EiN10test_utils4lessEEvPKT2_PS2_T3_
		.amdhsa_group_segment_fixed_size 1088
		.amdhsa_private_segment_fixed_size 0
		.amdhsa_kernarg_size 20
		.amdhsa_user_sgpr_count 15
		.amdhsa_user_sgpr_dispatch_ptr 0
		.amdhsa_user_sgpr_queue_ptr 0
		.amdhsa_user_sgpr_kernarg_segment_ptr 1
		.amdhsa_user_sgpr_dispatch_id 0
		.amdhsa_user_sgpr_private_segment_size 0
		.amdhsa_wavefront_size32 1
		.amdhsa_uses_dynamic_stack 0
		.amdhsa_enable_private_segment 0
		.amdhsa_system_sgpr_workgroup_id_x 1
		.amdhsa_system_sgpr_workgroup_id_y 0
		.amdhsa_system_sgpr_workgroup_id_z 0
		.amdhsa_system_sgpr_workgroup_info 0
		.amdhsa_system_vgpr_workitem_id 0
		.amdhsa_next_free_vgpr 17
		.amdhsa_next_free_sgpr 16
		.amdhsa_reserve_vcc 1
		.amdhsa_float_round_mode_32 0
		.amdhsa_float_round_mode_16_64 0
		.amdhsa_float_denorm_mode_32 3
		.amdhsa_float_denorm_mode_16_64 3
		.amdhsa_dx10_clamp 1
		.amdhsa_ieee_mode 1
		.amdhsa_fp16_overflow 0
		.amdhsa_workgroup_processor_mode 1
		.amdhsa_memory_ordered 1
		.amdhsa_forward_progress 0
		.amdhsa_shared_vgpr_count 0
		.amdhsa_exception_fp_ieee_invalid_op 0
		.amdhsa_exception_fp_denorm_src 0
		.amdhsa_exception_fp_ieee_div_zero 0
		.amdhsa_exception_fp_ieee_overflow 0
		.amdhsa_exception_fp_ieee_underflow 0
		.amdhsa_exception_fp_ieee_inexact 0
		.amdhsa_exception_int_div_zero 0
	.end_amdhsa_kernel
	.section	.text._Z9sort_keysILj256ELj16ELj1EiN10test_utils4lessEEvPKT2_PS2_T3_,"axG",@progbits,_Z9sort_keysILj256ELj16ELj1EiN10test_utils4lessEEvPKT2_PS2_T3_,comdat
.Lfunc_end12:
	.size	_Z9sort_keysILj256ELj16ELj1EiN10test_utils4lessEEvPKT2_PS2_T3_, .Lfunc_end12-_Z9sort_keysILj256ELj16ELj1EiN10test_utils4lessEEvPKT2_PS2_T3_
                                        ; -- End function
	.section	.AMDGPU.csdata,"",@progbits
; Kernel info:
; codeLenInByte = 1332
; NumSgprs: 18
; NumVgprs: 17
; ScratchSize: 0
; MemoryBound: 0
; FloatMode: 240
; IeeeMode: 1
; LDSByteSize: 1088 bytes/workgroup (compile time only)
; SGPRBlocks: 2
; VGPRBlocks: 2
; NumSGPRsForWavesPerEU: 18
; NumVGPRsForWavesPerEU: 17
; Occupancy: 16
; WaveLimiterHint : 0
; COMPUTE_PGM_RSRC2:SCRATCH_EN: 0
; COMPUTE_PGM_RSRC2:USER_SGPR: 15
; COMPUTE_PGM_RSRC2:TRAP_HANDLER: 0
; COMPUTE_PGM_RSRC2:TGID_X_EN: 1
; COMPUTE_PGM_RSRC2:TGID_Y_EN: 0
; COMPUTE_PGM_RSRC2:TGID_Z_EN: 0
; COMPUTE_PGM_RSRC2:TIDIG_COMP_CNT: 0
	.section	.text._Z10sort_pairsILj256ELj16ELj1EiN10test_utils4lessEEvPKT2_PS2_T3_,"axG",@progbits,_Z10sort_pairsILj256ELj16ELj1EiN10test_utils4lessEEvPKT2_PS2_T3_,comdat
	.protected	_Z10sort_pairsILj256ELj16ELj1EiN10test_utils4lessEEvPKT2_PS2_T3_ ; -- Begin function _Z10sort_pairsILj256ELj16ELj1EiN10test_utils4lessEEvPKT2_PS2_T3_
	.globl	_Z10sort_pairsILj256ELj16ELj1EiN10test_utils4lessEEvPKT2_PS2_T3_
	.p2align	8
	.type	_Z10sort_pairsILj256ELj16ELj1EiN10test_utils4lessEEvPKT2_PS2_T3_,@function
_Z10sort_pairsILj256ELj16ELj1EiN10test_utils4lessEEvPKT2_PS2_T3_: ; @_Z10sort_pairsILj256ELj16ELj1EiN10test_utils4lessEEvPKT2_PS2_T3_
; %bb.0:
	s_load_b128 s[0:3], s[0:1], 0x0
	s_mov_b32 s7, 0
	s_lshl_b32 s6, s15, 8
	v_lshlrev_b32_e32 v1, 2, v0
	s_lshl_b64 s[4:5], s[6:7], 2
	v_mbcnt_lo_u32_b32 v4, -1, 0
	v_lshrrev_b32_e32 v3, 4, v0
	s_delay_alu instid0(VALU_DEP_2) | instskip(SKIP_1) | instid1(VALU_DEP_2)
	v_and_b32_e32 v6, 14, v4
	v_and_b32_e32 v8, 1, v4
	v_or_b32_e32 v7, 1, v6
	v_lshlrev_b32_e32 v13, 2, v6
	s_delay_alu instid0(VALU_DEP_2)
	v_sub_nc_u32_e32 v2, v6, v7
	s_waitcnt lgkmcnt(0)
	s_add_u32 s0, s0, s4
	s_addc_u32 s1, s1, s5
	v_sub_nc_u32_e32 v10, v7, v6
	global_load_b32 v5, v1, s[0:1]
	v_add_nc_u32_e32 v9, 2, v2
	v_and_b32_e32 v2, 15, v4
	s_mov_b32 s0, exec_lo
	v_min_i32_e32 v11, v8, v10
	v_mad_u32_u24 v10, 0x44, v3, v13
	v_sub_nc_u32_e32 v0, v8, v9
	v_cmp_ge_i32_e32 vcc_lo, v8, v9
	v_lshlrev_b32_e32 v12, 2, v2
	; wave barrier
	s_delay_alu instid0(VALU_DEP_3) | instskip(NEXT) | instid1(VALU_DEP_2)
	v_cndmask_b32_e32 v9, 0, v0, vcc_lo
	v_mad_u32_u24 v0, 0x44, v3, v12
	s_waitcnt vmcnt(0)
	ds_store_b32 v0, v5
	; wave barrier
	v_cmpx_lt_i32_e64 v9, v11
	s_cbranch_execz .LBB13_4
; %bb.1:
	v_lshlrev_b32_e32 v12, 2, v8
	s_delay_alu instid0(VALU_DEP_1)
	v_add3_u32 v12, v10, v12, 4
	.p2align	6
.LBB13_2:                               ; =>This Inner Loop Header: Depth=1
	v_sub_nc_u32_e32 v13, v11, v9
	s_delay_alu instid0(VALU_DEP_1) | instskip(NEXT) | instid1(VALU_DEP_1)
	v_lshrrev_b32_e32 v14, 31, v13
	v_add_nc_u32_e32 v13, v13, v14
	s_delay_alu instid0(VALU_DEP_1) | instskip(NEXT) | instid1(VALU_DEP_1)
	v_ashrrev_i32_e32 v13, 1, v13
	v_add_nc_u32_e32 v13, v13, v9
	s_delay_alu instid0(VALU_DEP_1) | instskip(SKIP_2) | instid1(VALU_DEP_3)
	v_not_b32_e32 v14, v13
	v_lshl_add_u32 v15, v13, 2, v10
	v_add_nc_u32_e32 v16, 1, v13
	v_lshl_add_u32 v14, v14, 2, v12
	ds_load_b32 v15, v15
	ds_load_b32 v14, v14
	s_waitcnt lgkmcnt(0)
	v_cmp_lt_i32_e32 vcc_lo, v14, v15
	v_cndmask_b32_e32 v11, v11, v13, vcc_lo
	v_cndmask_b32_e32 v9, v16, v9, vcc_lo
	s_delay_alu instid0(VALU_DEP_1) | instskip(SKIP_1) | instid1(SALU_CYCLE_1)
	v_cmp_ge_i32_e32 vcc_lo, v9, v11
	s_or_b32 s7, vcc_lo, s7
	s_and_not1_b32 exec_lo, exec_lo, s7
	s_cbranch_execnz .LBB13_2
; %bb.3:
	s_or_b32 exec_lo, exec_lo, s7
.LBB13_4:
	s_delay_alu instid0(SALU_CYCLE_1)
	s_or_b32 exec_lo, exec_lo, s0
	v_add_nc_u32_e32 v11, v6, v8
	v_mul_u32_u24_e32 v3, 0x44, v3
	v_lshl_add_u32 v10, v9, 2, v10
	v_cmp_lt_i32_e32 vcc_lo, 0, v9
	v_add_nc_u32_e32 v5, 1, v5
	v_sub_nc_u32_e32 v11, v11, v9
	s_delay_alu instid0(VALU_DEP_1)
	v_lshl_add_u32 v11, v11, 2, v3
	ds_load_b32 v10, v10
	ds_load_b32 v11, v11 offset:4
	v_add_nc_u32_e32 v8, v7, v8
	; wave barrier
	ds_store_b32 v0, v5
	v_sub_nc_u32_e32 v8, v8, v9
	; wave barrier
	s_delay_alu instid0(VALU_DEP_1) | instskip(SKIP_4) | instid1(VALU_DEP_1)
	v_cmp_ge_i32_e64 s1, v7, v8
	v_add_nc_u32_e32 v7, v9, v6
	v_and_b32_e32 v6, 12, v4
	s_waitcnt lgkmcnt(1)
	v_cmp_lt_i32_e64 s0, v11, v10
	s_or_b32 s0, vcc_lo, s0
	s_delay_alu instid0(SALU_CYCLE_1)
	s_and_b32 vcc_lo, s1, s0
	s_mov_b32 s0, 0
	v_cndmask_b32_e32 v13, v10, v11, vcc_lo
	v_cndmask_b32_e32 v9, v7, v8, vcc_lo
	v_or_b32_e32 v8, 2, v6
	v_add_nc_u32_e32 v7, 4, v6
	s_mov_b32 s1, exec_lo
	s_delay_alu instid0(VALU_DEP_3) | instskip(SKIP_1) | instid1(VALU_DEP_3)
	v_lshl_add_u32 v5, v9, 2, v3
	v_and_b32_e32 v9, 3, v4
	v_sub_nc_u32_e32 v10, v7, v8
	v_sub_nc_u32_e32 v12, v8, v6
	ds_load_b32 v5, v5
	v_sub_nc_u32_e32 v11, v9, v10
	v_cmp_ge_i32_e32 vcc_lo, v9, v10
	v_min_i32_e32 v12, v9, v12
	; wave barrier
	ds_store_b32 v0, v13
	v_cndmask_b32_e32 v10, 0, v11, vcc_lo
	v_lshl_add_u32 v11, v6, 2, v3
	; wave barrier
	s_delay_alu instid0(VALU_DEP_2)
	v_cmpx_lt_i32_e64 v10, v12
	s_cbranch_execz .LBB13_8
; %bb.5:
	v_lshlrev_b32_e32 v13, 2, v9
	s_delay_alu instid0(VALU_DEP_1)
	v_add3_u32 v13, v11, v13, 8
	.p2align	6
.LBB13_6:                               ; =>This Inner Loop Header: Depth=1
	v_sub_nc_u32_e32 v14, v12, v10
	s_delay_alu instid0(VALU_DEP_1) | instskip(NEXT) | instid1(VALU_DEP_1)
	v_lshrrev_b32_e32 v15, 31, v14
	v_add_nc_u32_e32 v14, v14, v15
	s_delay_alu instid0(VALU_DEP_1) | instskip(NEXT) | instid1(VALU_DEP_1)
	v_ashrrev_i32_e32 v14, 1, v14
	v_add_nc_u32_e32 v14, v14, v10
	s_delay_alu instid0(VALU_DEP_1) | instskip(SKIP_2) | instid1(VALU_DEP_3)
	v_not_b32_e32 v15, v14
	v_lshl_add_u32 v16, v14, 2, v11
	v_add_nc_u32_e32 v17, 1, v14
	v_lshl_add_u32 v15, v15, 2, v13
	ds_load_b32 v16, v16
	ds_load_b32 v15, v15
	s_waitcnt lgkmcnt(0)
	v_cmp_lt_i32_e32 vcc_lo, v15, v16
	v_cndmask_b32_e32 v12, v12, v14, vcc_lo
	v_cndmask_b32_e32 v10, v17, v10, vcc_lo
	s_delay_alu instid0(VALU_DEP_1) | instskip(SKIP_1) | instid1(SALU_CYCLE_1)
	v_cmp_ge_i32_e32 vcc_lo, v10, v12
	s_or_b32 s0, vcc_lo, s0
	s_and_not1_b32 exec_lo, exec_lo, s0
	s_cbranch_execnz .LBB13_6
; %bb.7:
	s_or_b32 exec_lo, exec_lo, s0
.LBB13_8:
	s_delay_alu instid0(SALU_CYCLE_1) | instskip(SKIP_4) | instid1(VALU_DEP_4)
	s_or_b32 exec_lo, exec_lo, s1
	v_add_nc_u32_e32 v12, v6, v9
	v_lshl_add_u32 v11, v10, 2, v11
	v_add_nc_u32_e32 v8, v8, v9
	v_cmp_lt_i32_e32 vcc_lo, 1, v10
	v_sub_nc_u32_e32 v12, v12, v10
	s_delay_alu instid0(VALU_DEP_3) | instskip(NEXT) | instid1(VALU_DEP_2)
	v_sub_nc_u32_e32 v8, v8, v10
	v_lshl_add_u32 v12, v12, 2, v3
	ds_load_b32 v11, v11
	ds_load_b32 v12, v12 offset:8
	v_cmp_gt_i32_e64 s1, v7, v8
	; wave barrier
	s_waitcnt lgkmcnt(3)
	ds_store_b32 v0, v5
	; wave barrier
	s_waitcnt lgkmcnt(1)
	v_cmp_lt_i32_e64 s0, v12, v11
	s_delay_alu instid0(VALU_DEP_1) | instskip(NEXT) | instid1(SALU_CYCLE_1)
	s_or_b32 s0, vcc_lo, s0
	s_and_b32 vcc_lo, s1, s0
	v_dual_cndmask_b32 v12, v11, v12 :: v_dual_add_nc_u32 v7, v10, v6
	v_and_b32_e32 v6, 8, v4
	s_mov_b32 s1, 0
	s_mov_b32 s0, exec_lo
	s_delay_alu instid0(VALU_DEP_1) | instskip(SKIP_1) | instid1(VALU_DEP_2)
	v_dual_cndmask_b32 v8, v7, v8 :: v_dual_add_nc_u32 v5, 8, v6
	v_or_b32_e32 v7, 4, v6
	v_lshl_add_u32 v9, v8, 2, v3
	v_and_b32_e32 v8, 7, v4
	s_delay_alu instid0(VALU_DEP_3)
	v_sub_nc_u32_e32 v10, v5, v7
	ds_load_b32 v4, v9
	; wave barrier
	v_sub_nc_u32_e32 v9, v8, v10
	v_cmp_ge_i32_e32 vcc_lo, v8, v10
	ds_store_b32 v0, v12
	; wave barrier
	v_cndmask_b32_e32 v9, 0, v9, vcc_lo
	v_sub_nc_u32_e32 v11, v7, v6
	v_lshl_add_u32 v10, v6, 2, v3
	s_delay_alu instid0(VALU_DEP_2) | instskip(NEXT) | instid1(VALU_DEP_1)
	v_min_i32_e32 v11, v8, v11
	v_cmpx_lt_i32_e64 v9, v11
	s_cbranch_execz .LBB13_12
; %bb.9:
	v_lshlrev_b32_e32 v12, 2, v8
	s_delay_alu instid0(VALU_DEP_1)
	v_add3_u32 v12, v10, v12, 16
	.p2align	6
.LBB13_10:                              ; =>This Inner Loop Header: Depth=1
	v_sub_nc_u32_e32 v13, v11, v9
	s_delay_alu instid0(VALU_DEP_1) | instskip(NEXT) | instid1(VALU_DEP_1)
	v_lshrrev_b32_e32 v14, 31, v13
	v_add_nc_u32_e32 v13, v13, v14
	s_delay_alu instid0(VALU_DEP_1) | instskip(NEXT) | instid1(VALU_DEP_1)
	v_ashrrev_i32_e32 v13, 1, v13
	v_add_nc_u32_e32 v13, v13, v9
	s_delay_alu instid0(VALU_DEP_1) | instskip(SKIP_2) | instid1(VALU_DEP_3)
	v_not_b32_e32 v14, v13
	v_lshl_add_u32 v15, v13, 2, v10
	v_add_nc_u32_e32 v16, 1, v13
	v_lshl_add_u32 v14, v14, 2, v12
	ds_load_b32 v15, v15
	ds_load_b32 v14, v14
	s_waitcnt lgkmcnt(0)
	v_cmp_lt_i32_e32 vcc_lo, v14, v15
	v_cndmask_b32_e32 v11, v11, v13, vcc_lo
	v_cndmask_b32_e32 v9, v16, v9, vcc_lo
	s_delay_alu instid0(VALU_DEP_1) | instskip(SKIP_1) | instid1(SALU_CYCLE_1)
	v_cmp_ge_i32_e32 vcc_lo, v9, v11
	s_or_b32 s1, vcc_lo, s1
	s_and_not1_b32 exec_lo, exec_lo, s1
	s_cbranch_execnz .LBB13_10
; %bb.11:
	s_or_b32 exec_lo, exec_lo, s1
.LBB13_12:
	s_delay_alu instid0(SALU_CYCLE_1) | instskip(SKIP_3) | instid1(VALU_DEP_3)
	s_or_b32 exec_lo, exec_lo, s0
	v_add_nc_u32_e32 v11, v6, v8
	v_lshl_add_u32 v10, v9, 2, v10
	v_cmp_lt_i32_e32 vcc_lo, 3, v9
	v_sub_nc_u32_e32 v11, v11, v9
	s_delay_alu instid0(VALU_DEP_1)
	v_lshl_add_u32 v11, v11, 2, v3
	ds_load_b32 v10, v10
	ds_load_b32 v11, v11 offset:16
	v_add_nc_u32_e32 v7, v7, v8
	; wave barrier
	s_waitcnt lgkmcnt(3)
	ds_store_b32 v0, v4
	v_sub_nc_u32_e32 v7, v7, v9
	; wave barrier
	s_delay_alu instid0(VALU_DEP_1) | instskip(SKIP_4) | instid1(VALU_DEP_1)
	v_cmp_gt_i32_e64 s1, v5, v7
	v_add_nc_u32_e32 v5, v9, v6
	v_min_i32_e32 v6, 8, v2
	s_waitcnt lgkmcnt(1)
	v_cmp_lt_i32_e64 s0, v11, v10
	s_or_b32 s0, vcc_lo, s0
	s_delay_alu instid0(SALU_CYCLE_1) | instskip(SKIP_3) | instid1(VALU_DEP_1)
	s_and_b32 vcc_lo, s1, s0
	s_mov_b32 s0, exec_lo
	v_cndmask_b32_e32 v8, v10, v11, vcc_lo
	v_cndmask_b32_e32 v5, v5, v7, vcc_lo
	v_lshl_add_u32 v5, v5, 2, v3
	ds_load_b32 v4, v5
	v_sub_nc_u32_e64 v5, v2, 8 clamp
	; wave barrier
	ds_store_b32 v0, v8
	; wave barrier
	v_cmpx_lt_u32_e64 v5, v6
	s_cbranch_execz .LBB13_16
; %bb.13:
	v_add_nc_u32_e32 v7, 32, v0
	s_mov_b32 s1, 0
	.p2align	6
.LBB13_14:                              ; =>This Inner Loop Header: Depth=1
	v_sub_nc_u32_e32 v8, v6, v5
	s_delay_alu instid0(VALU_DEP_1) | instskip(NEXT) | instid1(VALU_DEP_1)
	v_lshrrev_b32_e32 v9, 31, v8
	v_add_nc_u32_e32 v8, v8, v9
	s_delay_alu instid0(VALU_DEP_1) | instskip(NEXT) | instid1(VALU_DEP_1)
	v_ashrrev_i32_e32 v8, 1, v8
	v_add_nc_u32_e32 v8, v8, v5
	s_delay_alu instid0(VALU_DEP_1) | instskip(SKIP_2) | instid1(VALU_DEP_3)
	v_not_b32_e32 v9, v8
	v_lshl_add_u32 v10, v8, 2, v3
	v_add_nc_u32_e32 v11, 1, v8
	v_lshl_add_u32 v9, v9, 2, v7
	ds_load_b32 v10, v10
	ds_load_b32 v9, v9
	s_waitcnt lgkmcnt(0)
	v_cmp_lt_i32_e32 vcc_lo, v9, v10
	v_dual_cndmask_b32 v6, v6, v8 :: v_dual_cndmask_b32 v5, v11, v5
	s_delay_alu instid0(VALU_DEP_1) | instskip(SKIP_1) | instid1(SALU_CYCLE_1)
	v_cmp_ge_i32_e32 vcc_lo, v5, v6
	s_or_b32 s1, vcc_lo, s1
	s_and_not1_b32 exec_lo, exec_lo, s1
	s_cbranch_execnz .LBB13_14
; %bb.15:
	s_or_b32 exec_lo, exec_lo, s1
.LBB13_16:
	s_delay_alu instid0(SALU_CYCLE_1) | instskip(SKIP_3) | instid1(VALU_DEP_3)
	s_or_b32 exec_lo, exec_lo, s0
	v_sub_nc_u32_e32 v2, v2, v5
	v_lshl_add_u32 v6, v5, 2, v3
	v_cmp_lt_i32_e32 vcc_lo, 7, v5
	v_lshl_add_u32 v7, v2, 2, v3
	v_add_nc_u32_e32 v2, 8, v2
	ds_load_b32 v6, v6
	ds_load_b32 v7, v7 offset:32
	v_cmp_gt_i32_e64 s1, 16, v2
	; wave barrier
	s_waitcnt lgkmcnt(3)
	ds_store_b32 v0, v4
	; wave barrier
	s_waitcnt lgkmcnt(1)
	v_cmp_lt_i32_e64 s0, v7, v6
	s_delay_alu instid0(VALU_DEP_1) | instskip(NEXT) | instid1(SALU_CYCLE_1)
	s_or_b32 s0, vcc_lo, s0
	s_and_b32 vcc_lo, s1, s0
	s_add_u32 s0, s2, s4
	v_cndmask_b32_e32 v2, v5, v2, vcc_lo
	v_cndmask_b32_e32 v6, v6, v7, vcc_lo
	s_addc_u32 s1, s3, s5
	s_delay_alu instid0(VALU_DEP_2)
	v_lshl_add_u32 v2, v2, 2, v3
	ds_load_b32 v0, v2
	s_waitcnt lgkmcnt(0)
	v_add_nc_u32_e32 v0, v0, v6
	global_store_b32 v1, v0, s[0:1]
	s_nop 0
	s_sendmsg sendmsg(MSG_DEALLOC_VGPRS)
	s_endpgm
	.section	.rodata,"a",@progbits
	.p2align	6, 0x0
	.amdhsa_kernel _Z10sort_pairsILj256ELj16ELj1EiN10test_utils4lessEEvPKT2_PS2_T3_
		.amdhsa_group_segment_fixed_size 1088
		.amdhsa_private_segment_fixed_size 0
		.amdhsa_kernarg_size 20
		.amdhsa_user_sgpr_count 15
		.amdhsa_user_sgpr_dispatch_ptr 0
		.amdhsa_user_sgpr_queue_ptr 0
		.amdhsa_user_sgpr_kernarg_segment_ptr 1
		.amdhsa_user_sgpr_dispatch_id 0
		.amdhsa_user_sgpr_private_segment_size 0
		.amdhsa_wavefront_size32 1
		.amdhsa_uses_dynamic_stack 0
		.amdhsa_enable_private_segment 0
		.amdhsa_system_sgpr_workgroup_id_x 1
		.amdhsa_system_sgpr_workgroup_id_y 0
		.amdhsa_system_sgpr_workgroup_id_z 0
		.amdhsa_system_sgpr_workgroup_info 0
		.amdhsa_system_vgpr_workitem_id 0
		.amdhsa_next_free_vgpr 18
		.amdhsa_next_free_sgpr 16
		.amdhsa_reserve_vcc 1
		.amdhsa_float_round_mode_32 0
		.amdhsa_float_round_mode_16_64 0
		.amdhsa_float_denorm_mode_32 3
		.amdhsa_float_denorm_mode_16_64 3
		.amdhsa_dx10_clamp 1
		.amdhsa_ieee_mode 1
		.amdhsa_fp16_overflow 0
		.amdhsa_workgroup_processor_mode 1
		.amdhsa_memory_ordered 1
		.amdhsa_forward_progress 0
		.amdhsa_shared_vgpr_count 0
		.amdhsa_exception_fp_ieee_invalid_op 0
		.amdhsa_exception_fp_denorm_src 0
		.amdhsa_exception_fp_ieee_div_zero 0
		.amdhsa_exception_fp_ieee_overflow 0
		.amdhsa_exception_fp_ieee_underflow 0
		.amdhsa_exception_fp_ieee_inexact 0
		.amdhsa_exception_int_div_zero 0
	.end_amdhsa_kernel
	.section	.text._Z10sort_pairsILj256ELj16ELj1EiN10test_utils4lessEEvPKT2_PS2_T3_,"axG",@progbits,_Z10sort_pairsILj256ELj16ELj1EiN10test_utils4lessEEvPKT2_PS2_T3_,comdat
.Lfunc_end13:
	.size	_Z10sort_pairsILj256ELj16ELj1EiN10test_utils4lessEEvPKT2_PS2_T3_, .Lfunc_end13-_Z10sort_pairsILj256ELj16ELj1EiN10test_utils4lessEEvPKT2_PS2_T3_
                                        ; -- End function
	.section	.AMDGPU.csdata,"",@progbits
; Kernel info:
; codeLenInByte = 1468
; NumSgprs: 18
; NumVgprs: 18
; ScratchSize: 0
; MemoryBound: 0
; FloatMode: 240
; IeeeMode: 1
; LDSByteSize: 1088 bytes/workgroup (compile time only)
; SGPRBlocks: 2
; VGPRBlocks: 2
; NumSGPRsForWavesPerEU: 18
; NumVGPRsForWavesPerEU: 18
; Occupancy: 16
; WaveLimiterHint : 0
; COMPUTE_PGM_RSRC2:SCRATCH_EN: 0
; COMPUTE_PGM_RSRC2:USER_SGPR: 15
; COMPUTE_PGM_RSRC2:TRAP_HANDLER: 0
; COMPUTE_PGM_RSRC2:TGID_X_EN: 1
; COMPUTE_PGM_RSRC2:TGID_Y_EN: 0
; COMPUTE_PGM_RSRC2:TGID_Z_EN: 0
; COMPUTE_PGM_RSRC2:TIDIG_COMP_CNT: 0
	.section	.text._Z19sort_keys_segmentedILj256ELj16ELj1EiN10test_utils4lessEEvPKT2_PS2_PKjT3_,"axG",@progbits,_Z19sort_keys_segmentedILj256ELj16ELj1EiN10test_utils4lessEEvPKT2_PS2_PKjT3_,comdat
	.protected	_Z19sort_keys_segmentedILj256ELj16ELj1EiN10test_utils4lessEEvPKT2_PS2_PKjT3_ ; -- Begin function _Z19sort_keys_segmentedILj256ELj16ELj1EiN10test_utils4lessEEvPKT2_PS2_PKjT3_
	.globl	_Z19sort_keys_segmentedILj256ELj16ELj1EiN10test_utils4lessEEvPKT2_PS2_PKjT3_
	.p2align	8
	.type	_Z19sort_keys_segmentedILj256ELj16ELj1EiN10test_utils4lessEEvPKT2_PS2_PKjT3_,@function
_Z19sort_keys_segmentedILj256ELj16ELj1EiN10test_utils4lessEEvPKT2_PS2_PKjT3_: ; @_Z19sort_keys_segmentedILj256ELj16ELj1EiN10test_utils4lessEEvPKT2_PS2_PKjT3_
; %bb.0:
	s_clause 0x1
	s_load_b64 s[2:3], s[0:1], 0x10
	s_load_b128 s[4:7], s[0:1], 0x0
	v_lshrrev_b32_e32 v8, 4, v0
	v_mbcnt_lo_u32_b32 v7, -1, 0
	v_mov_b32_e32 v3, 0
	s_delay_alu instid0(VALU_DEP_3) | instskip(NEXT) | instid1(VALU_DEP_1)
	v_lshl_or_b32 v2, s15, 4, v8
	v_lshlrev_b64 v[0:1], 2, v[2:3]
	v_lshlrev_b32_e32 v2, 4, v2
	s_waitcnt lgkmcnt(0)
	s_delay_alu instid0(VALU_DEP_2) | instskip(NEXT) | instid1(VALU_DEP_3)
	v_add_co_u32 v0, vcc_lo, s2, v0
	v_add_co_ci_u32_e32 v1, vcc_lo, s3, v1, vcc_lo
	global_load_b32 v5, v[0:1], off
	v_and_b32_e32 v0, 15, v7
	s_waitcnt vmcnt(0)
	s_delay_alu instid0(VALU_DEP_1) | instskip(SKIP_1) | instid1(VALU_DEP_1)
	v_cmp_lt_u32_e32 vcc_lo, v0, v5
	v_cmp_ge_u32_e64 s0, v0, v5
	s_and_saveexec_b32 s1, s0
	s_delay_alu instid0(SALU_CYCLE_1)
	s_xor_b32 s0, exec_lo, s1
; %bb.1:
	v_mov_b32_e32 v1, v3
; %bb.2:
	s_or_saveexec_b32 s1, s0
	v_lshlrev_b64 v[2:3], 2, v[2:3]
                                        ; implicit-def: $vgpr16
	s_xor_b32 exec_lo, exec_lo, s1
	s_cbranch_execz .LBB14_4
; %bb.3:
	v_lshlrev_b32_e32 v1, 2, v0
	s_delay_alu instid0(VALU_DEP_2) | instskip(NEXT) | instid1(VALU_DEP_1)
	v_add_co_u32 v4, s0, s4, v2
	v_add_co_ci_u32_e64 v6, s0, s5, v3, s0
	s_delay_alu instid0(VALU_DEP_2) | instskip(NEXT) | instid1(VALU_DEP_1)
	v_add_co_u32 v9, s0, v4, v1
	v_add_co_ci_u32_e64 v10, s0, 0, v6, s0
	v_mov_b32_e32 v1, 0
	global_load_b32 v16, v[9:10], off
.LBB14_4:
	s_or_b32 exec_lo, exec_lo, s1
	v_and_b32_e32 v4, 14, v7
	v_and_b32_e32 v6, 1, v7
	v_lshlrev_b32_e32 v17, 2, v0
	s_mov_b32 s2, 0
	s_mov_b32 s1, exec_lo
	v_min_i32_e32 v13, v5, v4
	v_min_i32_e32 v10, v5, v6
	; wave barrier
	s_delay_alu instid0(VALU_DEP_2) | instskip(SKIP_1) | instid1(VALU_DEP_2)
	v_add_nc_u32_e32 v4, 1, v13
	v_lshlrev_b32_e32 v18, 2, v13
	v_min_i32_e32 v12, v5, v4
	s_delay_alu instid0(VALU_DEP_1) | instskip(SKIP_1) | instid1(VALU_DEP_2)
	v_add_nc_u32_e32 v4, 1, v12
	v_sub_nc_u32_e32 v15, v12, v13
	v_min_i32_e32 v11, v5, v4
	v_mul_u32_u24_e32 v4, 0x44, v8
	s_delay_alu instid0(VALU_DEP_3) | instskip(NEXT) | instid1(VALU_DEP_3)
	v_min_i32_e32 v15, v10, v15
	v_sub_nc_u32_e32 v6, v11, v12
	s_delay_alu instid0(VALU_DEP_1) | instskip(SKIP_2) | instid1(VALU_DEP_2)
	v_sub_nc_u32_e32 v9, v10, v6
	v_cmp_ge_i32_e64 s0, v10, v6
	v_mad_u32_u24 v6, 0x44, v8, v17
	v_cndmask_b32_e64 v14, 0, v9, s0
	v_mad_u32_u24 v9, 0x44, v8, v18
	s_waitcnt vmcnt(0)
	ds_store_b32 v6, v16
	; wave barrier
	v_cmpx_lt_i32_e64 v14, v15
	s_cbranch_execz .LBB14_8
; %bb.5:
	v_lshlrev_b32_e32 v8, 2, v12
	v_lshlrev_b32_e32 v16, 2, v10
	s_delay_alu instid0(VALU_DEP_1)
	v_add3_u32 v8, v4, v8, v16
	.p2align	6
.LBB14_6:                               ; =>This Inner Loop Header: Depth=1
	v_sub_nc_u32_e32 v16, v15, v14
	s_delay_alu instid0(VALU_DEP_1) | instskip(NEXT) | instid1(VALU_DEP_1)
	v_lshrrev_b32_e32 v17, 31, v16
	v_add_nc_u32_e32 v16, v16, v17
	s_delay_alu instid0(VALU_DEP_1) | instskip(NEXT) | instid1(VALU_DEP_1)
	v_ashrrev_i32_e32 v16, 1, v16
	v_add_nc_u32_e32 v16, v16, v14
	s_delay_alu instid0(VALU_DEP_1) | instskip(SKIP_2) | instid1(VALU_DEP_3)
	v_not_b32_e32 v17, v16
	v_lshl_add_u32 v18, v16, 2, v9
	v_add_nc_u32_e32 v19, 1, v16
	v_lshl_add_u32 v17, v17, 2, v8
	ds_load_b32 v18, v18
	ds_load_b32 v17, v17
	s_waitcnt lgkmcnt(0)
	v_cmp_lt_i32_e64 s0, v17, v18
	s_delay_alu instid0(VALU_DEP_1) | instskip(SKIP_1) | instid1(VALU_DEP_1)
	v_cndmask_b32_e64 v15, v15, v16, s0
	v_cndmask_b32_e64 v14, v19, v14, s0
	v_cmp_ge_i32_e64 s0, v14, v15
	s_delay_alu instid0(VALU_DEP_1) | instskip(NEXT) | instid1(SALU_CYCLE_1)
	s_or_b32 s2, s0, s2
	s_and_not1_b32 exec_lo, exec_lo, s2
	s_cbranch_execnz .LBB14_6
; %bb.7:
	s_or_b32 exec_lo, exec_lo, s2
.LBB14_8:
	s_delay_alu instid0(SALU_CYCLE_1) | instskip(SKIP_4) | instid1(VALU_DEP_4)
	s_or_b32 exec_lo, exec_lo, s1
	v_add_nc_u32_e32 v8, v12, v10
	v_and_b32_e32 v10, 12, v7
	v_lshl_add_u32 v9, v14, 2, v9
	v_add_nc_u32_e32 v13, v14, v13
	v_sub_nc_u32_e32 v15, v8, v14
	s_delay_alu instid0(VALU_DEP_4) | instskip(NEXT) | instid1(VALU_DEP_3)
	v_min_i32_e32 v8, v5, v10
	v_cmp_le_i32_e64 s0, v12, v13
	s_delay_alu instid0(VALU_DEP_3) | instskip(NEXT) | instid1(VALU_DEP_3)
	v_lshl_add_u32 v10, v15, 2, v4
	v_add_nc_u32_e32 v16, 2, v8
	v_cmp_gt_i32_e64 s2, v11, v15
	ds_load_b32 v17, v9
	ds_load_b32 v18, v10
	v_min_i32_e32 v10, v5, v16
	v_and_b32_e32 v16, 3, v7
	; wave barrier
	s_delay_alu instid0(VALU_DEP_2) | instskip(NEXT) | instid1(VALU_DEP_2)
	v_add_nc_u32_e32 v9, 2, v10
	v_min_i32_e32 v14, v5, v16
	v_sub_nc_u32_e32 v12, v10, v8
	s_delay_alu instid0(VALU_DEP_3) | instskip(NEXT) | instid1(VALU_DEP_2)
	v_min_i32_e32 v9, v5, v9
	v_min_i32_e32 v11, v14, v12
	v_lshl_add_u32 v12, v8, 2, v4
	s_delay_alu instid0(VALU_DEP_3) | instskip(SKIP_2) | instid1(VALU_DEP_2)
	v_sub_nc_u32_e32 v16, v9, v10
	s_waitcnt lgkmcnt(0)
	v_cmp_lt_i32_e64 s1, v18, v17
	v_sub_nc_u32_e32 v13, v14, v16
	s_delay_alu instid0(VALU_DEP_2) | instskip(SKIP_1) | instid1(VALU_DEP_1)
	s_or_b32 s1, s0, s1
	v_cmp_ge_i32_e64 s0, v14, v16
	v_cndmask_b32_e64 v13, 0, v13, s0
	s_and_b32 s0, s2, s1
	s_mov_b32 s2, 0
	v_cndmask_b32_e64 v15, v17, v18, s0
	s_mov_b32 s1, exec_lo
	ds_store_b32 v6, v15
	; wave barrier
	v_cmpx_lt_i32_e64 v13, v11
	s_cbranch_execz .LBB14_12
; %bb.9:
	v_lshlrev_b32_e32 v15, 2, v10
	v_lshlrev_b32_e32 v16, 2, v14
	s_delay_alu instid0(VALU_DEP_1)
	v_add3_u32 v15, v4, v15, v16
	.p2align	6
.LBB14_10:                              ; =>This Inner Loop Header: Depth=1
	v_sub_nc_u32_e32 v16, v11, v13
	s_delay_alu instid0(VALU_DEP_1) | instskip(NEXT) | instid1(VALU_DEP_1)
	v_lshrrev_b32_e32 v17, 31, v16
	v_add_nc_u32_e32 v16, v16, v17
	s_delay_alu instid0(VALU_DEP_1) | instskip(NEXT) | instid1(VALU_DEP_1)
	v_ashrrev_i32_e32 v16, 1, v16
	v_add_nc_u32_e32 v16, v16, v13
	s_delay_alu instid0(VALU_DEP_1) | instskip(SKIP_2) | instid1(VALU_DEP_3)
	v_not_b32_e32 v17, v16
	v_lshl_add_u32 v18, v16, 2, v12
	v_add_nc_u32_e32 v19, 1, v16
	v_lshl_add_u32 v17, v17, 2, v15
	ds_load_b32 v18, v18
	ds_load_b32 v17, v17
	s_waitcnt lgkmcnt(0)
	v_cmp_lt_i32_e64 s0, v17, v18
	s_delay_alu instid0(VALU_DEP_1) | instskip(SKIP_1) | instid1(VALU_DEP_1)
	v_cndmask_b32_e64 v11, v11, v16, s0
	v_cndmask_b32_e64 v13, v19, v13, s0
	v_cmp_ge_i32_e64 s0, v13, v11
	s_delay_alu instid0(VALU_DEP_1) | instskip(NEXT) | instid1(SALU_CYCLE_1)
	s_or_b32 s2, s0, s2
	s_and_not1_b32 exec_lo, exec_lo, s2
	s_cbranch_execnz .LBB14_10
; %bb.11:
	s_or_b32 exec_lo, exec_lo, s2
.LBB14_12:
	s_delay_alu instid0(SALU_CYCLE_1) | instskip(SKIP_4) | instid1(VALU_DEP_4)
	s_or_b32 exec_lo, exec_lo, s1
	v_add_nc_u32_e32 v11, v10, v14
	v_and_b32_e32 v14, 8, v7
	v_lshl_add_u32 v12, v13, 2, v12
	v_and_b32_e32 v18, 7, v7
	v_sub_nc_u32_e32 v15, v11, v13
	s_delay_alu instid0(VALU_DEP_4) | instskip(SKIP_1) | instid1(VALU_DEP_4)
	v_min_i32_e32 v11, v5, v14
	v_add_nc_u32_e32 v13, v13, v8
	v_min_i32_e32 v8, v5, v18
	s_delay_alu instid0(VALU_DEP_4) | instskip(NEXT) | instid1(VALU_DEP_4)
	v_lshl_add_u32 v14, v15, 2, v4
	v_add_nc_u32_e32 v16, 4, v11
	s_delay_alu instid0(VALU_DEP_4)
	v_cmp_le_i32_e64 s0, v10, v13
	v_cmp_gt_i32_e64 s2, v9, v15
	ds_load_b32 v17, v12
	ds_load_b32 v14, v14
	v_lshl_add_u32 v9, v11, 2, v4
	v_min_i32_e32 v12, v5, v16
	; wave barrier
	s_delay_alu instid0(VALU_DEP_1) | instskip(SKIP_1) | instid1(VALU_DEP_2)
	v_add_nc_u32_e32 v16, 4, v12
	v_sub_nc_u32_e32 v10, v12, v11
	v_min_i32_e32 v7, v5, v16
	s_delay_alu instid0(VALU_DEP_2) | instskip(NEXT) | instid1(VALU_DEP_2)
	v_min_i32_e32 v10, v8, v10
	v_sub_nc_u32_e32 v16, v7, v12
	s_waitcnt lgkmcnt(0)
	v_cmp_lt_i32_e64 s1, v14, v17
	s_delay_alu instid0(VALU_DEP_2) | instskip(NEXT) | instid1(VALU_DEP_2)
	v_sub_nc_u32_e32 v13, v8, v16
	s_or_b32 s1, s0, s1
	v_cmp_ge_i32_e64 s0, v8, v16
	s_delay_alu instid0(VALU_DEP_1)
	v_cndmask_b32_e64 v13, 0, v13, s0
	s_and_b32 s0, s2, s1
	s_mov_b32 s2, 0
	v_cndmask_b32_e64 v14, v17, v14, s0
	s_mov_b32 s1, exec_lo
	ds_store_b32 v6, v14
	; wave barrier
	v_cmpx_lt_i32_e64 v13, v10
	s_cbranch_execz .LBB14_16
; %bb.13:
	v_lshlrev_b32_e32 v14, 2, v12
	v_lshlrev_b32_e32 v15, 2, v8
	s_delay_alu instid0(VALU_DEP_1)
	v_add3_u32 v14, v4, v14, v15
	.p2align	6
.LBB14_14:                              ; =>This Inner Loop Header: Depth=1
	v_sub_nc_u32_e32 v15, v10, v13
	s_delay_alu instid0(VALU_DEP_1) | instskip(NEXT) | instid1(VALU_DEP_1)
	v_lshrrev_b32_e32 v16, 31, v15
	v_add_nc_u32_e32 v15, v15, v16
	s_delay_alu instid0(VALU_DEP_1) | instskip(NEXT) | instid1(VALU_DEP_1)
	v_ashrrev_i32_e32 v15, 1, v15
	v_add_nc_u32_e32 v15, v15, v13
	s_delay_alu instid0(VALU_DEP_1) | instskip(SKIP_2) | instid1(VALU_DEP_3)
	v_not_b32_e32 v16, v15
	v_lshl_add_u32 v17, v15, 2, v9
	v_add_nc_u32_e32 v18, 1, v15
	v_lshl_add_u32 v16, v16, 2, v14
	ds_load_b32 v17, v17
	ds_load_b32 v16, v16
	s_waitcnt lgkmcnt(0)
	v_cmp_lt_i32_e64 s0, v16, v17
	s_delay_alu instid0(VALU_DEP_1) | instskip(SKIP_1) | instid1(VALU_DEP_1)
	v_cndmask_b32_e64 v10, v10, v15, s0
	v_cndmask_b32_e64 v13, v18, v13, s0
	v_cmp_ge_i32_e64 s0, v13, v10
	s_delay_alu instid0(VALU_DEP_1) | instskip(NEXT) | instid1(SALU_CYCLE_1)
	s_or_b32 s2, s0, s2
	s_and_not1_b32 exec_lo, exec_lo, s2
	s_cbranch_execnz .LBB14_14
; %bb.15:
	s_or_b32 exec_lo, exec_lo, s2
.LBB14_16:
	s_delay_alu instid0(SALU_CYCLE_1) | instskip(SKIP_4) | instid1(VALU_DEP_3)
	s_or_b32 exec_lo, exec_lo, s1
	v_add_nc_u32_e32 v8, v12, v8
	v_lshl_add_u32 v9, v13, 2, v9
	v_add_nc_u32_e32 v11, v13, v11
	s_mov_b32 s3, 0
	v_sub_nc_u32_e32 v14, v8, v13
	v_min_i32_e32 v8, 0, v5
	s_delay_alu instid0(VALU_DEP_3) | instskip(NEXT) | instid1(VALU_DEP_3)
	v_cmp_le_i32_e64 s0, v12, v11
	v_lshl_add_u32 v10, v14, 2, v4
	s_delay_alu instid0(VALU_DEP_3) | instskip(SKIP_4) | instid1(VALU_DEP_1)
	v_add_nc_u32_e32 v15, 8, v8
	v_cmp_gt_i32_e64 s2, v7, v14
	ds_load_b32 v16, v9
	ds_load_b32 v17, v10
	v_min_i32_e32 v10, v5, v15
	; wave barrier
	v_add_nc_u32_e32 v9, 8, v10
	v_sub_nc_u32_e32 v11, v10, v8
	s_delay_alu instid0(VALU_DEP_2) | instskip(SKIP_1) | instid1(VALU_DEP_2)
	v_min_i32_e32 v9, v5, v9
	v_min_i32_e32 v5, v5, v0
	v_sub_nc_u32_e32 v13, v9, v10
	s_delay_alu instid0(VALU_DEP_2) | instskip(SKIP_4) | instid1(VALU_DEP_2)
	v_min_i32_e32 v12, v5, v11
	v_lshl_add_u32 v11, v8, 2, v4
	s_waitcnt lgkmcnt(0)
	v_cmp_lt_i32_e64 s1, v17, v16
	v_sub_nc_u32_e32 v15, v5, v13
	s_or_b32 s1, s0, s1
	v_cmp_ge_i32_e64 s0, v5, v13
	s_delay_alu instid0(VALU_DEP_1)
	v_cndmask_b32_e64 v7, 0, v15, s0
	s_and_b32 s0, s2, s1
	s_mov_b32 s1, exec_lo
	v_cndmask_b32_e64 v13, v16, v17, s0
	ds_store_b32 v6, v13
	; wave barrier
	v_cmpx_lt_i32_e64 v7, v12
	s_cbranch_execnz .LBB14_19
; %bb.17:
	s_or_b32 exec_lo, exec_lo, s1
	s_and_saveexec_b32 s0, vcc_lo
	s_cbranch_execnz .LBB14_22
.LBB14_18:
	s_endpgm
.LBB14_19:
	v_lshlrev_b32_e32 v6, 2, v10
	v_lshlrev_b32_e32 v13, 2, v5
	s_delay_alu instid0(VALU_DEP_1)
	v_add3_u32 v6, v4, v6, v13
	.p2align	6
.LBB14_20:                              ; =>This Inner Loop Header: Depth=1
	v_sub_nc_u32_e32 v13, v12, v7
	s_delay_alu instid0(VALU_DEP_1) | instskip(NEXT) | instid1(VALU_DEP_1)
	v_lshrrev_b32_e32 v14, 31, v13
	v_add_nc_u32_e32 v13, v13, v14
	s_delay_alu instid0(VALU_DEP_1) | instskip(NEXT) | instid1(VALU_DEP_1)
	v_ashrrev_i32_e32 v13, 1, v13
	v_add_nc_u32_e32 v13, v13, v7
	s_delay_alu instid0(VALU_DEP_1) | instskip(SKIP_2) | instid1(VALU_DEP_3)
	v_not_b32_e32 v14, v13
	v_lshl_add_u32 v15, v13, 2, v11
	v_add_nc_u32_e32 v16, 1, v13
	v_lshl_add_u32 v14, v14, 2, v6
	ds_load_b32 v15, v15
	ds_load_b32 v14, v14
	s_waitcnt lgkmcnt(0)
	v_cmp_lt_i32_e64 s0, v14, v15
	s_delay_alu instid0(VALU_DEP_1) | instskip(SKIP_1) | instid1(VALU_DEP_1)
	v_cndmask_b32_e64 v12, v12, v13, s0
	v_cndmask_b32_e64 v7, v16, v7, s0
	v_cmp_ge_i32_e64 s0, v7, v12
	s_delay_alu instid0(VALU_DEP_1) | instskip(NEXT) | instid1(SALU_CYCLE_1)
	s_or_b32 s3, s0, s3
	s_and_not1_b32 exec_lo, exec_lo, s3
	s_cbranch_execnz .LBB14_20
; %bb.21:
	s_or_b32 exec_lo, exec_lo, s3
	s_delay_alu instid0(SALU_CYCLE_1)
	s_or_b32 exec_lo, exec_lo, s1
	s_and_saveexec_b32 s0, vcc_lo
	s_cbranch_execz .LBB14_18
.LBB14_22:
	v_add_nc_u32_e32 v5, v10, v5
	v_lshl_add_u32 v6, v7, 2, v11
	v_lshlrev_b64 v[0:1], 2, v[0:1]
	v_add_co_u32 v2, s1, s6, v2
	s_delay_alu instid0(VALU_DEP_4) | instskip(SKIP_2) | instid1(VALU_DEP_3)
	v_sub_nc_u32_e32 v5, v5, v7
	v_add_nc_u32_e32 v7, v7, v8
	v_add_co_ci_u32_e64 v3, s1, s7, v3, s1
	v_lshl_add_u32 v4, v5, 2, v4
	s_delay_alu instid0(VALU_DEP_3)
	v_cmp_le_i32_e32 vcc_lo, v10, v7
	v_cmp_gt_i32_e64 s1, v9, v5
	ds_load_b32 v4, v4
	ds_load_b32 v6, v6
	s_waitcnt lgkmcnt(0)
	v_cmp_lt_i32_e64 s0, v4, v6
	s_delay_alu instid0(VALU_DEP_1)
	s_or_b32 s0, vcc_lo, s0
	v_add_co_u32 v0, vcc_lo, v2, v0
	v_add_co_ci_u32_e32 v1, vcc_lo, v3, v1, vcc_lo
	s_and_b32 vcc_lo, s1, s0
	v_cndmask_b32_e32 v2, v6, v4, vcc_lo
	global_store_b32 v[0:1], v2, off
	s_nop 0
	s_sendmsg sendmsg(MSG_DEALLOC_VGPRS)
	s_endpgm
	.section	.rodata,"a",@progbits
	.p2align	6, 0x0
	.amdhsa_kernel _Z19sort_keys_segmentedILj256ELj16ELj1EiN10test_utils4lessEEvPKT2_PS2_PKjT3_
		.amdhsa_group_segment_fixed_size 1088
		.amdhsa_private_segment_fixed_size 0
		.amdhsa_kernarg_size 28
		.amdhsa_user_sgpr_count 15
		.amdhsa_user_sgpr_dispatch_ptr 0
		.amdhsa_user_sgpr_queue_ptr 0
		.amdhsa_user_sgpr_kernarg_segment_ptr 1
		.amdhsa_user_sgpr_dispatch_id 0
		.amdhsa_user_sgpr_private_segment_size 0
		.amdhsa_wavefront_size32 1
		.amdhsa_uses_dynamic_stack 0
		.amdhsa_enable_private_segment 0
		.amdhsa_system_sgpr_workgroup_id_x 1
		.amdhsa_system_sgpr_workgroup_id_y 0
		.amdhsa_system_sgpr_workgroup_id_z 0
		.amdhsa_system_sgpr_workgroup_info 0
		.amdhsa_system_vgpr_workitem_id 0
		.amdhsa_next_free_vgpr 20
		.amdhsa_next_free_sgpr 16
		.amdhsa_reserve_vcc 1
		.amdhsa_float_round_mode_32 0
		.amdhsa_float_round_mode_16_64 0
		.amdhsa_float_denorm_mode_32 3
		.amdhsa_float_denorm_mode_16_64 3
		.amdhsa_dx10_clamp 1
		.amdhsa_ieee_mode 1
		.amdhsa_fp16_overflow 0
		.amdhsa_workgroup_processor_mode 1
		.amdhsa_memory_ordered 1
		.amdhsa_forward_progress 0
		.amdhsa_shared_vgpr_count 0
		.amdhsa_exception_fp_ieee_invalid_op 0
		.amdhsa_exception_fp_denorm_src 0
		.amdhsa_exception_fp_ieee_div_zero 0
		.amdhsa_exception_fp_ieee_overflow 0
		.amdhsa_exception_fp_ieee_underflow 0
		.amdhsa_exception_fp_ieee_inexact 0
		.amdhsa_exception_int_div_zero 0
	.end_amdhsa_kernel
	.section	.text._Z19sort_keys_segmentedILj256ELj16ELj1EiN10test_utils4lessEEvPKT2_PS2_PKjT3_,"axG",@progbits,_Z19sort_keys_segmentedILj256ELj16ELj1EiN10test_utils4lessEEvPKT2_PS2_PKjT3_,comdat
.Lfunc_end14:
	.size	_Z19sort_keys_segmentedILj256ELj16ELj1EiN10test_utils4lessEEvPKT2_PS2_PKjT3_, .Lfunc_end14-_Z19sort_keys_segmentedILj256ELj16ELj1EiN10test_utils4lessEEvPKT2_PS2_PKjT3_
                                        ; -- End function
	.section	.AMDGPU.csdata,"",@progbits
; Kernel info:
; codeLenInByte = 1800
; NumSgprs: 18
; NumVgprs: 20
; ScratchSize: 0
; MemoryBound: 0
; FloatMode: 240
; IeeeMode: 1
; LDSByteSize: 1088 bytes/workgroup (compile time only)
; SGPRBlocks: 2
; VGPRBlocks: 2
; NumSGPRsForWavesPerEU: 18
; NumVGPRsForWavesPerEU: 20
; Occupancy: 16
; WaveLimiterHint : 0
; COMPUTE_PGM_RSRC2:SCRATCH_EN: 0
; COMPUTE_PGM_RSRC2:USER_SGPR: 15
; COMPUTE_PGM_RSRC2:TRAP_HANDLER: 0
; COMPUTE_PGM_RSRC2:TGID_X_EN: 1
; COMPUTE_PGM_RSRC2:TGID_Y_EN: 0
; COMPUTE_PGM_RSRC2:TGID_Z_EN: 0
; COMPUTE_PGM_RSRC2:TIDIG_COMP_CNT: 0
	.section	.text._Z20sort_pairs_segmentedILj256ELj16ELj1EiN10test_utils4lessEEvPKT2_PS2_PKjT3_,"axG",@progbits,_Z20sort_pairs_segmentedILj256ELj16ELj1EiN10test_utils4lessEEvPKT2_PS2_PKjT3_,comdat
	.protected	_Z20sort_pairs_segmentedILj256ELj16ELj1EiN10test_utils4lessEEvPKT2_PS2_PKjT3_ ; -- Begin function _Z20sort_pairs_segmentedILj256ELj16ELj1EiN10test_utils4lessEEvPKT2_PS2_PKjT3_
	.globl	_Z20sort_pairs_segmentedILj256ELj16ELj1EiN10test_utils4lessEEvPKT2_PS2_PKjT3_
	.p2align	8
	.type	_Z20sort_pairs_segmentedILj256ELj16ELj1EiN10test_utils4lessEEvPKT2_PS2_PKjT3_,@function
_Z20sort_pairs_segmentedILj256ELj16ELj1EiN10test_utils4lessEEvPKT2_PS2_PKjT3_: ; @_Z20sort_pairs_segmentedILj256ELj16ELj1EiN10test_utils4lessEEvPKT2_PS2_PKjT3_
; %bb.0:
	s_clause 0x1
	s_load_b64 s[2:3], s[0:1], 0x10
	s_load_b128 s[4:7], s[0:1], 0x0
	v_lshrrev_b32_e32 v9, 4, v0
	v_mbcnt_lo_u32_b32 v7, -1, 0
	v_mov_b32_e32 v3, 0
	s_delay_alu instid0(VALU_DEP_3) | instskip(NEXT) | instid1(VALU_DEP_1)
	v_lshl_or_b32 v2, s15, 4, v9
	v_lshlrev_b64 v[0:1], 2, v[2:3]
	v_lshlrev_b32_e32 v2, 4, v2
	s_waitcnt lgkmcnt(0)
	s_delay_alu instid0(VALU_DEP_2) | instskip(NEXT) | instid1(VALU_DEP_3)
	v_add_co_u32 v0, vcc_lo, s2, v0
	v_add_co_ci_u32_e32 v1, vcc_lo, s3, v1, vcc_lo
	global_load_b32 v5, v[0:1], off
	v_and_b32_e32 v0, 15, v7
	s_waitcnt vmcnt(0)
	s_delay_alu instid0(VALU_DEP_1) | instskip(SKIP_1) | instid1(VALU_DEP_1)
	v_cmp_lt_u32_e32 vcc_lo, v0, v5
	v_cmp_ge_u32_e64 s0, v0, v5
	s_and_saveexec_b32 s1, s0
	s_delay_alu instid0(SALU_CYCLE_1)
	s_xor_b32 s0, exec_lo, s1
; %bb.1:
	v_mov_b32_e32 v1, v3
; %bb.2:
	s_or_saveexec_b32 s1, s0
	v_lshlrev_b64 v[2:3], 2, v[2:3]
                                        ; implicit-def: $vgpr8
	s_xor_b32 exec_lo, exec_lo, s1
	s_cbranch_execz .LBB15_4
; %bb.3:
	v_lshlrev_b32_e32 v1, 2, v0
	s_delay_alu instid0(VALU_DEP_2) | instskip(NEXT) | instid1(VALU_DEP_1)
	v_add_co_u32 v4, s0, s4, v2
	v_add_co_ci_u32_e64 v6, s0, s5, v3, s0
	s_delay_alu instid0(VALU_DEP_2) | instskip(NEXT) | instid1(VALU_DEP_1)
	v_add_co_u32 v10, s0, v4, v1
	v_add_co_ci_u32_e64 v11, s0, 0, v6, s0
	v_mov_b32_e32 v1, 0
	global_load_b32 v8, v[10:11], off
.LBB15_4:
	s_or_b32 exec_lo, exec_lo, s1
	v_and_b32_e32 v4, 14, v7
	v_and_b32_e32 v6, 1, v7
	v_lshlrev_b32_e32 v16, 2, v0
	s_mov_b32 s2, 0
	s_mov_b32 s1, exec_lo
	v_min_i32_e32 v10, v5, v4
	v_min_i32_e32 v14, v5, v6
	; wave barrier
	s_delay_alu instid0(VALU_DEP_2) | instskip(SKIP_1) | instid1(VALU_DEP_2)
	v_add_nc_u32_e32 v4, 1, v10
	v_lshlrev_b32_e32 v17, 2, v10
	v_min_i32_e32 v11, v5, v4
	s_delay_alu instid0(VALU_DEP_1) | instskip(SKIP_1) | instid1(VALU_DEP_2)
	v_add_nc_u32_e32 v4, 1, v11
	v_sub_nc_u32_e32 v15, v11, v10
	v_min_i32_e32 v12, v5, v4
	v_mul_u32_u24_e32 v4, 0x44, v9
	s_delay_alu instid0(VALU_DEP_3) | instskip(NEXT) | instid1(VALU_DEP_3)
	v_min_i32_e32 v15, v14, v15
	v_sub_nc_u32_e32 v6, v12, v11
	s_delay_alu instid0(VALU_DEP_1) | instskip(SKIP_3) | instid1(VALU_DEP_3)
	v_sub_nc_u32_e32 v13, v14, v6
	v_cmp_ge_i32_e64 s0, v14, v6
	v_mad_u32_u24 v6, 0x44, v9, v16
	v_mad_u32_u24 v9, 0x44, v9, v17
	v_cndmask_b32_e64 v13, 0, v13, s0
	s_waitcnt vmcnt(0)
	ds_store_b32 v6, v8
	; wave barrier
	v_cmpx_lt_i32_e64 v13, v15
	s_cbranch_execz .LBB15_8
; %bb.5:
	v_lshlrev_b32_e32 v16, 2, v11
	v_lshlrev_b32_e32 v17, 2, v14
	s_delay_alu instid0(VALU_DEP_1)
	v_add3_u32 v16, v4, v16, v17
	.p2align	6
.LBB15_6:                               ; =>This Inner Loop Header: Depth=1
	v_sub_nc_u32_e32 v17, v15, v13
	s_delay_alu instid0(VALU_DEP_1) | instskip(NEXT) | instid1(VALU_DEP_1)
	v_lshrrev_b32_e32 v18, 31, v17
	v_add_nc_u32_e32 v17, v17, v18
	s_delay_alu instid0(VALU_DEP_1) | instskip(NEXT) | instid1(VALU_DEP_1)
	v_ashrrev_i32_e32 v17, 1, v17
	v_add_nc_u32_e32 v17, v17, v13
	s_delay_alu instid0(VALU_DEP_1) | instskip(SKIP_2) | instid1(VALU_DEP_3)
	v_not_b32_e32 v18, v17
	v_lshl_add_u32 v19, v17, 2, v9
	v_add_nc_u32_e32 v20, 1, v17
	v_lshl_add_u32 v18, v18, 2, v16
	ds_load_b32 v19, v19
	ds_load_b32 v18, v18
	s_waitcnt lgkmcnt(0)
	v_cmp_lt_i32_e64 s0, v18, v19
	s_delay_alu instid0(VALU_DEP_1) | instskip(SKIP_1) | instid1(VALU_DEP_1)
	v_cndmask_b32_e64 v15, v15, v17, s0
	v_cndmask_b32_e64 v13, v20, v13, s0
	v_cmp_ge_i32_e64 s0, v13, v15
	s_delay_alu instid0(VALU_DEP_1) | instskip(NEXT) | instid1(SALU_CYCLE_1)
	s_or_b32 s2, s0, s2
	s_and_not1_b32 exec_lo, exec_lo, s2
	s_cbranch_execnz .LBB15_6
; %bb.7:
	s_or_b32 exec_lo, exec_lo, s2
.LBB15_8:
	s_delay_alu instid0(SALU_CYCLE_1) | instskip(SKIP_3) | instid1(VALU_DEP_3)
	s_or_b32 exec_lo, exec_lo, s1
	v_add_nc_u32_e32 v14, v11, v14
	v_lshl_add_u32 v9, v13, 2, v9
	v_add_nc_u32_e32 v8, 1, v8
	v_sub_nc_u32_e32 v14, v14, v13
	v_add_nc_u32_e32 v13, v13, v10
	s_delay_alu instid0(VALU_DEP_2) | instskip(NEXT) | instid1(VALU_DEP_2)
	v_lshl_add_u32 v15, v14, 2, v4
	v_cmp_le_i32_e64 s0, v11, v13
	v_cmp_gt_i32_e64 s2, v12, v14
	ds_load_b32 v16, v9
	ds_load_b32 v15, v15
	v_and_b32_e32 v9, 12, v7
	; wave barrier
	ds_store_b32 v6, v8
	v_and_b32_e32 v8, 3, v7
	v_min_i32_e32 v9, v5, v9
	; wave barrier
	s_delay_alu instid0(VALU_DEP_1) | instskip(NEXT) | instid1(VALU_DEP_1)
	v_add_nc_u32_e32 v10, 2, v9
	v_min_i32_e32 v10, v5, v10
	s_waitcnt lgkmcnt(1)
	v_cmp_lt_i32_e64 s1, v15, v16
	s_delay_alu instid0(VALU_DEP_2) | instskip(NEXT) | instid1(VALU_DEP_2)
	v_add_nc_u32_e32 v11, 2, v10
	s_or_b32 s0, s0, s1
	s_delay_alu instid0(VALU_DEP_1)
	v_min_i32_e32 v12, v5, v11
	s_and_b32 s0, s2, s0
	s_mov_b32 s2, 0
	v_cndmask_b32_e64 v13, v13, v14, s0
	v_cndmask_b32_e64 v16, v16, v15, s0
	v_sub_nc_u32_e32 v15, v10, v9
	s_mov_b32 s1, exec_lo
	s_delay_alu instid0(VALU_DEP_3)
	v_lshl_add_u32 v11, v13, 2, v4
	v_min_i32_e32 v13, v5, v8
	v_sub_nc_u32_e32 v8, v12, v10
	ds_load_b32 v11, v11
	v_min_i32_e32 v15, v13, v15
	v_sub_nc_u32_e32 v14, v13, v8
	v_cmp_ge_i32_e64 s0, v13, v8
	; wave barrier
	ds_store_b32 v6, v16
	v_cndmask_b32_e64 v8, 0, v14, s0
	v_lshl_add_u32 v14, v9, 2, v4
	; wave barrier
	s_delay_alu instid0(VALU_DEP_2)
	v_cmpx_lt_i32_e64 v8, v15
	s_cbranch_execz .LBB15_12
; %bb.9:
	v_lshlrev_b32_e32 v16, 2, v10
	v_lshlrev_b32_e32 v17, 2, v13
	s_delay_alu instid0(VALU_DEP_1)
	v_add3_u32 v16, v4, v16, v17
	.p2align	6
.LBB15_10:                              ; =>This Inner Loop Header: Depth=1
	v_sub_nc_u32_e32 v17, v15, v8
	s_delay_alu instid0(VALU_DEP_1) | instskip(NEXT) | instid1(VALU_DEP_1)
	v_lshrrev_b32_e32 v18, 31, v17
	v_add_nc_u32_e32 v17, v17, v18
	s_delay_alu instid0(VALU_DEP_1) | instskip(NEXT) | instid1(VALU_DEP_1)
	v_ashrrev_i32_e32 v17, 1, v17
	v_add_nc_u32_e32 v17, v17, v8
	s_delay_alu instid0(VALU_DEP_1) | instskip(SKIP_2) | instid1(VALU_DEP_3)
	v_not_b32_e32 v18, v17
	v_lshl_add_u32 v19, v17, 2, v14
	v_add_nc_u32_e32 v20, 1, v17
	v_lshl_add_u32 v18, v18, 2, v16
	ds_load_b32 v19, v19
	ds_load_b32 v18, v18
	s_waitcnt lgkmcnt(0)
	v_cmp_lt_i32_e64 s0, v18, v19
	s_delay_alu instid0(VALU_DEP_1) | instskip(SKIP_1) | instid1(VALU_DEP_1)
	v_cndmask_b32_e64 v15, v15, v17, s0
	v_cndmask_b32_e64 v8, v20, v8, s0
	v_cmp_ge_i32_e64 s0, v8, v15
	s_delay_alu instid0(VALU_DEP_1) | instskip(NEXT) | instid1(SALU_CYCLE_1)
	s_or_b32 s2, s0, s2
	s_and_not1_b32 exec_lo, exec_lo, s2
	s_cbranch_execnz .LBB15_10
; %bb.11:
	s_or_b32 exec_lo, exec_lo, s2
.LBB15_12:
	s_delay_alu instid0(SALU_CYCLE_1) | instskip(SKIP_2) | instid1(VALU_DEP_2)
	s_or_b32 exec_lo, exec_lo, s1
	v_add_nc_u32_e32 v13, v10, v13
	v_add_nc_u32_e32 v9, v8, v9
	v_sub_nc_u32_e32 v15, v13, v8
	v_lshl_add_u32 v13, v8, 2, v14
	s_delay_alu instid0(VALU_DEP_3) | instskip(NEXT) | instid1(VALU_DEP_3)
	v_cmp_le_i32_e64 s0, v10, v9
	v_lshl_add_u32 v14, v15, 2, v4
	v_cmp_gt_i32_e64 s2, v12, v15
	ds_load_b32 v16, v13
	ds_load_b32 v14, v14
	v_and_b32_e32 v13, 8, v7
	; wave barrier
	s_waitcnt lgkmcnt(3)
	ds_store_b32 v6, v11
	v_and_b32_e32 v7, 7, v7
	v_min_i32_e32 v13, v5, v13
	; wave barrier
	s_delay_alu instid0(VALU_DEP_1) | instskip(NEXT) | instid1(VALU_DEP_1)
	v_add_nc_u32_e32 v8, 4, v13
	v_min_i32_e32 v8, v5, v8
	s_waitcnt lgkmcnt(1)
	v_cmp_lt_i32_e64 s1, v14, v16
	s_delay_alu instid0(VALU_DEP_2) | instskip(NEXT) | instid1(VALU_DEP_2)
	v_add_nc_u32_e32 v10, 4, v8
	s_or_b32 s0, s0, s1
	s_mov_b32 s1, exec_lo
	s_and_b32 s0, s2, s0
	s_mov_b32 s2, 0
	v_cndmask_b32_e64 v12, v9, v15, s0
	v_min_i32_e32 v9, v5, v10
	v_min_i32_e32 v10, v5, v7
	v_cndmask_b32_e64 v16, v16, v14, s0
	v_sub_nc_u32_e32 v14, v8, v13
	v_lshl_add_u32 v11, v12, 2, v4
	v_sub_nc_u32_e32 v12, v9, v8
	s_delay_alu instid0(VALU_DEP_3)
	v_min_i32_e32 v14, v10, v14
	ds_load_b32 v7, v11
	v_sub_nc_u32_e32 v11, v10, v12
	v_cmp_ge_i32_e64 s0, v10, v12
	v_lshl_add_u32 v12, v13, 2, v4
	; wave barrier
	ds_store_b32 v6, v16
	v_cndmask_b32_e64 v11, 0, v11, s0
	; wave barrier
	s_delay_alu instid0(VALU_DEP_1)
	v_cmpx_lt_i32_e64 v11, v14
	s_cbranch_execz .LBB15_16
; %bb.13:
	v_lshlrev_b32_e32 v15, 2, v8
	v_lshlrev_b32_e32 v16, 2, v10
	s_delay_alu instid0(VALU_DEP_1)
	v_add3_u32 v15, v4, v15, v16
	.p2align	6
.LBB15_14:                              ; =>This Inner Loop Header: Depth=1
	v_sub_nc_u32_e32 v16, v14, v11
	s_delay_alu instid0(VALU_DEP_1) | instskip(NEXT) | instid1(VALU_DEP_1)
	v_lshrrev_b32_e32 v17, 31, v16
	v_add_nc_u32_e32 v16, v16, v17
	s_delay_alu instid0(VALU_DEP_1) | instskip(NEXT) | instid1(VALU_DEP_1)
	v_ashrrev_i32_e32 v16, 1, v16
	v_add_nc_u32_e32 v16, v16, v11
	s_delay_alu instid0(VALU_DEP_1) | instskip(SKIP_2) | instid1(VALU_DEP_3)
	v_not_b32_e32 v17, v16
	v_lshl_add_u32 v18, v16, 2, v12
	v_add_nc_u32_e32 v19, 1, v16
	v_lshl_add_u32 v17, v17, 2, v15
	ds_load_b32 v18, v18
	ds_load_b32 v17, v17
	s_waitcnt lgkmcnt(0)
	v_cmp_lt_i32_e64 s0, v17, v18
	s_delay_alu instid0(VALU_DEP_1) | instskip(SKIP_1) | instid1(VALU_DEP_1)
	v_cndmask_b32_e64 v14, v14, v16, s0
	v_cndmask_b32_e64 v11, v19, v11, s0
	v_cmp_ge_i32_e64 s0, v11, v14
	s_delay_alu instid0(VALU_DEP_1) | instskip(NEXT) | instid1(SALU_CYCLE_1)
	s_or_b32 s2, s0, s2
	s_and_not1_b32 exec_lo, exec_lo, s2
	s_cbranch_execnz .LBB15_14
; %bb.15:
	s_or_b32 exec_lo, exec_lo, s2
.LBB15_16:
	s_delay_alu instid0(SALU_CYCLE_1) | instskip(SKIP_1) | instid1(VALU_DEP_1)
	s_or_b32 exec_lo, exec_lo, s1
	v_add_nc_u32_e32 v10, v8, v10
	v_sub_nc_u32_e32 v14, v10, v11
	v_lshl_add_u32 v10, v11, 2, v12
	v_add_nc_u32_e32 v11, v11, v13
	s_delay_alu instid0(VALU_DEP_3) | instskip(SKIP_1) | instid1(VALU_DEP_3)
	v_lshl_add_u32 v12, v14, 2, v4
	v_cmp_gt_i32_e64 s2, v9, v14
	v_cmp_le_i32_e64 s0, v8, v11
	ds_load_b32 v15, v10
	ds_load_b32 v12, v12
	v_min_i32_e32 v10, 0, v5
	; wave barrier
	s_waitcnt lgkmcnt(3)
	ds_store_b32 v6, v7
	v_add_nc_u32_e32 v8, 8, v10
	; wave barrier
	s_delay_alu instid0(VALU_DEP_1) | instskip(NEXT) | instid1(VALU_DEP_1)
	v_min_i32_e32 v8, v5, v8
	v_add_nc_u32_e32 v9, 8, v8
	v_sub_nc_u32_e32 v13, v8, v10
	s_waitcnt lgkmcnt(1)
	v_cmp_lt_i32_e64 s1, v12, v15
	s_delay_alu instid0(VALU_DEP_3) | instskip(NEXT) | instid1(VALU_DEP_2)
	v_min_i32_e32 v7, v5, v9
	s_or_b32 s0, s0, s1
	s_mov_b32 s1, exec_lo
	s_and_b32 s0, s2, s0
	s_mov_b32 s2, 0
	v_cndmask_b32_e64 v11, v11, v14, s0
	v_cndmask_b32_e64 v15, v15, v12, s0
	s_delay_alu instid0(VALU_DEP_2)
	v_lshl_add_u32 v9, v11, 2, v4
	v_min_i32_e32 v11, v5, v0
	v_sub_nc_u32_e32 v5, v7, v8
	ds_load_b32 v9, v9
	v_min_i32_e32 v13, v11, v13
	v_sub_nc_u32_e32 v12, v11, v5
	v_cmp_ge_i32_e64 s0, v11, v5
	; wave barrier
	ds_store_b32 v6, v15
	v_cndmask_b32_e64 v5, 0, v12, s0
	v_lshl_add_u32 v12, v10, 2, v4
	; wave barrier
	s_delay_alu instid0(VALU_DEP_2)
	v_cmpx_lt_i32_e64 v5, v13
	s_cbranch_execz .LBB15_20
; %bb.17:
	v_lshlrev_b32_e32 v14, 2, v8
	v_lshlrev_b32_e32 v15, 2, v11
	s_delay_alu instid0(VALU_DEP_1)
	v_add3_u32 v14, v4, v14, v15
	.p2align	6
.LBB15_18:                              ; =>This Inner Loop Header: Depth=1
	v_sub_nc_u32_e32 v15, v13, v5
	s_delay_alu instid0(VALU_DEP_1) | instskip(NEXT) | instid1(VALU_DEP_1)
	v_lshrrev_b32_e32 v16, 31, v15
	v_add_nc_u32_e32 v15, v15, v16
	s_delay_alu instid0(VALU_DEP_1) | instskip(NEXT) | instid1(VALU_DEP_1)
	v_ashrrev_i32_e32 v15, 1, v15
	v_add_nc_u32_e32 v15, v15, v5
	s_delay_alu instid0(VALU_DEP_1) | instskip(SKIP_2) | instid1(VALU_DEP_3)
	v_not_b32_e32 v16, v15
	v_lshl_add_u32 v17, v15, 2, v12
	v_add_nc_u32_e32 v18, 1, v15
	v_lshl_add_u32 v16, v16, 2, v14
	ds_load_b32 v17, v17
	ds_load_b32 v16, v16
	s_waitcnt lgkmcnt(0)
	v_cmp_lt_i32_e64 s0, v16, v17
	s_delay_alu instid0(VALU_DEP_1) | instskip(SKIP_1) | instid1(VALU_DEP_1)
	v_cndmask_b32_e64 v13, v13, v15, s0
	v_cndmask_b32_e64 v5, v18, v5, s0
	v_cmp_ge_i32_e64 s0, v5, v13
	s_delay_alu instid0(VALU_DEP_1) | instskip(NEXT) | instid1(SALU_CYCLE_1)
	s_or_b32 s2, s0, s2
	s_and_not1_b32 exec_lo, exec_lo, s2
	s_cbranch_execnz .LBB15_18
; %bb.19:
	s_or_b32 exec_lo, exec_lo, s2
.LBB15_20:
	s_delay_alu instid0(SALU_CYCLE_1) | instskip(SKIP_2) | instid1(VALU_DEP_2)
	s_or_b32 exec_lo, exec_lo, s1
	v_add_nc_u32_e32 v11, v8, v11
	v_lshl_add_u32 v12, v5, 2, v12
	v_sub_nc_u32_e32 v11, v11, v5
	s_delay_alu instid0(VALU_DEP_1)
	v_lshl_add_u32 v13, v11, 2, v4
	ds_load_b32 v12, v12
	ds_load_b32 v13, v13
	; wave barrier
	s_waitcnt lgkmcnt(3)
	ds_store_b32 v6, v9
	; wave barrier
	s_and_saveexec_b32 s0, vcc_lo
	s_cbranch_execz .LBB15_22
; %bb.21:
	v_add_nc_u32_e32 v5, v5, v10
	s_waitcnt lgkmcnt(1)
	v_cmp_lt_i32_e64 s0, v13, v12
	v_cmp_gt_i32_e64 s1, v7, v11
	v_lshlrev_b64 v[0:1], 2, v[0:1]
	v_cmp_le_i32_e32 vcc_lo, v8, v5
	s_delay_alu instid0(VALU_DEP_4)
	s_or_b32 s0, vcc_lo, s0
	s_delay_alu instid0(VALU_DEP_3) | instid1(SALU_CYCLE_1)
	s_and_b32 vcc_lo, s1, s0
	v_dual_cndmask_b32 v6, v12, v13 :: v_dual_cndmask_b32 v5, v5, v11
	v_add_co_u32 v2, vcc_lo, s6, v2
	v_add_co_ci_u32_e32 v3, vcc_lo, s7, v3, vcc_lo
	s_delay_alu instid0(VALU_DEP_3) | instskip(NEXT) | instid1(VALU_DEP_3)
	v_lshl_add_u32 v4, v5, 2, v4
	v_add_co_u32 v0, vcc_lo, v2, v0
	s_delay_alu instid0(VALU_DEP_3)
	v_add_co_ci_u32_e32 v1, vcc_lo, v3, v1, vcc_lo
	ds_load_b32 v4, v4
	s_waitcnt lgkmcnt(0)
	v_add_nc_u32_e32 v2, v4, v6
	global_store_b32 v[0:1], v2, off
.LBB15_22:
	s_nop 0
	s_sendmsg sendmsg(MSG_DEALLOC_VGPRS)
	s_endpgm
	.section	.rodata,"a",@progbits
	.p2align	6, 0x0
	.amdhsa_kernel _Z20sort_pairs_segmentedILj256ELj16ELj1EiN10test_utils4lessEEvPKT2_PS2_PKjT3_
		.amdhsa_group_segment_fixed_size 1088
		.amdhsa_private_segment_fixed_size 0
		.amdhsa_kernarg_size 28
		.amdhsa_user_sgpr_count 15
		.amdhsa_user_sgpr_dispatch_ptr 0
		.amdhsa_user_sgpr_queue_ptr 0
		.amdhsa_user_sgpr_kernarg_segment_ptr 1
		.amdhsa_user_sgpr_dispatch_id 0
		.amdhsa_user_sgpr_private_segment_size 0
		.amdhsa_wavefront_size32 1
		.amdhsa_uses_dynamic_stack 0
		.amdhsa_enable_private_segment 0
		.amdhsa_system_sgpr_workgroup_id_x 1
		.amdhsa_system_sgpr_workgroup_id_y 0
		.amdhsa_system_sgpr_workgroup_id_z 0
		.amdhsa_system_sgpr_workgroup_info 0
		.amdhsa_system_vgpr_workitem_id 0
		.amdhsa_next_free_vgpr 21
		.amdhsa_next_free_sgpr 16
		.amdhsa_reserve_vcc 1
		.amdhsa_float_round_mode_32 0
		.amdhsa_float_round_mode_16_64 0
		.amdhsa_float_denorm_mode_32 3
		.amdhsa_float_denorm_mode_16_64 3
		.amdhsa_dx10_clamp 1
		.amdhsa_ieee_mode 1
		.amdhsa_fp16_overflow 0
		.amdhsa_workgroup_processor_mode 1
		.amdhsa_memory_ordered 1
		.amdhsa_forward_progress 0
		.amdhsa_shared_vgpr_count 0
		.amdhsa_exception_fp_ieee_invalid_op 0
		.amdhsa_exception_fp_denorm_src 0
		.amdhsa_exception_fp_ieee_div_zero 0
		.amdhsa_exception_fp_ieee_overflow 0
		.amdhsa_exception_fp_ieee_underflow 0
		.amdhsa_exception_fp_ieee_inexact 0
		.amdhsa_exception_int_div_zero 0
	.end_amdhsa_kernel
	.section	.text._Z20sort_pairs_segmentedILj256ELj16ELj1EiN10test_utils4lessEEvPKT2_PS2_PKjT3_,"axG",@progbits,_Z20sort_pairs_segmentedILj256ELj16ELj1EiN10test_utils4lessEEvPKT2_PS2_PKjT3_,comdat
.Lfunc_end15:
	.size	_Z20sort_pairs_segmentedILj256ELj16ELj1EiN10test_utils4lessEEvPKT2_PS2_PKjT3_, .Lfunc_end15-_Z20sort_pairs_segmentedILj256ELj16ELj1EiN10test_utils4lessEEvPKT2_PS2_PKjT3_
                                        ; -- End function
	.section	.AMDGPU.csdata,"",@progbits
; Kernel info:
; codeLenInByte = 1928
; NumSgprs: 18
; NumVgprs: 21
; ScratchSize: 0
; MemoryBound: 0
; FloatMode: 240
; IeeeMode: 1
; LDSByteSize: 1088 bytes/workgroup (compile time only)
; SGPRBlocks: 2
; VGPRBlocks: 2
; NumSGPRsForWavesPerEU: 18
; NumVGPRsForWavesPerEU: 21
; Occupancy: 16
; WaveLimiterHint : 0
; COMPUTE_PGM_RSRC2:SCRATCH_EN: 0
; COMPUTE_PGM_RSRC2:USER_SGPR: 15
; COMPUTE_PGM_RSRC2:TRAP_HANDLER: 0
; COMPUTE_PGM_RSRC2:TGID_X_EN: 1
; COMPUTE_PGM_RSRC2:TGID_Y_EN: 0
; COMPUTE_PGM_RSRC2:TGID_Z_EN: 0
; COMPUTE_PGM_RSRC2:TIDIG_COMP_CNT: 0
	.section	.text._Z9sort_keysILj256ELj16ELj4EiN10test_utils4lessEEvPKT2_PS2_T3_,"axG",@progbits,_Z9sort_keysILj256ELj16ELj4EiN10test_utils4lessEEvPKT2_PS2_T3_,comdat
	.protected	_Z9sort_keysILj256ELj16ELj4EiN10test_utils4lessEEvPKT2_PS2_T3_ ; -- Begin function _Z9sort_keysILj256ELj16ELj4EiN10test_utils4lessEEvPKT2_PS2_T3_
	.globl	_Z9sort_keysILj256ELj16ELj4EiN10test_utils4lessEEvPKT2_PS2_T3_
	.p2align	8
	.type	_Z9sort_keysILj256ELj16ELj4EiN10test_utils4lessEEvPKT2_PS2_T3_,@function
_Z9sort_keysILj256ELj16ELj4EiN10test_utils4lessEEvPKT2_PS2_T3_: ; @_Z9sort_keysILj256ELj16ELj4EiN10test_utils4lessEEvPKT2_PS2_T3_
; %bb.0:
	s_load_b128 s[4:7], s[0:1], 0x0
	s_mov_b32 s3, 0
	s_lshl_b32 s2, s15, 10
	v_lshlrev_b32_e32 v1, 4, v0
	s_lshl_b64 s[8:9], s[2:3], 2
	v_lshrrev_b32_e32 v9, 4, v0
	s_waitcnt lgkmcnt(0)
	s_add_u32 s0, s4, s8
	s_addc_u32 s1, s5, s9
	global_load_b128 v[12:15], v1, s[0:1]
	v_mbcnt_lo_u32_b32 v1, -1, 0
	; wave barrier
	s_waitcnt vmcnt(0)
	v_cmp_lt_i32_e32 vcc_lo, v13, v12
	v_min_i32_e32 v16, v13, v12
	v_max_i32_e32 v17, v13, v12
	v_cmp_lt_i32_e64 s0, v15, v14
	v_min_i32_e32 v18, v15, v14
	v_max_i32_e32 v20, v15, v14
	v_lshlrev_b32_e32 v3, 2, v1
	v_lshlrev_b32_e32 v4, 2, v0
	v_cndmask_b32_e32 v0, v12, v13, vcc_lo
	v_cndmask_b32_e64 v19, v15, v14, s0
	v_cndmask_b32_e32 v12, v13, v12, vcc_lo
	v_cndmask_b32_e64 v13, v14, v15, s0
	v_max_i32_e32 v14, v18, v17
	v_cmp_lt_i32_e32 vcc_lo, v18, v17
	v_min_i32_e32 v15, v18, v17
	v_cmp_lt_i32_e64 s0, v18, v16
	v_cmp_gt_i32_e64 s1, v17, v20
	v_dual_cndmask_b32 v12, v12, v18 :: v_dual_and_b32 v1, 60, v3
	v_cndmask_b32_e32 v13, v13, v17, vcc_lo
	s_delay_alu instid0(VALU_DEP_4)
	v_cndmask_b32_e64 v17, v0, v15, s0
	v_cndmask_b32_e64 v15, v15, v16, s0
	;; [unrolled: 1-line block ×5, first 2 shown]
	v_and_b32_e32 v11, 4, v3
	v_cndmask_b32_e64 v13, v13, v20, s1
	s_delay_alu instid0(VALU_DEP_4) | instskip(SKIP_1) | instid1(VALU_DEP_3)
	v_cmp_lt_i32_e32 vcc_lo, v14, v15
	v_and_b32_e32 v7, 56, v3
	v_dual_cndmask_b32 v13, v13, v15 :: v_dual_lshlrev_b32 v2, 2, v1
	v_cndmask_b32_e32 v12, v12, v14, vcc_lo
	s_delay_alu instid0(VALU_DEP_3)
	v_or_b32_e32 v6, 4, v7
	v_add_nc_u32_e32 v5, 8, v7
	v_lshlrev_b32_e32 v10, 2, v7
	v_mad_u32_u24 v2, 0x104, v9, v2
	ds_store_2addr_b32 v2, v17, v12 offset1:1
	ds_store_2addr_b32 v2, v13, v18 offset0:2 offset1:3
	v_sub_nc_u32_e32 v8, v5, v6
	v_sub_nc_u32_e32 v0, v6, v7
	v_mad_u32_u24 v10, 0x104, v9, v10
	; wave barrier
	s_delay_alu instid0(VALU_DEP_3) | instskip(SKIP_1) | instid1(VALU_DEP_4)
	v_sub_nc_u32_e32 v19, v11, v8
	v_cmp_ge_i32_e64 s0, v11, v8
	v_min_i32_e32 v0, v11, v0
	s_delay_alu instid0(VALU_DEP_2) | instskip(SKIP_1) | instid1(VALU_DEP_1)
	v_cndmask_b32_e64 v8, 0, v19, s0
	s_mov_b32 s0, exec_lo
	v_cmpx_lt_i32_e64 v8, v0
	s_cbranch_execz .LBB16_4
; %bb.1:
	v_lshlrev_b32_e32 v12, 2, v11
	s_delay_alu instid0(VALU_DEP_1)
	v_add3_u32 v12, v10, v12, 16
	.p2align	6
.LBB16_2:                               ; =>This Inner Loop Header: Depth=1
	v_sub_nc_u32_e32 v13, v0, v8
	s_delay_alu instid0(VALU_DEP_1) | instskip(NEXT) | instid1(VALU_DEP_1)
	v_lshrrev_b32_e32 v14, 31, v13
	v_add_nc_u32_e32 v13, v13, v14
	s_delay_alu instid0(VALU_DEP_1) | instskip(NEXT) | instid1(VALU_DEP_1)
	v_ashrrev_i32_e32 v13, 1, v13
	v_add_nc_u32_e32 v13, v13, v8
	s_delay_alu instid0(VALU_DEP_1) | instskip(SKIP_2) | instid1(VALU_DEP_3)
	v_not_b32_e32 v14, v13
	v_lshl_add_u32 v15, v13, 2, v10
	v_add_nc_u32_e32 v16, 1, v13
	v_lshl_add_u32 v14, v14, 2, v12
	ds_load_b32 v15, v15
	ds_load_b32 v14, v14
	s_waitcnt lgkmcnt(0)
	v_cmp_lt_i32_e32 vcc_lo, v14, v15
	v_cndmask_b32_e32 v8, v16, v8, vcc_lo
	v_cndmask_b32_e32 v0, v0, v13, vcc_lo
	s_delay_alu instid0(VALU_DEP_1) | instskip(SKIP_1) | instid1(SALU_CYCLE_1)
	v_cmp_ge_i32_e32 vcc_lo, v8, v0
	s_or_b32 s3, vcc_lo, s3
	s_and_not1_b32 exec_lo, exec_lo, s3
	s_cbranch_execnz .LBB16_2
; %bb.3:
	s_or_b32 exec_lo, exec_lo, s3
.LBB16_4:
	s_delay_alu instid0(SALU_CYCLE_1)
	s_or_b32 exec_lo, exec_lo, s0
	v_mul_u32_u24_e32 v0, 0x104, v9
	v_add_nc_u32_e32 v9, v7, v11
	v_lshl_add_u32 v15, v8, 2, v10
	v_add_nc_u32_e32 v11, v6, v11
	v_cmp_lt_i32_e32 vcc_lo, 3, v8
                                        ; implicit-def: $vgpr12
	s_delay_alu instid0(VALU_DEP_4) | instskip(NEXT) | instid1(VALU_DEP_3)
	v_sub_nc_u32_e32 v9, v9, v8
	v_sub_nc_u32_e32 v13, v11, v8
                                        ; implicit-def: $vgpr11
	s_delay_alu instid0(VALU_DEP_2)
	v_lshl_add_u32 v14, v9, 2, v0
	ds_load_b32 v9, v15
	ds_load_b32 v10, v14 offset:16
	v_cmp_gt_i32_e64 s1, v5, v13
	s_waitcnt lgkmcnt(0)
	v_cmp_lt_i32_e64 s0, v10, v9
	s_delay_alu instid0(VALU_DEP_1)
	s_or_b32 s0, vcc_lo, s0
	s_delay_alu instid0(VALU_DEP_2) | instid1(SALU_CYCLE_1)
	s_and_b32 vcc_lo, s1, s0
	s_delay_alu instid0(SALU_CYCLE_1) | instskip(NEXT) | instid1(SALU_CYCLE_1)
	s_xor_b32 s0, vcc_lo, -1
	s_and_saveexec_b32 s1, s0
	s_delay_alu instid0(SALU_CYCLE_1)
	s_xor_b32 s0, exec_lo, s1
	s_cbranch_execz .LBB16_6
; %bb.5:
	ds_load_b32 v12, v15 offset:4
	v_mov_b32_e32 v11, v10
                                        ; implicit-def: $vgpr14
.LBB16_6:
	s_and_not1_saveexec_b32 s0, s0
	s_cbranch_execz .LBB16_8
; %bb.7:
	ds_load_b32 v11, v14 offset:20
	s_waitcnt lgkmcnt(1)
	v_mov_b32_e32 v12, v9
.LBB16_8:
	s_or_b32 exec_lo, exec_lo, s0
	v_add_nc_u32_e32 v7, v8, v7
	s_waitcnt lgkmcnt(0)
	s_delay_alu instid0(VALU_DEP_2) | instskip(NEXT) | instid1(VALU_DEP_2)
	v_cmp_lt_i32_e64 s1, v11, v12
	v_add_nc_u32_e32 v8, 1, v7
	s_delay_alu instid0(VALU_DEP_1) | instskip(NEXT) | instid1(VALU_DEP_1)
	v_dual_cndmask_b32 v14, v8, v7 :: v_dual_add_nc_u32 v15, 1, v13
	v_cndmask_b32_e32 v13, v13, v15, vcc_lo
                                        ; implicit-def: $vgpr7
	s_delay_alu instid0(VALU_DEP_2) | instskip(NEXT) | instid1(VALU_DEP_2)
	v_cmp_ge_i32_e64 s0, v14, v6
	v_cmp_lt_i32_e64 s2, v13, v5
	s_delay_alu instid0(VALU_DEP_2)
	s_or_b32 s0, s0, s1
	s_delay_alu instid0(VALU_DEP_1) | instid1(SALU_CYCLE_1)
	s_and_b32 s0, s2, s0
	s_delay_alu instid0(SALU_CYCLE_1) | instskip(NEXT) | instid1(SALU_CYCLE_1)
	s_xor_b32 s1, s0, -1
	s_and_saveexec_b32 s2, s1
	s_delay_alu instid0(SALU_CYCLE_1)
	s_xor_b32 s1, exec_lo, s2
	s_cbranch_execz .LBB16_10
; %bb.9:
	v_lshl_add_u32 v7, v14, 2, v0
	ds_load_b32 v7, v7 offset:4
.LBB16_10:
	s_or_saveexec_b32 s1, s1
	v_mov_b32_e32 v8, v11
	s_xor_b32 exec_lo, exec_lo, s1
	s_cbranch_execz .LBB16_12
; %bb.11:
	s_waitcnt lgkmcnt(0)
	v_lshl_add_u32 v7, v13, 2, v0
	ds_load_b32 v8, v7 offset:4
	v_mov_b32_e32 v7, v12
.LBB16_12:
	s_or_b32 exec_lo, exec_lo, s1
	v_add_nc_u32_e32 v15, 1, v14
	v_add_nc_u32_e32 v17, 1, v13
	s_waitcnt lgkmcnt(0)
	v_cmp_lt_i32_e64 s2, v8, v7
	s_delay_alu instid0(VALU_DEP_3) | instskip(NEXT) | instid1(VALU_DEP_3)
	v_cndmask_b32_e64 v16, v15, v14, s0
	v_cndmask_b32_e64 v15, v13, v17, s0
                                        ; implicit-def: $vgpr14
	s_delay_alu instid0(VALU_DEP_2) | instskip(NEXT) | instid1(VALU_DEP_2)
	v_cmp_ge_i32_e64 s1, v16, v6
	v_cmp_lt_i32_e64 s3, v15, v5
	s_delay_alu instid0(VALU_DEP_2)
	s_or_b32 s1, s1, s2
	s_delay_alu instid0(VALU_DEP_1) | instid1(SALU_CYCLE_1)
	s_and_b32 s1, s3, s1
	s_delay_alu instid0(SALU_CYCLE_1) | instskip(NEXT) | instid1(SALU_CYCLE_1)
	s_xor_b32 s2, s1, -1
	s_and_saveexec_b32 s3, s2
	s_delay_alu instid0(SALU_CYCLE_1)
	s_xor_b32 s2, exec_lo, s3
	s_cbranch_execz .LBB16_14
; %bb.13:
	v_lshl_add_u32 v13, v16, 2, v0
	ds_load_b32 v14, v13 offset:4
.LBB16_14:
	s_or_saveexec_b32 s2, s2
	v_mov_b32_e32 v17, v8
	s_xor_b32 exec_lo, exec_lo, s2
	s_cbranch_execz .LBB16_16
; %bb.15:
	v_lshl_add_u32 v13, v15, 2, v0
	s_waitcnt lgkmcnt(0)
	v_mov_b32_e32 v14, v7
	ds_load_b32 v17, v13 offset:4
.LBB16_16:
	s_or_b32 exec_lo, exec_lo, s2
	v_dual_cndmask_b32 v10, v9, v10 :: v_dual_and_b32 v13, 48, v3
	v_add_nc_u32_e32 v19, 1, v16
	v_add_nc_u32_e32 v20, 1, v15
	v_cndmask_b32_e64 v18, v7, v8, s1
	s_delay_alu instid0(VALU_DEP_4)
	v_or_b32_e32 v8, 8, v13
	v_add_nc_u32_e32 v7, 16, v13
	v_cndmask_b32_e64 v16, v19, v16, s1
	v_cndmask_b32_e64 v15, v15, v20, s1
	v_cndmask_b32_e64 v12, v12, v11, s0
	s_waitcnt lgkmcnt(0)
	v_cmp_lt_i32_e64 s0, v17, v14
	v_and_b32_e32 v11, 12, v3
	v_sub_nc_u32_e32 v19, v7, v8
	v_cmp_ge_i32_e64 s1, v16, v6
	v_cmp_lt_i32_e32 vcc_lo, v15, v5
	v_sub_nc_u32_e32 v6, v8, v13
	s_delay_alu instid0(VALU_DEP_4) | instskip(NEXT) | instid1(VALU_DEP_4)
	v_sub_nc_u32_e32 v16, v11, v19
	s_or_b32 s1, s1, s0
	v_cmp_ge_i32_e64 s0, v11, v19
	s_and_b32 vcc_lo, vcc_lo, s1
	v_min_i32_e32 v9, v11, v6
	v_cndmask_b32_e32 v14, v14, v17, vcc_lo
	v_lshl_add_u32 v6, v13, 2, v0
	v_cndmask_b32_e64 v5, 0, v16, s0
	s_mov_b32 s1, 0
	s_mov_b32 s0, exec_lo
	; wave barrier
	ds_store_2addr_b32 v2, v10, v12 offset1:1
	ds_store_2addr_b32 v2, v18, v14 offset0:2 offset1:3
	; wave barrier
	v_cmpx_lt_i32_e64 v5, v9
	s_cbranch_execz .LBB16_20
; %bb.17:
	v_lshlrev_b32_e32 v10, 2, v11
	s_delay_alu instid0(VALU_DEP_1)
	v_add3_u32 v10, v6, v10, 32
	.p2align	6
.LBB16_18:                              ; =>This Inner Loop Header: Depth=1
	v_sub_nc_u32_e32 v12, v9, v5
	s_delay_alu instid0(VALU_DEP_1) | instskip(NEXT) | instid1(VALU_DEP_1)
	v_lshrrev_b32_e32 v14, 31, v12
	v_add_nc_u32_e32 v12, v12, v14
	s_delay_alu instid0(VALU_DEP_1) | instskip(NEXT) | instid1(VALU_DEP_1)
	v_ashrrev_i32_e32 v12, 1, v12
	v_add_nc_u32_e32 v12, v12, v5
	s_delay_alu instid0(VALU_DEP_1) | instskip(SKIP_2) | instid1(VALU_DEP_3)
	v_not_b32_e32 v14, v12
	v_lshl_add_u32 v15, v12, 2, v6
	v_add_nc_u32_e32 v16, 1, v12
	v_lshl_add_u32 v14, v14, 2, v10
	ds_load_b32 v15, v15
	ds_load_b32 v14, v14
	s_waitcnt lgkmcnt(0)
	v_cmp_lt_i32_e32 vcc_lo, v14, v15
	v_cndmask_b32_e32 v9, v9, v12, vcc_lo
	v_cndmask_b32_e32 v5, v16, v5, vcc_lo
	s_delay_alu instid0(VALU_DEP_1) | instskip(SKIP_1) | instid1(SALU_CYCLE_1)
	v_cmp_ge_i32_e32 vcc_lo, v5, v9
	s_or_b32 s1, vcc_lo, s1
	s_and_not1_b32 exec_lo, exec_lo, s1
	s_cbranch_execnz .LBB16_18
; %bb.19:
	s_or_b32 exec_lo, exec_lo, s1
.LBB16_20:
	s_delay_alu instid0(SALU_CYCLE_1) | instskip(SKIP_4) | instid1(VALU_DEP_4)
	s_or_b32 exec_lo, exec_lo, s0
	v_add_nc_u32_e32 v9, v13, v11
	v_lshl_add_u32 v15, v5, 2, v6
	v_add_nc_u32_e32 v6, v8, v11
	v_cmp_lt_i32_e32 vcc_lo, 7, v5
                                        ; implicit-def: $vgpr11
                                        ; implicit-def: $vgpr12
	v_sub_nc_u32_e32 v9, v9, v5
	s_delay_alu instid0(VALU_DEP_3) | instskip(NEXT) | instid1(VALU_DEP_2)
	v_sub_nc_u32_e32 v6, v6, v5
	v_lshl_add_u32 v14, v9, 2, v0
	ds_load_b32 v9, v15
	ds_load_b32 v10, v14 offset:32
	v_cmp_gt_i32_e64 s1, v7, v6
	s_waitcnt lgkmcnt(0)
	v_cmp_lt_i32_e64 s0, v10, v9
	s_delay_alu instid0(VALU_DEP_1)
	s_or_b32 s0, vcc_lo, s0
	s_delay_alu instid0(VALU_DEP_2) | instid1(SALU_CYCLE_1)
	s_and_b32 vcc_lo, s1, s0
	s_delay_alu instid0(SALU_CYCLE_1) | instskip(NEXT) | instid1(SALU_CYCLE_1)
	s_xor_b32 s0, vcc_lo, -1
	s_and_saveexec_b32 s1, s0
	s_delay_alu instid0(SALU_CYCLE_1)
	s_xor_b32 s0, exec_lo, s1
	s_cbranch_execz .LBB16_22
; %bb.21:
	ds_load_b32 v12, v15 offset:4
	v_mov_b32_e32 v11, v10
                                        ; implicit-def: $vgpr14
.LBB16_22:
	s_and_not1_saveexec_b32 s0, s0
	s_cbranch_execz .LBB16_24
; %bb.23:
	ds_load_b32 v11, v14 offset:36
	s_waitcnt lgkmcnt(1)
	v_mov_b32_e32 v12, v9
.LBB16_24:
	s_or_b32 exec_lo, exec_lo, s0
	v_add_nc_u32_e32 v5, v5, v13
	s_waitcnt lgkmcnt(0)
	s_delay_alu instid0(VALU_DEP_2) | instskip(NEXT) | instid1(VALU_DEP_2)
	v_cmp_lt_i32_e64 s1, v11, v12
	v_add_nc_u32_e32 v13, 1, v5
	s_delay_alu instid0(VALU_DEP_1) | instskip(NEXT) | instid1(VALU_DEP_1)
	v_dual_cndmask_b32 v14, v13, v5 :: v_dual_add_nc_u32 v15, 1, v6
	v_cndmask_b32_e32 v13, v6, v15, vcc_lo
                                        ; implicit-def: $vgpr5
	s_delay_alu instid0(VALU_DEP_2) | instskip(NEXT) | instid1(VALU_DEP_2)
	v_cmp_ge_i32_e64 s0, v14, v8
	v_cmp_lt_i32_e64 s2, v13, v7
	s_delay_alu instid0(VALU_DEP_2)
	s_or_b32 s0, s0, s1
	s_delay_alu instid0(VALU_DEP_1) | instid1(SALU_CYCLE_1)
	s_and_b32 s0, s2, s0
	s_delay_alu instid0(SALU_CYCLE_1) | instskip(NEXT) | instid1(SALU_CYCLE_1)
	s_xor_b32 s1, s0, -1
	s_and_saveexec_b32 s2, s1
	s_delay_alu instid0(SALU_CYCLE_1)
	s_xor_b32 s1, exec_lo, s2
	s_cbranch_execz .LBB16_26
; %bb.25:
	v_lshl_add_u32 v5, v14, 2, v0
	ds_load_b32 v5, v5 offset:4
.LBB16_26:
	s_or_saveexec_b32 s1, s1
	v_mov_b32_e32 v6, v11
	s_xor_b32 exec_lo, exec_lo, s1
	s_cbranch_execz .LBB16_28
; %bb.27:
	s_waitcnt lgkmcnt(0)
	v_lshl_add_u32 v5, v13, 2, v0
	ds_load_b32 v6, v5 offset:4
	v_mov_b32_e32 v5, v12
.LBB16_28:
	s_or_b32 exec_lo, exec_lo, s1
	v_add_nc_u32_e32 v15, 1, v14
	v_add_nc_u32_e32 v17, 1, v13
	s_waitcnt lgkmcnt(0)
	v_cmp_lt_i32_e64 s2, v6, v5
	s_delay_alu instid0(VALU_DEP_3) | instskip(NEXT) | instid1(VALU_DEP_3)
	v_cndmask_b32_e64 v16, v15, v14, s0
	v_cndmask_b32_e64 v15, v13, v17, s0
                                        ; implicit-def: $vgpr14
	s_delay_alu instid0(VALU_DEP_2) | instskip(NEXT) | instid1(VALU_DEP_2)
	v_cmp_ge_i32_e64 s1, v16, v8
	v_cmp_lt_i32_e64 s3, v15, v7
	s_delay_alu instid0(VALU_DEP_2)
	s_or_b32 s1, s1, s2
	s_delay_alu instid0(VALU_DEP_1) | instid1(SALU_CYCLE_1)
	s_and_b32 s1, s3, s1
	s_delay_alu instid0(SALU_CYCLE_1) | instskip(NEXT) | instid1(SALU_CYCLE_1)
	s_xor_b32 s2, s1, -1
	s_and_saveexec_b32 s3, s2
	s_delay_alu instid0(SALU_CYCLE_1)
	s_xor_b32 s2, exec_lo, s3
	s_cbranch_execz .LBB16_30
; %bb.29:
	v_lshl_add_u32 v13, v16, 2, v0
	ds_load_b32 v14, v13 offset:4
.LBB16_30:
	s_or_saveexec_b32 s2, s2
	v_mov_b32_e32 v17, v6
	s_xor_b32 exec_lo, exec_lo, s2
	s_cbranch_execz .LBB16_32
; %bb.31:
	v_lshl_add_u32 v13, v15, 2, v0
	s_waitcnt lgkmcnt(0)
	v_mov_b32_e32 v14, v5
	ds_load_b32 v17, v13 offset:4
.LBB16_32:
	s_or_b32 exec_lo, exec_lo, s2
	v_add_nc_u32_e32 v19, 1, v16
	v_dual_cndmask_b32 v9, v9, v10 :: v_dual_add_nc_u32 v20, 1, v15
	v_cndmask_b32_e64 v18, v5, v6, s1
	v_cndmask_b32_e64 v12, v12, v11, s0
	s_delay_alu instid0(VALU_DEP_4) | instskip(NEXT) | instid1(VALU_DEP_4)
	v_cndmask_b32_e64 v16, v19, v16, s1
	v_cndmask_b32_e64 v15, v15, v20, s1
	s_waitcnt lgkmcnt(0)
	v_cmp_lt_i32_e64 s0, v17, v14
	v_and_b32_e32 v11, 28, v3
	v_cmp_ge_i32_e64 s1, v16, v8
	v_cmp_lt_i32_e32 vcc_lo, v15, v7
	; wave barrier
	s_delay_alu instid0(VALU_DEP_2) | instskip(NEXT) | instid1(SALU_CYCLE_1)
	s_or_b32 s1, s1, s0
	s_and_b32 vcc_lo, vcc_lo, s1
	v_and_b32_e32 v13, 32, v3
	s_mov_b32 s1, 0
	s_delay_alu instid0(VALU_DEP_1) | instskip(NEXT) | instid1(VALU_DEP_1)
	v_or_b32_e32 v6, 16, v13
	v_sub_nc_u32_e32 v8, v6, v13
	s_delay_alu instid0(VALU_DEP_1)
	v_min_i32_e32 v7, v11, v8
	v_cndmask_b32_e32 v8, v14, v17, vcc_lo
	v_add_nc_u32_e32 v5, 32, v13
	ds_store_2addr_b32 v2, v9, v12 offset1:1
	ds_store_2addr_b32 v2, v18, v8 offset0:2 offset1:3
	v_sub_nc_u32_e32 v3, v5, v6
	; wave barrier
	s_delay_alu instid0(VALU_DEP_1) | instskip(SKIP_2) | instid1(VALU_DEP_2)
	v_sub_nc_u32_e32 v10, v11, v3
	v_cmp_ge_i32_e64 s0, v11, v3
	v_lshl_add_u32 v3, v13, 2, v0
	v_cndmask_b32_e64 v10, 0, v10, s0
	s_mov_b32 s0, exec_lo
	s_delay_alu instid0(VALU_DEP_1)
	v_cmpx_lt_i32_e64 v10, v7
	s_cbranch_execz .LBB16_36
; %bb.33:
	v_lshlrev_b32_e32 v8, 2, v11
	s_delay_alu instid0(VALU_DEP_1)
	v_add3_u32 v8, v3, v8, 64
	.p2align	6
.LBB16_34:                              ; =>This Inner Loop Header: Depth=1
	v_sub_nc_u32_e32 v9, v7, v10
	s_delay_alu instid0(VALU_DEP_1) | instskip(NEXT) | instid1(VALU_DEP_1)
	v_lshrrev_b32_e32 v12, 31, v9
	v_add_nc_u32_e32 v9, v9, v12
	s_delay_alu instid0(VALU_DEP_1) | instskip(NEXT) | instid1(VALU_DEP_1)
	v_ashrrev_i32_e32 v9, 1, v9
	v_add_nc_u32_e32 v9, v9, v10
	s_delay_alu instid0(VALU_DEP_1) | instskip(SKIP_2) | instid1(VALU_DEP_3)
	v_not_b32_e32 v12, v9
	v_lshl_add_u32 v14, v9, 2, v3
	v_add_nc_u32_e32 v15, 1, v9
	v_lshl_add_u32 v12, v12, 2, v8
	ds_load_b32 v14, v14
	ds_load_b32 v12, v12
	s_waitcnt lgkmcnt(0)
	v_cmp_lt_i32_e32 vcc_lo, v12, v14
	v_cndmask_b32_e32 v10, v15, v10, vcc_lo
	v_cndmask_b32_e32 v7, v7, v9, vcc_lo
	s_delay_alu instid0(VALU_DEP_1) | instskip(SKIP_1) | instid1(SALU_CYCLE_1)
	v_cmp_ge_i32_e32 vcc_lo, v10, v7
	s_or_b32 s1, vcc_lo, s1
	s_and_not1_b32 exec_lo, exec_lo, s1
	s_cbranch_execnz .LBB16_34
; %bb.35:
	s_or_b32 exec_lo, exec_lo, s1
.LBB16_36:
	s_delay_alu instid0(SALU_CYCLE_1) | instskip(SKIP_4) | instid1(VALU_DEP_4)
	s_or_b32 exec_lo, exec_lo, s0
	v_add_nc_u32_e32 v7, v13, v11
	v_lshl_add_u32 v14, v10, 2, v3
	v_add_nc_u32_e32 v8, v6, v11
	v_cmp_lt_i32_e32 vcc_lo, 15, v10
                                        ; implicit-def: $vgpr9
	v_sub_nc_u32_e32 v7, v7, v10
	s_delay_alu instid0(VALU_DEP_3) | instskip(NEXT) | instid1(VALU_DEP_2)
	v_sub_nc_u32_e32 v11, v8, v10
                                        ; implicit-def: $vgpr8
	v_lshl_add_u32 v12, v7, 2, v0
	ds_load_b32 v3, v14
	ds_load_b32 v7, v12 offset:64
	v_cmp_gt_i32_e64 s1, v5, v11
	s_waitcnt lgkmcnt(0)
	v_cmp_lt_i32_e64 s0, v7, v3
	s_delay_alu instid0(VALU_DEP_1)
	s_or_b32 s0, vcc_lo, s0
	s_delay_alu instid0(VALU_DEP_2) | instid1(SALU_CYCLE_1)
	s_and_b32 vcc_lo, s1, s0
	s_delay_alu instid0(SALU_CYCLE_1) | instskip(NEXT) | instid1(SALU_CYCLE_1)
	s_xor_b32 s0, vcc_lo, -1
	s_and_saveexec_b32 s1, s0
	s_delay_alu instid0(SALU_CYCLE_1)
	s_xor_b32 s0, exec_lo, s1
	s_cbranch_execz .LBB16_38
; %bb.37:
	ds_load_b32 v9, v14 offset:4
	v_mov_b32_e32 v8, v7
                                        ; implicit-def: $vgpr12
.LBB16_38:
	s_and_not1_saveexec_b32 s0, s0
	s_cbranch_execz .LBB16_40
; %bb.39:
	ds_load_b32 v8, v12 offset:68
	s_waitcnt lgkmcnt(1)
	v_mov_b32_e32 v9, v3
.LBB16_40:
	s_or_b32 exec_lo, exec_lo, s0
	v_add_nc_u32_e32 v10, v10, v13
	s_waitcnt lgkmcnt(0)
	s_delay_alu instid0(VALU_DEP_2) | instskip(NEXT) | instid1(VALU_DEP_2)
	v_cmp_lt_i32_e64 s1, v8, v9
	v_add_nc_u32_e32 v12, 1, v10
	s_delay_alu instid0(VALU_DEP_1) | instskip(NEXT) | instid1(VALU_DEP_1)
	v_dual_cndmask_b32 v13, v12, v10 :: v_dual_add_nc_u32 v14, 1, v11
	v_cndmask_b32_e32 v12, v11, v14, vcc_lo
                                        ; implicit-def: $vgpr10
	s_delay_alu instid0(VALU_DEP_2) | instskip(NEXT) | instid1(VALU_DEP_2)
	v_cmp_ge_i32_e64 s0, v13, v6
	v_cmp_lt_i32_e64 s2, v12, v5
	s_delay_alu instid0(VALU_DEP_2)
	s_or_b32 s0, s0, s1
	s_delay_alu instid0(VALU_DEP_1) | instid1(SALU_CYCLE_1)
	s_and_b32 s0, s2, s0
	s_delay_alu instid0(SALU_CYCLE_1) | instskip(NEXT) | instid1(SALU_CYCLE_1)
	s_xor_b32 s1, s0, -1
	s_and_saveexec_b32 s2, s1
	s_delay_alu instid0(SALU_CYCLE_1)
	s_xor_b32 s1, exec_lo, s2
	s_cbranch_execz .LBB16_42
; %bb.41:
	v_lshl_add_u32 v10, v13, 2, v0
	ds_load_b32 v10, v10 offset:4
.LBB16_42:
	s_or_saveexec_b32 s1, s1
	v_mov_b32_e32 v11, v8
	s_xor_b32 exec_lo, exec_lo, s1
	s_cbranch_execz .LBB16_44
; %bb.43:
	s_waitcnt lgkmcnt(0)
	v_lshl_add_u32 v10, v12, 2, v0
	ds_load_b32 v11, v10 offset:4
	v_mov_b32_e32 v10, v9
.LBB16_44:
	s_or_b32 exec_lo, exec_lo, s1
	v_add_nc_u32_e32 v14, 1, v13
	v_add_nc_u32_e32 v15, 1, v12
	s_waitcnt lgkmcnt(0)
	v_cmp_lt_i32_e64 s2, v11, v10
	s_delay_alu instid0(VALU_DEP_3) | instskip(NEXT) | instid1(VALU_DEP_3)
	v_cndmask_b32_e64 v14, v14, v13, s0
	v_cndmask_b32_e64 v13, v12, v15, s0
                                        ; implicit-def: $vgpr12
	s_delay_alu instid0(VALU_DEP_2) | instskip(NEXT) | instid1(VALU_DEP_2)
	v_cmp_ge_i32_e64 s1, v14, v6
	v_cmp_lt_i32_e64 s3, v13, v5
	s_delay_alu instid0(VALU_DEP_2)
	s_or_b32 s1, s1, s2
	s_delay_alu instid0(VALU_DEP_1) | instid1(SALU_CYCLE_1)
	s_and_b32 s1, s3, s1
	s_delay_alu instid0(SALU_CYCLE_1) | instskip(NEXT) | instid1(SALU_CYCLE_1)
	s_xor_b32 s2, s1, -1
	s_and_saveexec_b32 s3, s2
	s_delay_alu instid0(SALU_CYCLE_1)
	s_xor_b32 s2, exec_lo, s3
	s_cbranch_execz .LBB16_46
; %bb.45:
	v_lshl_add_u32 v12, v14, 2, v0
	ds_load_b32 v12, v12 offset:4
.LBB16_46:
	s_or_saveexec_b32 s2, s2
	v_mov_b32_e32 v15, v11
	s_xor_b32 exec_lo, exec_lo, s2
	s_cbranch_execz .LBB16_48
; %bb.47:
	s_waitcnt lgkmcnt(0)
	v_lshl_add_u32 v12, v13, 2, v0
	ds_load_b32 v15, v12 offset:4
	v_mov_b32_e32 v12, v10
.LBB16_48:
	s_or_b32 exec_lo, exec_lo, s2
	v_add_nc_u32_e32 v16, 1, v14
	v_add_nc_u32_e32 v17, 1, v13
	v_cndmask_b32_e64 v10, v10, v11, s1
	; wave barrier
	s_delay_alu instid0(VALU_DEP_3) | instskip(NEXT) | instid1(VALU_DEP_3)
	v_cndmask_b32_e64 v14, v16, v14, s1
	v_cndmask_b32_e64 v13, v13, v17, s1
	s_waitcnt lgkmcnt(0)
	v_cmp_lt_i32_e64 s1, v15, v12
	s_delay_alu instid0(VALU_DEP_3)
	v_cmp_ge_i32_e64 s2, v14, v6
	v_cndmask_b32_e64 v6, v9, v8, s0
	v_cmp_lt_i32_e64 s0, v13, v5
	v_cndmask_b32_e32 v5, v3, v7, vcc_lo
	v_sub_nc_u32_e64 v7, v1, 32 clamp
	s_or_b32 s1, s2, s1
	v_min_i32_e32 v3, 32, v1
	s_and_b32 vcc_lo, s0, s1
	s_mov_b32 s0, exec_lo
	v_cndmask_b32_e32 v8, v12, v15, vcc_lo
	ds_store_2addr_b32 v2, v5, v6 offset1:1
	ds_store_2addr_b32 v2, v10, v8 offset0:2 offset1:3
	; wave barrier
	v_cmpx_lt_u32_e64 v7, v3
	s_cbranch_execz .LBB16_52
; %bb.49:
	v_add_nc_u32_e32 v2, 0x80, v2
	s_mov_b32 s1, 0
	.p2align	6
.LBB16_50:                              ; =>This Inner Loop Header: Depth=1
	v_sub_nc_u32_e32 v5, v3, v7
	s_delay_alu instid0(VALU_DEP_1) | instskip(NEXT) | instid1(VALU_DEP_1)
	v_lshrrev_b32_e32 v6, 31, v5
	v_add_nc_u32_e32 v5, v5, v6
	s_delay_alu instid0(VALU_DEP_1) | instskip(NEXT) | instid1(VALU_DEP_1)
	v_ashrrev_i32_e32 v5, 1, v5
	v_add_nc_u32_e32 v5, v5, v7
	s_delay_alu instid0(VALU_DEP_1) | instskip(SKIP_2) | instid1(VALU_DEP_3)
	v_not_b32_e32 v6, v5
	v_lshl_add_u32 v8, v5, 2, v0
	v_add_nc_u32_e32 v9, 1, v5
	v_lshl_add_u32 v6, v6, 2, v2
	ds_load_b32 v8, v8
	ds_load_b32 v6, v6
	s_waitcnt lgkmcnt(0)
	v_cmp_lt_i32_e32 vcc_lo, v6, v8
	v_cndmask_b32_e32 v3, v3, v5, vcc_lo
	v_cndmask_b32_e32 v7, v9, v7, vcc_lo
	s_delay_alu instid0(VALU_DEP_1) | instskip(SKIP_1) | instid1(SALU_CYCLE_1)
	v_cmp_ge_i32_e32 vcc_lo, v7, v3
	s_or_b32 s1, vcc_lo, s1
	s_and_not1_b32 exec_lo, exec_lo, s1
	s_cbranch_execnz .LBB16_50
; %bb.51:
	s_or_b32 exec_lo, exec_lo, s1
.LBB16_52:
	s_delay_alu instid0(SALU_CYCLE_1) | instskip(SKIP_3) | instid1(VALU_DEP_3)
	s_or_b32 exec_lo, exec_lo, s0
	v_sub_nc_u32_e32 v1, v1, v7
	v_lshl_add_u32 v9, v7, 2, v0
	v_cmp_lt_i32_e32 vcc_lo, 31, v7
                                        ; implicit-def: $vgpr6
	v_lshl_add_u32 v8, v1, 2, v0
	v_add_nc_u32_e32 v2, 32, v1
                                        ; implicit-def: $vgpr1
	ds_load_b32 v3, v9
	ds_load_b32 v5, v8 offset:128
	v_cmp_gt_i32_e64 s1, 64, v2
	s_waitcnt lgkmcnt(0)
	v_cmp_lt_i32_e64 s0, v5, v3
	s_delay_alu instid0(VALU_DEP_1)
	s_or_b32 s0, vcc_lo, s0
	s_delay_alu instid0(VALU_DEP_2) | instid1(SALU_CYCLE_1)
	s_and_b32 vcc_lo, s1, s0
	s_delay_alu instid0(SALU_CYCLE_1) | instskip(NEXT) | instid1(SALU_CYCLE_1)
	s_xor_b32 s0, vcc_lo, -1
	s_and_saveexec_b32 s1, s0
	s_delay_alu instid0(SALU_CYCLE_1)
	s_xor_b32 s0, exec_lo, s1
	s_cbranch_execz .LBB16_54
; %bb.53:
	ds_load_b32 v6, v9 offset:4
	v_mov_b32_e32 v1, v5
                                        ; implicit-def: $vgpr8
.LBB16_54:
	s_and_not1_saveexec_b32 s0, s0
	s_cbranch_execz .LBB16_56
; %bb.55:
	ds_load_b32 v1, v8 offset:132
	s_waitcnt lgkmcnt(1)
	v_mov_b32_e32 v6, v3
.LBB16_56:
	s_or_b32 exec_lo, exec_lo, s0
	v_add_nc_u32_e32 v8, 1, v7
	v_add_nc_u32_e32 v10, 1, v2
	s_waitcnt lgkmcnt(0)
	v_cmp_lt_i32_e64 s1, v1, v6
	s_delay_alu instid0(VALU_DEP_2) | instskip(NEXT) | instid1(VALU_DEP_1)
	v_dual_cndmask_b32 v9, v8, v7 :: v_dual_cndmask_b32 v2, v2, v10
                                        ; implicit-def: $vgpr8
	v_cmp_lt_i32_e64 s0, 31, v9
	s_delay_alu instid0(VALU_DEP_2) | instskip(NEXT) | instid1(VALU_DEP_2)
	v_cmp_gt_i32_e64 s2, 64, v2
	s_or_b32 s0, s0, s1
	s_delay_alu instid0(VALU_DEP_1) | instid1(SALU_CYCLE_1)
	s_and_b32 s0, s2, s0
	s_delay_alu instid0(SALU_CYCLE_1) | instskip(NEXT) | instid1(SALU_CYCLE_1)
	s_xor_b32 s1, s0, -1
	s_and_saveexec_b32 s2, s1
	s_delay_alu instid0(SALU_CYCLE_1)
	s_xor_b32 s1, exec_lo, s2
	s_cbranch_execz .LBB16_58
; %bb.57:
	v_lshl_add_u32 v7, v9, 2, v0
	ds_load_b32 v8, v7 offset:4
.LBB16_58:
	s_or_saveexec_b32 s1, s1
	v_mov_b32_e32 v7, v1
	s_xor_b32 exec_lo, exec_lo, s1
	s_cbranch_execz .LBB16_60
; %bb.59:
	v_lshl_add_u32 v7, v2, 2, v0
	s_waitcnt lgkmcnt(0)
	v_mov_b32_e32 v8, v6
	ds_load_b32 v7, v7 offset:4
.LBB16_60:
	s_or_b32 exec_lo, exec_lo, s1
	v_add_nc_u32_e32 v10, 1, v9
	v_add_nc_u32_e32 v12, 1, v2
	s_waitcnt lgkmcnt(0)
	v_cmp_ge_i32_e64 s2, v7, v8
	s_delay_alu instid0(VALU_DEP_3) | instskip(NEXT) | instid1(VALU_DEP_3)
	v_cndmask_b32_e64 v11, v10, v9, s0
	v_cndmask_b32_e64 v9, v2, v12, s0
                                        ; implicit-def: $vgpr10
                                        ; implicit-def: $vgpr12
	s_delay_alu instid0(VALU_DEP_2) | instskip(NEXT) | instid1(VALU_DEP_2)
	v_cmp_gt_i32_e64 s1, 32, v11
	v_cmp_lt_i32_e64 s3, 63, v9
	s_delay_alu instid0(VALU_DEP_2)
	s_and_b32 s1, s1, s2
	s_delay_alu instid0(VALU_DEP_1) | instid1(SALU_CYCLE_1)
	s_or_b32 s1, s3, s1
	s_delay_alu instid0(SALU_CYCLE_1) | instskip(NEXT) | instid1(SALU_CYCLE_1)
	s_and_saveexec_b32 s2, s1
	s_xor_b32 s1, exec_lo, s2
	s_cbranch_execz .LBB16_62
; %bb.61:
	v_lshl_add_u32 v0, v11, 2, v0
	v_add_nc_u32_e32 v12, 1, v11
                                        ; implicit-def: $vgpr11
	ds_load_b32 v10, v0 offset:4
                                        ; implicit-def: $vgpr0
.LBB16_62:
	s_or_saveexec_b32 s1, s1
	v_mov_b32_e32 v2, v8
	s_xor_b32 exec_lo, exec_lo, s1
	s_cbranch_execz .LBB16_64
; %bb.63:
	v_lshl_add_u32 v0, v9, 2, v0
	v_dual_mov_b32 v2, v7 :: v_dual_add_nc_u32 v9, 1, v9
	s_waitcnt lgkmcnt(0)
	v_mov_b32_e32 v10, v8
	ds_load_b32 v0, v0 offset:4
	s_waitcnt lgkmcnt(0)
	v_dual_mov_b32 v12, v11 :: v_dual_mov_b32 v7, v0
.LBB16_64:
	s_or_b32 exec_lo, exec_lo, s1
	s_delay_alu instid0(VALU_DEP_1) | instskip(SKIP_1) | instid1(VALU_DEP_2)
	v_cmp_lt_i32_e64 s1, 31, v12
	s_waitcnt lgkmcnt(0)
	v_cmp_lt_i32_e64 s2, v7, v10
	v_cmp_gt_i32_e64 s3, 64, v9
	v_cndmask_b32_e64 v1, v6, v1, s0
	v_cndmask_b32_e32 v0, v3, v5, vcc_lo
	v_lshlrev_b32_e32 v4, 2, v4
	s_or_b32 s0, s1, s2
	s_delay_alu instid0(SALU_CYCLE_1)
	s_and_b32 vcc_lo, s3, s0
	s_add_u32 s0, s6, s8
	v_cndmask_b32_e32 v3, v10, v7, vcc_lo
	s_addc_u32 s1, s7, s9
	global_store_b128 v4, v[0:3], s[0:1]
	s_nop 0
	s_sendmsg sendmsg(MSG_DEALLOC_VGPRS)
	s_endpgm
	.section	.rodata,"a",@progbits
	.p2align	6, 0x0
	.amdhsa_kernel _Z9sort_keysILj256ELj16ELj4EiN10test_utils4lessEEvPKT2_PS2_T3_
		.amdhsa_group_segment_fixed_size 4160
		.amdhsa_private_segment_fixed_size 0
		.amdhsa_kernarg_size 20
		.amdhsa_user_sgpr_count 15
		.amdhsa_user_sgpr_dispatch_ptr 0
		.amdhsa_user_sgpr_queue_ptr 0
		.amdhsa_user_sgpr_kernarg_segment_ptr 1
		.amdhsa_user_sgpr_dispatch_id 0
		.amdhsa_user_sgpr_private_segment_size 0
		.amdhsa_wavefront_size32 1
		.amdhsa_uses_dynamic_stack 0
		.amdhsa_enable_private_segment 0
		.amdhsa_system_sgpr_workgroup_id_x 1
		.amdhsa_system_sgpr_workgroup_id_y 0
		.amdhsa_system_sgpr_workgroup_id_z 0
		.amdhsa_system_sgpr_workgroup_info 0
		.amdhsa_system_vgpr_workitem_id 0
		.amdhsa_next_free_vgpr 21
		.amdhsa_next_free_sgpr 16
		.amdhsa_reserve_vcc 1
		.amdhsa_float_round_mode_32 0
		.amdhsa_float_round_mode_16_64 0
		.amdhsa_float_denorm_mode_32 3
		.amdhsa_float_denorm_mode_16_64 3
		.amdhsa_dx10_clamp 1
		.amdhsa_ieee_mode 1
		.amdhsa_fp16_overflow 0
		.amdhsa_workgroup_processor_mode 1
		.amdhsa_memory_ordered 1
		.amdhsa_forward_progress 0
		.amdhsa_shared_vgpr_count 0
		.amdhsa_exception_fp_ieee_invalid_op 0
		.amdhsa_exception_fp_denorm_src 0
		.amdhsa_exception_fp_ieee_div_zero 0
		.amdhsa_exception_fp_ieee_overflow 0
		.amdhsa_exception_fp_ieee_underflow 0
		.amdhsa_exception_fp_ieee_inexact 0
		.amdhsa_exception_int_div_zero 0
	.end_amdhsa_kernel
	.section	.text._Z9sort_keysILj256ELj16ELj4EiN10test_utils4lessEEvPKT2_PS2_T3_,"axG",@progbits,_Z9sort_keysILj256ELj16ELj4EiN10test_utils4lessEEvPKT2_PS2_T3_,comdat
.Lfunc_end16:
	.size	_Z9sort_keysILj256ELj16ELj4EiN10test_utils4lessEEvPKT2_PS2_T3_, .Lfunc_end16-_Z9sort_keysILj256ELj16ELj4EiN10test_utils4lessEEvPKT2_PS2_T3_
                                        ; -- End function
	.section	.AMDGPU.csdata,"",@progbits
; Kernel info:
; codeLenInByte = 3404
; NumSgprs: 18
; NumVgprs: 21
; ScratchSize: 0
; MemoryBound: 0
; FloatMode: 240
; IeeeMode: 1
; LDSByteSize: 4160 bytes/workgroup (compile time only)
; SGPRBlocks: 2
; VGPRBlocks: 2
; NumSGPRsForWavesPerEU: 18
; NumVGPRsForWavesPerEU: 21
; Occupancy: 16
; WaveLimiterHint : 0
; COMPUTE_PGM_RSRC2:SCRATCH_EN: 0
; COMPUTE_PGM_RSRC2:USER_SGPR: 15
; COMPUTE_PGM_RSRC2:TRAP_HANDLER: 0
; COMPUTE_PGM_RSRC2:TGID_X_EN: 1
; COMPUTE_PGM_RSRC2:TGID_Y_EN: 0
; COMPUTE_PGM_RSRC2:TGID_Z_EN: 0
; COMPUTE_PGM_RSRC2:TIDIG_COMP_CNT: 0
	.section	.text._Z10sort_pairsILj256ELj16ELj4EiN10test_utils4lessEEvPKT2_PS2_T3_,"axG",@progbits,_Z10sort_pairsILj256ELj16ELj4EiN10test_utils4lessEEvPKT2_PS2_T3_,comdat
	.protected	_Z10sort_pairsILj256ELj16ELj4EiN10test_utils4lessEEvPKT2_PS2_T3_ ; -- Begin function _Z10sort_pairsILj256ELj16ELj4EiN10test_utils4lessEEvPKT2_PS2_T3_
	.globl	_Z10sort_pairsILj256ELj16ELj4EiN10test_utils4lessEEvPKT2_PS2_T3_
	.p2align	8
	.type	_Z10sort_pairsILj256ELj16ELj4EiN10test_utils4lessEEvPKT2_PS2_T3_,@function
_Z10sort_pairsILj256ELj16ELj4EiN10test_utils4lessEEvPKT2_PS2_T3_: ; @_Z10sort_pairsILj256ELj16ELj4EiN10test_utils4lessEEvPKT2_PS2_T3_
; %bb.0:
	s_load_b128 s[8:11], s[0:1], 0x0
	s_mov_b32 s7, 0
	s_lshl_b32 s6, s15, 10
	v_lshlrev_b32_e32 v1, 4, v0
	s_lshl_b64 s[12:13], s[6:7], 2
	v_mbcnt_lo_u32_b32 v5, -1, 0
	v_lshrrev_b32_e32 v6, 4, v0
	s_mov_b32 s6, exec_lo
	s_waitcnt lgkmcnt(0)
	s_add_u32 s0, s8, s12
	s_addc_u32 s1, s9, s13
	global_load_b128 v[1:4], v1, s[0:1]
	; wave barrier
	s_waitcnt vmcnt(0)
	v_cmp_lt_i32_e32 vcc_lo, v2, v1
	v_lshlrev_b32_e32 v8, 2, v5
	v_lshlrev_b32_e32 v5, 2, v0
	v_min_i32_e32 v12, v4, v3
	v_cmp_lt_i32_e64 s1, v4, v3
	v_dual_cndmask_b32 v14, v2, v1 :: v_dual_cndmask_b32 v11, v1, v2
	v_and_b32_e32 v15, 56, v8
	v_and_b32_e32 v7, 60, v8
	s_delay_alu instid0(VALU_DEP_4) | instskip(NEXT) | instid1(VALU_DEP_4)
	v_cndmask_b32_e64 v17, v3, v4, s1
	v_cmp_lt_i32_e64 s3, v12, v14
	v_min_i32_e32 v18, v12, v14
	v_or_b32_e32 v10, 4, v15
	v_add_nc_u32_e32 v9, 8, v15
	v_cndmask_b32_e64 v16, v4, v3, s1
	v_cndmask_b32_e64 v17, v17, v14, s3
	;; [unrolled: 1-line block ×3, first 2 shown]
	v_cmp_lt_i32_e64 s0, v18, v11
	v_and_b32_e32 v13, 4, v8
	v_sub_nc_u32_e32 v14, v9, v10
	v_min_i32_e32 v20, v16, v17
	v_cmp_lt_i32_e64 s2, v16, v17
	v_cndmask_b32_e64 v18, v11, v18, s0
	v_cndmask_b32_e64 v11, v12, v11, s0
	v_lshlrev_b32_e32 v0, 2, v7
	v_lshlrev_b32_e32 v19, 2, v15
	v_sub_nc_u32_e32 v12, v10, v15
	v_sub_nc_u32_e32 v21, v13, v14
	v_cndmask_b32_e64 v22, v16, v17, s2
	v_cndmask_b32_e64 v16, v17, v16, s2
	v_cmp_lt_i32_e64 s4, v20, v11
	v_cmp_ge_i32_e64 s5, v13, v14
	v_mad_u32_u24 v0, 0x104, v6, v0
	v_min_i32_e32 v12, v13, v12
	s_delay_alu instid0(VALU_DEP_4) | instskip(NEXT) | instid1(VALU_DEP_4)
	v_cndmask_b32_e64 v14, v16, v11, s4
	v_cndmask_b32_e64 v17, 0, v21, s5
	;; [unrolled: 1-line block ×3, first 2 shown]
	v_mad_u32_u24 v11, 0x104, v6, v19
	ds_store_2addr_b32 v0, v18, v16 offset1:1
	ds_store_2addr_b32 v0, v14, v22 offset0:2 offset1:3
	; wave barrier
	v_cmpx_lt_i32_e64 v17, v12
	s_cbranch_execz .LBB17_4
; %bb.1:
	v_lshlrev_b32_e32 v14, 2, v13
	s_delay_alu instid0(VALU_DEP_1)
	v_add3_u32 v14, v11, v14, 16
	.p2align	6
.LBB17_2:                               ; =>This Inner Loop Header: Depth=1
	v_sub_nc_u32_e32 v16, v12, v17
	s_delay_alu instid0(VALU_DEP_1) | instskip(NEXT) | instid1(VALU_DEP_1)
	v_lshrrev_b32_e32 v18, 31, v16
	v_add_nc_u32_e32 v16, v16, v18
	s_delay_alu instid0(VALU_DEP_1) | instskip(NEXT) | instid1(VALU_DEP_1)
	v_ashrrev_i32_e32 v16, 1, v16
	v_add_nc_u32_e32 v16, v16, v17
	s_delay_alu instid0(VALU_DEP_1) | instskip(SKIP_2) | instid1(VALU_DEP_3)
	v_not_b32_e32 v18, v16
	v_lshl_add_u32 v19, v16, 2, v11
	v_add_nc_u32_e32 v20, 1, v16
	v_lshl_add_u32 v18, v18, 2, v14
	ds_load_b32 v19, v19
	ds_load_b32 v18, v18
	s_waitcnt lgkmcnt(0)
	v_cmp_lt_i32_e64 s5, v18, v19
	s_delay_alu instid0(VALU_DEP_1) | instskip(SKIP_1) | instid1(VALU_DEP_1)
	v_cndmask_b32_e64 v12, v12, v16, s5
	v_cndmask_b32_e64 v17, v20, v17, s5
	v_cmp_ge_i32_e64 s5, v17, v12
	s_delay_alu instid0(VALU_DEP_1) | instskip(NEXT) | instid1(SALU_CYCLE_1)
	s_or_b32 s7, s5, s7
	s_and_not1_b32 exec_lo, exec_lo, s7
	s_cbranch_execnz .LBB17_2
; %bb.3:
	s_or_b32 exec_lo, exec_lo, s7
.LBB17_4:
	s_delay_alu instid0(SALU_CYCLE_1)
	s_or_b32 exec_lo, exec_lo, s6
	v_add_nc_u32_e32 v12, v15, v13
	v_mul_u32_u24_e32 v6, 0x104, v6
	v_lshl_add_u32 v19, v17, 2, v11
	v_add_nc_u32_e32 v13, v10, v13
	v_cmp_lt_i32_e64 s5, 3, v17
	v_sub_nc_u32_e32 v12, v12, v17
                                        ; implicit-def: $vgpr14
	s_delay_alu instid0(VALU_DEP_3) | instskip(NEXT) | instid1(VALU_DEP_2)
	v_sub_nc_u32_e32 v16, v13, v17
                                        ; implicit-def: $vgpr13
	v_lshl_add_u32 v18, v12, 2, v6
	ds_load_b32 v11, v19
	ds_load_b32 v12, v18 offset:16
	v_cmp_gt_i32_e64 s7, v9, v16
	s_waitcnt lgkmcnt(0)
	v_cmp_lt_i32_e64 s6, v12, v11
	s_delay_alu instid0(VALU_DEP_1)
	s_or_b32 s5, s5, s6
	s_delay_alu instid0(VALU_DEP_2) | instid1(SALU_CYCLE_1)
	s_and_b32 s5, s7, s5
	s_delay_alu instid0(SALU_CYCLE_1) | instskip(NEXT) | instid1(SALU_CYCLE_1)
	s_xor_b32 s6, s5, -1
	s_and_saveexec_b32 s7, s6
	s_delay_alu instid0(SALU_CYCLE_1)
	s_xor_b32 s6, exec_lo, s7
	s_cbranch_execz .LBB17_6
; %bb.5:
	ds_load_b32 v14, v19 offset:4
	v_mov_b32_e32 v13, v12
                                        ; implicit-def: $vgpr18
.LBB17_6:
	s_and_not1_saveexec_b32 s6, s6
	s_cbranch_execz .LBB17_8
; %bb.7:
	ds_load_b32 v13, v18 offset:20
	s_waitcnt lgkmcnt(1)
	v_mov_b32_e32 v14, v11
.LBB17_8:
	s_or_b32 exec_lo, exec_lo, s6
	v_add_nc_u32_e32 v18, v17, v15
	v_add_nc_u32_e32 v17, 1, v16
	s_waitcnt lgkmcnt(0)
	v_cmp_lt_i32_e64 s7, v13, v14
	s_delay_alu instid0(VALU_DEP_3) | instskip(NEXT) | instid1(VALU_DEP_3)
	v_add_nc_u32_e32 v15, 1, v18
	v_cndmask_b32_e64 v20, v16, v17, s5
	s_delay_alu instid0(VALU_DEP_2) | instskip(NEXT) | instid1(VALU_DEP_2)
	v_cndmask_b32_e64 v19, v15, v18, s5
	v_cmp_lt_i32_e64 s8, v20, v9
                                        ; implicit-def: $vgpr15
	s_delay_alu instid0(VALU_DEP_2) | instskip(NEXT) | instid1(VALU_DEP_1)
	v_cmp_ge_i32_e64 s6, v19, v10
	s_or_b32 s6, s6, s7
	s_delay_alu instid0(VALU_DEP_2) | instid1(SALU_CYCLE_1)
	s_and_b32 s6, s8, s6
	s_delay_alu instid0(SALU_CYCLE_1) | instskip(NEXT) | instid1(SALU_CYCLE_1)
	s_xor_b32 s7, s6, -1
	s_and_saveexec_b32 s8, s7
	s_delay_alu instid0(SALU_CYCLE_1)
	s_xor_b32 s7, exec_lo, s8
	s_cbranch_execz .LBB17_10
; %bb.9:
	v_lshl_add_u32 v15, v19, 2, v6
	ds_load_b32 v15, v15 offset:4
.LBB17_10:
	s_or_saveexec_b32 s7, s7
	v_mov_b32_e32 v17, v13
	s_xor_b32 exec_lo, exec_lo, s7
	s_cbranch_execz .LBB17_12
; %bb.11:
	s_waitcnt lgkmcnt(0)
	v_lshl_add_u32 v15, v20, 2, v6
	ds_load_b32 v17, v15 offset:4
	v_mov_b32_e32 v15, v14
.LBB17_12:
	s_or_b32 exec_lo, exec_lo, s7
	v_add_nc_u32_e32 v21, 1, v19
	v_add_nc_u32_e32 v23, 1, v20
	s_waitcnt lgkmcnt(0)
	v_cmp_lt_i32_e64 s8, v17, v15
	s_delay_alu instid0(VALU_DEP_3) | instskip(NEXT) | instid1(VALU_DEP_3)
	v_cndmask_b32_e64 v22, v21, v19, s6
	v_cndmask_b32_e64 v23, v20, v23, s6
                                        ; implicit-def: $vgpr21
	s_delay_alu instid0(VALU_DEP_2) | instskip(NEXT) | instid1(VALU_DEP_2)
	v_cmp_ge_i32_e64 s7, v22, v10
	v_cmp_lt_i32_e64 s9, v23, v9
	s_delay_alu instid0(VALU_DEP_2)
	s_or_b32 s7, s7, s8
	s_delay_alu instid0(VALU_DEP_1) | instid1(SALU_CYCLE_1)
	s_and_b32 s7, s9, s7
	s_delay_alu instid0(SALU_CYCLE_1) | instskip(NEXT) | instid1(SALU_CYCLE_1)
	s_xor_b32 s8, s7, -1
	s_and_saveexec_b32 s9, s8
	s_delay_alu instid0(SALU_CYCLE_1)
	s_xor_b32 s8, exec_lo, s9
	s_cbranch_execz .LBB17_14
; %bb.13:
	v_lshl_add_u32 v21, v22, 2, v6
	ds_load_b32 v21, v21 offset:4
.LBB17_14:
	s_or_saveexec_b32 s8, s8
	v_mov_b32_e32 v24, v17
	s_xor_b32 exec_lo, exec_lo, s8
	s_cbranch_execz .LBB17_16
; %bb.15:
	s_waitcnt lgkmcnt(0)
	v_lshl_add_u32 v21, v23, 2, v6
	ds_load_b32 v24, v21 offset:4
	v_mov_b32_e32 v21, v15
.LBB17_16:
	s_or_b32 exec_lo, exec_lo, s8
	v_add_nc_u32_e32 v25, 1, v23
	v_add_nc_u32_e32 v26, 1, v22
	;; [unrolled: 1-line block ×4, first 2 shown]
	v_cndmask_b32_e64 v19, v19, v20, s6
	v_cndmask_b32_e64 v25, v23, v25, s7
	;; [unrolled: 1-line block ×3, first 2 shown]
	v_add_nc_u32_e32 v2, 1, v2
	v_add_nc_u32_e32 v4, 1, v4
	v_cndmask_b32_e64 v18, v18, v16, s5
	v_cndmask_b32_e64 v22, v22, v23, s7
	s_delay_alu instid0(VALU_DEP_4) | instskip(NEXT) | instid1(VALU_DEP_4)
	v_cndmask_b32_e32 v27, v2, v1, vcc_lo
	v_cndmask_b32_e64 v28, v3, v4, s1
	v_cndmask_b32_e32 v1, v1, v2, vcc_lo
	v_cndmask_b32_e64 v2, v4, v3, s1
	v_cmp_ge_i32_e32 vcc_lo, v26, v10
	s_waitcnt lgkmcnt(0)
	v_cmp_lt_i32_e64 s1, v24, v21
	v_cndmask_b32_e64 v3, v27, v28, s3
	v_cndmask_b32_e64 v4, v28, v27, s3
	; wave barrier
	v_lshl_add_u32 v10, v22, 2, v6
	s_delay_alu instid0(VALU_DEP_4) | instskip(NEXT) | instid1(VALU_DEP_3)
	s_or_b32 s1, vcc_lo, s1
	v_cndmask_b32_e64 v16, v3, v1, s0
	s_delay_alu instid0(VALU_DEP_3)
	v_cndmask_b32_e64 v20, v4, v2, s2
	v_cndmask_b32_e64 v1, v1, v3, s0
	v_cmp_lt_i32_e64 s0, v25, v9
	v_cndmask_b32_e64 v2, v2, v4, s2
	v_cndmask_b32_e64 v15, v15, v17, s7
	;; [unrolled: 1-line block ×4, first 2 shown]
	v_and_b32_e32 v16, 48, v8
	s_and_b32 vcc_lo, s0, s1
	ds_store_2addr_b32 v0, v1, v4 offset1:1
	ds_store_2addr_b32 v0, v3, v2 offset0:2 offset1:3
	v_cndmask_b32_e32 v9, v26, v25, vcc_lo
	v_lshl_add_u32 v3, v18, 2, v6
	v_lshl_add_u32 v4, v19, 2, v6
	; wave barrier
	s_delay_alu instid0(VALU_DEP_3)
	v_lshl_add_u32 v19, v9, 2, v6
	ds_load_b32 v3, v3
	ds_load_b32 v4, v4
	;; [unrolled: 1-line block ×4, first 2 shown]
	v_or_b32_e32 v1, 8, v16
	v_add_nc_u32_e32 v2, 16, v16
	v_cndmask_b32_e32 v20, v21, v24, vcc_lo
	v_and_b32_e32 v18, 12, v8
	v_cndmask_b32_e64 v14, v14, v13, s6
	v_sub_nc_u32_e32 v22, v1, v16
	v_sub_nc_u32_e32 v21, v2, v1
	v_cndmask_b32_e64 v12, v11, v12, s5
	v_lshl_add_u32 v11, v16, 2, v6
	s_mov_b32 s1, 0
	v_min_i32_e32 v13, v18, v22
	v_sub_nc_u32_e32 v19, v18, v21
	v_cmp_ge_i32_e32 vcc_lo, v18, v21
	s_mov_b32 s0, exec_lo
	; wave barrier
	ds_store_2addr_b32 v0, v12, v14 offset1:1
	ds_store_2addr_b32 v0, v15, v20 offset0:2 offset1:3
	v_cndmask_b32_e32 v17, 0, v19, vcc_lo
	; wave barrier
	s_delay_alu instid0(VALU_DEP_1)
	v_cmpx_lt_i32_e64 v17, v13
	s_cbranch_execz .LBB17_20
; %bb.17:
	v_lshlrev_b32_e32 v12, 2, v18
	s_delay_alu instid0(VALU_DEP_1)
	v_add3_u32 v12, v11, v12, 32
	.p2align	6
.LBB17_18:                              ; =>This Inner Loop Header: Depth=1
	v_sub_nc_u32_e32 v14, v13, v17
	s_delay_alu instid0(VALU_DEP_1) | instskip(NEXT) | instid1(VALU_DEP_1)
	v_lshrrev_b32_e32 v15, 31, v14
	v_add_nc_u32_e32 v14, v14, v15
	s_delay_alu instid0(VALU_DEP_1) | instskip(NEXT) | instid1(VALU_DEP_1)
	v_ashrrev_i32_e32 v14, 1, v14
	v_add_nc_u32_e32 v14, v14, v17
	s_delay_alu instid0(VALU_DEP_1) | instskip(SKIP_2) | instid1(VALU_DEP_3)
	v_not_b32_e32 v15, v14
	v_lshl_add_u32 v19, v14, 2, v11
	v_add_nc_u32_e32 v20, 1, v14
	v_lshl_add_u32 v15, v15, 2, v12
	ds_load_b32 v19, v19
	ds_load_b32 v15, v15
	s_waitcnt lgkmcnt(0)
	v_cmp_lt_i32_e32 vcc_lo, v15, v19
	v_cndmask_b32_e32 v17, v20, v17, vcc_lo
	v_cndmask_b32_e32 v13, v13, v14, vcc_lo
	s_delay_alu instid0(VALU_DEP_1) | instskip(SKIP_1) | instid1(SALU_CYCLE_1)
	v_cmp_ge_i32_e32 vcc_lo, v17, v13
	s_or_b32 s1, vcc_lo, s1
	s_and_not1_b32 exec_lo, exec_lo, s1
	s_cbranch_execnz .LBB17_18
; %bb.19:
	s_or_b32 exec_lo, exec_lo, s1
.LBB17_20:
	s_delay_alu instid0(SALU_CYCLE_1) | instskip(SKIP_4) | instid1(VALU_DEP_4)
	s_or_b32 exec_lo, exec_lo, s0
	v_add_nc_u32_e32 v12, v16, v18
	v_lshl_add_u32 v20, v17, 2, v11
	v_add_nc_u32_e32 v13, v1, v18
	v_cmp_lt_i32_e32 vcc_lo, 7, v17
                                        ; implicit-def: $vgpr14
	v_sub_nc_u32_e32 v12, v12, v17
	s_delay_alu instid0(VALU_DEP_3) | instskip(NEXT) | instid1(VALU_DEP_2)
	v_sub_nc_u32_e32 v15, v13, v17
                                        ; implicit-def: $vgpr13
	v_lshl_add_u32 v19, v12, 2, v6
	ds_load_b32 v11, v20
	ds_load_b32 v12, v19 offset:32
	v_cmp_gt_i32_e64 s1, v2, v15
	s_waitcnt lgkmcnt(0)
	v_cmp_lt_i32_e64 s0, v12, v11
	s_delay_alu instid0(VALU_DEP_1)
	s_or_b32 s0, vcc_lo, s0
	s_delay_alu instid0(VALU_DEP_2) | instid1(SALU_CYCLE_1)
	s_and_b32 vcc_lo, s1, s0
	s_delay_alu instid0(SALU_CYCLE_1) | instskip(NEXT) | instid1(SALU_CYCLE_1)
	s_xor_b32 s0, vcc_lo, -1
	s_and_saveexec_b32 s1, s0
	s_delay_alu instid0(SALU_CYCLE_1)
	s_xor_b32 s0, exec_lo, s1
	s_cbranch_execz .LBB17_22
; %bb.21:
	ds_load_b32 v14, v20 offset:4
	v_mov_b32_e32 v13, v12
                                        ; implicit-def: $vgpr19
.LBB17_22:
	s_and_not1_saveexec_b32 s0, s0
	s_cbranch_execz .LBB17_24
; %bb.23:
	ds_load_b32 v13, v19 offset:36
	s_waitcnt lgkmcnt(1)
	v_mov_b32_e32 v14, v11
.LBB17_24:
	s_or_b32 exec_lo, exec_lo, s0
	v_add_nc_u32_e32 v18, v17, v16
	v_add_nc_u32_e32 v17, 1, v15
	s_waitcnt lgkmcnt(0)
	v_cmp_lt_i32_e64 s1, v13, v14
	s_delay_alu instid0(VALU_DEP_3) | instskip(NEXT) | instid1(VALU_DEP_1)
	v_add_nc_u32_e32 v16, 1, v18
	v_dual_cndmask_b32 v20, v15, v17 :: v_dual_cndmask_b32 v19, v16, v18
                                        ; implicit-def: $vgpr16
	s_delay_alu instid0(VALU_DEP_1) | instskip(NEXT) | instid1(VALU_DEP_2)
	v_cmp_lt_i32_e64 s2, v20, v2
	v_cmp_ge_i32_e64 s0, v19, v1
	s_delay_alu instid0(VALU_DEP_1)
	s_or_b32 s0, s0, s1
	s_delay_alu instid0(VALU_DEP_2) | instid1(SALU_CYCLE_1)
	s_and_b32 s0, s2, s0
	s_delay_alu instid0(SALU_CYCLE_1) | instskip(NEXT) | instid1(SALU_CYCLE_1)
	s_xor_b32 s1, s0, -1
	s_and_saveexec_b32 s2, s1
	s_delay_alu instid0(SALU_CYCLE_1)
	s_xor_b32 s1, exec_lo, s2
	s_cbranch_execz .LBB17_26
; %bb.25:
	v_lshl_add_u32 v16, v19, 2, v6
	ds_load_b32 v16, v16 offset:4
.LBB17_26:
	s_or_saveexec_b32 s1, s1
	v_mov_b32_e32 v17, v13
	s_xor_b32 exec_lo, exec_lo, s1
	s_cbranch_execz .LBB17_28
; %bb.27:
	s_waitcnt lgkmcnt(0)
	v_lshl_add_u32 v16, v20, 2, v6
	ds_load_b32 v17, v16 offset:4
	v_mov_b32_e32 v16, v14
.LBB17_28:
	s_or_b32 exec_lo, exec_lo, s1
	v_add_nc_u32_e32 v21, 1, v19
	v_add_nc_u32_e32 v22, 1, v20
	s_waitcnt lgkmcnt(0)
	v_cmp_lt_i32_e64 s2, v17, v16
	s_delay_alu instid0(VALU_DEP_3) | instskip(NEXT) | instid1(VALU_DEP_3)
	v_cndmask_b32_e64 v24, v21, v19, s0
	v_cndmask_b32_e64 v23, v20, v22, s0
                                        ; implicit-def: $vgpr21
	s_delay_alu instid0(VALU_DEP_2) | instskip(NEXT) | instid1(VALU_DEP_2)
	v_cmp_ge_i32_e64 s1, v24, v1
	v_cmp_lt_i32_e64 s3, v23, v2
	s_delay_alu instid0(VALU_DEP_2)
	s_or_b32 s1, s1, s2
	s_delay_alu instid0(VALU_DEP_1) | instid1(SALU_CYCLE_1)
	s_and_b32 s1, s3, s1
	s_delay_alu instid0(SALU_CYCLE_1) | instskip(NEXT) | instid1(SALU_CYCLE_1)
	s_xor_b32 s2, s1, -1
	s_and_saveexec_b32 s3, s2
	s_delay_alu instid0(SALU_CYCLE_1)
	s_xor_b32 s2, exec_lo, s3
	s_cbranch_execz .LBB17_30
; %bb.29:
	v_lshl_add_u32 v21, v24, 2, v6
	ds_load_b32 v21, v21 offset:4
.LBB17_30:
	s_or_saveexec_b32 s2, s2
	v_mov_b32_e32 v22, v17
	s_xor_b32 exec_lo, exec_lo, s2
	s_cbranch_execz .LBB17_32
; %bb.31:
	s_waitcnt lgkmcnt(0)
	v_lshl_add_u32 v21, v23, 2, v6
	ds_load_b32 v22, v21 offset:4
	v_mov_b32_e32 v21, v16
.LBB17_32:
	s_or_b32 exec_lo, exec_lo, s2
	v_dual_cndmask_b32 v18, v18, v15 :: v_dual_add_nc_u32 v25, 1, v24
	v_add_nc_u32_e32 v26, 1, v23
	v_cndmask_b32_e64 v19, v19, v20, s0
	v_cndmask_b32_e64 v27, v24, v23, s1
	s_delay_alu instid0(VALU_DEP_4) | instskip(SKIP_3) | instid1(VALU_DEP_3)
	v_cndmask_b32_e64 v20, v25, v24, s1
	s_waitcnt lgkmcnt(0)
	v_cmp_lt_i32_e64 s2, v22, v21
	v_cndmask_b32_e64 v23, v23, v26, s1
	; wave barrier
	v_cmp_ge_i32_e64 s3, v20, v1
	ds_store_2addr_b32 v0, v3, v4 offset1:1
	ds_store_2addr_b32 v0, v9, v10 offset0:2 offset1:3
	v_cmp_lt_i32_e64 s4, v23, v2
	v_lshl_add_u32 v2, v18, 2, v6
	v_lshl_add_u32 v3, v19, 2, v6
	s_or_b32 s2, s3, s2
	v_and_b32_e32 v15, 32, v8
	s_and_b32 s2, s4, s2
	v_lshl_add_u32 v4, v27, 2, v6
	v_cndmask_b32_e64 v1, v20, v23, s2
	; wave barrier
	s_delay_alu instid0(VALU_DEP_3) | instskip(SKIP_1) | instid1(VALU_DEP_3)
	v_or_b32_e32 v10, 16, v15
	v_dual_cndmask_b32 v12, v11, v12 :: v_dual_add_nc_u32 v9, 32, v15
	v_lshl_add_u32 v18, v1, 2, v6
	ds_load_b32 v1, v2
	ds_load_b32 v2, v3
	;; [unrolled: 1-line block ×4, first 2 shown]
	v_and_b32_e32 v8, 28, v8
	v_sub_nc_u32_e32 v19, v9, v10
	v_sub_nc_u32_e32 v20, v10, v15
	v_cndmask_b32_e64 v14, v14, v13, s0
	v_cndmask_b32_e64 v17, v16, v17, s1
	v_lshl_add_u32 v11, v15, 2, v6
	v_sub_nc_u32_e32 v18, v8, v19
	v_cmp_ge_i32_e64 s0, v8, v19
	v_min_i32_e32 v13, v8, v20
	v_cndmask_b32_e64 v21, v21, v22, s2
	s_mov_b32 s1, 0
	s_delay_alu instid0(VALU_DEP_3)
	v_cndmask_b32_e64 v16, 0, v18, s0
	s_mov_b32 s0, exec_lo
	; wave barrier
	ds_store_2addr_b32 v0, v12, v14 offset1:1
	ds_store_2addr_b32 v0, v17, v21 offset0:2 offset1:3
	; wave barrier
	v_cmpx_lt_i32_e64 v16, v13
	s_cbranch_execz .LBB17_36
; %bb.33:
	v_lshlrev_b32_e32 v12, 2, v8
	s_delay_alu instid0(VALU_DEP_1)
	v_add3_u32 v12, v11, v12, 64
	.p2align	6
.LBB17_34:                              ; =>This Inner Loop Header: Depth=1
	v_sub_nc_u32_e32 v14, v13, v16
	s_delay_alu instid0(VALU_DEP_1) | instskip(NEXT) | instid1(VALU_DEP_1)
	v_lshrrev_b32_e32 v17, 31, v14
	v_add_nc_u32_e32 v14, v14, v17
	s_delay_alu instid0(VALU_DEP_1) | instskip(NEXT) | instid1(VALU_DEP_1)
	v_ashrrev_i32_e32 v14, 1, v14
	v_add_nc_u32_e32 v14, v14, v16
	s_delay_alu instid0(VALU_DEP_1) | instskip(SKIP_2) | instid1(VALU_DEP_3)
	v_not_b32_e32 v17, v14
	v_lshl_add_u32 v18, v14, 2, v11
	v_add_nc_u32_e32 v19, 1, v14
	v_lshl_add_u32 v17, v17, 2, v12
	ds_load_b32 v18, v18
	ds_load_b32 v17, v17
	s_waitcnt lgkmcnt(0)
	v_cmp_lt_i32_e32 vcc_lo, v17, v18
	v_dual_cndmask_b32 v13, v13, v14 :: v_dual_cndmask_b32 v16, v19, v16
	s_delay_alu instid0(VALU_DEP_1) | instskip(SKIP_1) | instid1(SALU_CYCLE_1)
	v_cmp_ge_i32_e32 vcc_lo, v16, v13
	s_or_b32 s1, vcc_lo, s1
	s_and_not1_b32 exec_lo, exec_lo, s1
	s_cbranch_execnz .LBB17_34
; %bb.35:
	s_or_b32 exec_lo, exec_lo, s1
.LBB17_36:
	s_delay_alu instid0(SALU_CYCLE_1) | instskip(SKIP_4) | instid1(VALU_DEP_4)
	s_or_b32 exec_lo, exec_lo, s0
	v_add_nc_u32_e32 v12, v15, v8
	v_lshl_add_u32 v18, v16, 2, v11
	v_add_nc_u32_e32 v8, v10, v8
	v_cmp_lt_i32_e32 vcc_lo, 15, v16
                                        ; implicit-def: $vgpr13
	v_sub_nc_u32_e32 v12, v12, v16
	s_delay_alu instid0(VALU_DEP_3) | instskip(NEXT) | instid1(VALU_DEP_2)
	v_sub_nc_u32_e32 v14, v8, v16
                                        ; implicit-def: $vgpr8
	v_lshl_add_u32 v17, v12, 2, v6
	ds_load_b32 v11, v18
	ds_load_b32 v12, v17 offset:64
	v_cmp_gt_i32_e64 s1, v9, v14
	s_waitcnt lgkmcnt(0)
	v_cmp_lt_i32_e64 s0, v12, v11
	s_delay_alu instid0(VALU_DEP_1)
	s_or_b32 s0, vcc_lo, s0
	s_delay_alu instid0(VALU_DEP_2) | instid1(SALU_CYCLE_1)
	s_and_b32 vcc_lo, s1, s0
	s_delay_alu instid0(SALU_CYCLE_1) | instskip(NEXT) | instid1(SALU_CYCLE_1)
	s_xor_b32 s0, vcc_lo, -1
	s_and_saveexec_b32 s1, s0
	s_delay_alu instid0(SALU_CYCLE_1)
	s_xor_b32 s0, exec_lo, s1
	s_cbranch_execz .LBB17_38
; %bb.37:
	ds_load_b32 v13, v18 offset:4
	v_mov_b32_e32 v8, v12
                                        ; implicit-def: $vgpr17
.LBB17_38:
	s_and_not1_saveexec_b32 s0, s0
	s_cbranch_execz .LBB17_40
; %bb.39:
	ds_load_b32 v8, v17 offset:68
	s_waitcnt lgkmcnt(1)
	v_mov_b32_e32 v13, v11
.LBB17_40:
	s_or_b32 exec_lo, exec_lo, s0
	v_add_nc_u32_e32 v17, v16, v15
	v_add_nc_u32_e32 v16, 1, v14
	s_waitcnt lgkmcnt(0)
	v_cmp_lt_i32_e64 s1, v8, v13
	s_delay_alu instid0(VALU_DEP_3) | instskip(NEXT) | instid1(VALU_DEP_1)
	v_add_nc_u32_e32 v15, 1, v17
	v_dual_cndmask_b32 v19, v14, v16 :: v_dual_cndmask_b32 v18, v15, v17
                                        ; implicit-def: $vgpr15
	s_delay_alu instid0(VALU_DEP_1) | instskip(NEXT) | instid1(VALU_DEP_2)
	v_cmp_lt_i32_e64 s2, v19, v9
	v_cmp_ge_i32_e64 s0, v18, v10
	s_delay_alu instid0(VALU_DEP_1)
	s_or_b32 s0, s0, s1
	s_delay_alu instid0(VALU_DEP_2) | instid1(SALU_CYCLE_1)
	s_and_b32 s0, s2, s0
	s_delay_alu instid0(SALU_CYCLE_1) | instskip(NEXT) | instid1(SALU_CYCLE_1)
	s_xor_b32 s1, s0, -1
	s_and_saveexec_b32 s2, s1
	s_delay_alu instid0(SALU_CYCLE_1)
	s_xor_b32 s1, exec_lo, s2
	s_cbranch_execz .LBB17_42
; %bb.41:
	v_lshl_add_u32 v15, v18, 2, v6
	ds_load_b32 v15, v15 offset:4
.LBB17_42:
	s_or_saveexec_b32 s1, s1
	v_mov_b32_e32 v16, v8
	s_xor_b32 exec_lo, exec_lo, s1
	s_cbranch_execz .LBB17_44
; %bb.43:
	s_waitcnt lgkmcnt(0)
	v_lshl_add_u32 v15, v19, 2, v6
	ds_load_b32 v16, v15 offset:4
	v_mov_b32_e32 v15, v13
.LBB17_44:
	s_or_b32 exec_lo, exec_lo, s1
	v_add_nc_u32_e32 v20, 1, v18
	v_add_nc_u32_e32 v22, 1, v19
	s_waitcnt lgkmcnt(0)
	v_cmp_lt_i32_e64 s2, v16, v15
	s_delay_alu instid0(VALU_DEP_3) | instskip(NEXT) | instid1(VALU_DEP_3)
	v_cndmask_b32_e64 v21, v20, v18, s0
	v_cndmask_b32_e64 v22, v19, v22, s0
                                        ; implicit-def: $vgpr20
	s_delay_alu instid0(VALU_DEP_2) | instskip(NEXT) | instid1(VALU_DEP_2)
	v_cmp_ge_i32_e64 s1, v21, v10
	v_cmp_lt_i32_e64 s3, v22, v9
	s_delay_alu instid0(VALU_DEP_2)
	s_or_b32 s1, s1, s2
	s_delay_alu instid0(VALU_DEP_1) | instid1(SALU_CYCLE_1)
	s_and_b32 s1, s3, s1
	s_delay_alu instid0(SALU_CYCLE_1) | instskip(NEXT) | instid1(SALU_CYCLE_1)
	s_xor_b32 s2, s1, -1
	s_and_saveexec_b32 s3, s2
	s_delay_alu instid0(SALU_CYCLE_1)
	s_xor_b32 s2, exec_lo, s3
	s_cbranch_execz .LBB17_46
; %bb.45:
	v_lshl_add_u32 v20, v21, 2, v6
	ds_load_b32 v20, v20 offset:4
.LBB17_46:
	s_or_saveexec_b32 s2, s2
	v_mov_b32_e32 v23, v16
	s_xor_b32 exec_lo, exec_lo, s2
	s_cbranch_execz .LBB17_48
; %bb.47:
	s_waitcnt lgkmcnt(0)
	v_lshl_add_u32 v20, v22, 2, v6
	ds_load_b32 v23, v20 offset:4
	v_mov_b32_e32 v20, v15
.LBB17_48:
	s_or_b32 exec_lo, exec_lo, s2
	v_add_nc_u32_e32 v25, 1, v22
	v_add_nc_u32_e32 v24, 1, v21
	s_waitcnt lgkmcnt(0)
	v_cmp_lt_i32_e64 s2, v23, v20
	; wave barrier
	s_delay_alu instid0(VALU_DEP_3)
	v_cndmask_b32_e64 v25, v22, v25, s1
	ds_store_2addr_b32 v0, v1, v2 offset1:1
	ds_store_2addr_b32 v0, v3, v4 offset0:2 offset1:3
	; wave barrier
	v_cndmask_b32_e32 v11, v11, v12, vcc_lo
	v_cmp_lt_i32_e64 s4, v25, v9
	v_cndmask_b32_e32 v9, v17, v14, vcc_lo
	v_cndmask_b32_e64 v24, v24, v21, s1
	v_cndmask_b32_e64 v21, v21, v22, s1
	;; [unrolled: 1-line block ×3, first 2 shown]
	s_delay_alu instid0(VALU_DEP_4) | instskip(NEXT) | instid1(VALU_DEP_4)
	v_lshl_add_u32 v1, v9, 2, v6
	v_cmp_ge_i32_e64 s3, v24, v10
	v_cndmask_b32_e64 v10, v18, v19, s0
	v_lshl_add_u32 v3, v21, 2, v6
	v_min_i32_e32 v9, 32, v7
	s_delay_alu instid0(VALU_DEP_4) | instskip(NEXT) | instid1(VALU_DEP_3)
	s_or_b32 s2, s3, s2
	v_lshl_add_u32 v2, v10, 2, v6
	s_and_b32 s2, s4, s2
	v_cndmask_b32_e64 v10, v13, v8, s0
	v_cndmask_b32_e64 v17, v24, v25, s2
	v_sub_nc_u32_e64 v8, v7, 32 clamp
	v_cndmask_b32_e64 v14, v20, v23, s2
	s_mov_b32 s0, exec_lo
	s_delay_alu instid0(VALU_DEP_3)
	v_lshl_add_u32 v4, v17, 2, v6
	ds_load_b32 v1, v1
	ds_load_b32 v2, v2
	;; [unrolled: 1-line block ×4, first 2 shown]
	; wave barrier
	ds_store_2addr_b32 v0, v11, v10 offset1:1
	ds_store_2addr_b32 v0, v12, v14 offset0:2 offset1:3
	; wave barrier
	v_cmpx_lt_u32_e64 v8, v9
	s_cbranch_execz .LBB17_52
; %bb.49:
	v_add_nc_u32_e32 v10, 0x80, v0
	s_mov_b32 s1, 0
	.p2align	6
.LBB17_50:                              ; =>This Inner Loop Header: Depth=1
	v_sub_nc_u32_e32 v11, v9, v8
	s_delay_alu instid0(VALU_DEP_1) | instskip(NEXT) | instid1(VALU_DEP_1)
	v_lshrrev_b32_e32 v12, 31, v11
	v_add_nc_u32_e32 v11, v11, v12
	s_delay_alu instid0(VALU_DEP_1) | instskip(NEXT) | instid1(VALU_DEP_1)
	v_ashrrev_i32_e32 v11, 1, v11
	v_add_nc_u32_e32 v11, v11, v8
	s_delay_alu instid0(VALU_DEP_1) | instskip(SKIP_2) | instid1(VALU_DEP_3)
	v_not_b32_e32 v12, v11
	v_lshl_add_u32 v13, v11, 2, v6
	v_add_nc_u32_e32 v14, 1, v11
	v_lshl_add_u32 v12, v12, 2, v10
	ds_load_b32 v13, v13
	ds_load_b32 v12, v12
	s_waitcnt lgkmcnt(0)
	v_cmp_lt_i32_e32 vcc_lo, v12, v13
	v_dual_cndmask_b32 v9, v9, v11 :: v_dual_cndmask_b32 v8, v14, v8
	s_delay_alu instid0(VALU_DEP_1) | instskip(SKIP_1) | instid1(SALU_CYCLE_1)
	v_cmp_ge_i32_e32 vcc_lo, v8, v9
	s_or_b32 s1, vcc_lo, s1
	s_and_not1_b32 exec_lo, exec_lo, s1
	s_cbranch_execnz .LBB17_50
; %bb.51:
	s_or_b32 exec_lo, exec_lo, s1
.LBB17_52:
	s_delay_alu instid0(SALU_CYCLE_1) | instskip(SKIP_3) | instid1(VALU_DEP_3)
	s_or_b32 exec_lo, exec_lo, s0
	v_sub_nc_u32_e32 v10, v7, v8
	v_lshl_add_u32 v14, v8, 2, v6
	v_cmp_lt_i32_e32 vcc_lo, 31, v8
                                        ; implicit-def: $vgpr11
	v_lshl_add_u32 v13, v10, 2, v6
	v_add_nc_u32_e32 v12, 32, v10
                                        ; implicit-def: $vgpr10
	ds_load_b32 v7, v14
	ds_load_b32 v9, v13 offset:128
	v_cmp_gt_i32_e64 s1, 64, v12
	s_waitcnt lgkmcnt(0)
	v_cmp_lt_i32_e64 s0, v9, v7
	s_delay_alu instid0(VALU_DEP_1)
	s_or_b32 s0, vcc_lo, s0
	s_delay_alu instid0(VALU_DEP_2) | instid1(SALU_CYCLE_1)
	s_and_b32 vcc_lo, s1, s0
	s_delay_alu instid0(SALU_CYCLE_1) | instskip(NEXT) | instid1(SALU_CYCLE_1)
	s_xor_b32 s0, vcc_lo, -1
	s_and_saveexec_b32 s1, s0
	s_delay_alu instid0(SALU_CYCLE_1)
	s_xor_b32 s0, exec_lo, s1
	s_cbranch_execz .LBB17_54
; %bb.53:
	ds_load_b32 v11, v14 offset:4
	v_mov_b32_e32 v10, v9
                                        ; implicit-def: $vgpr13
.LBB17_54:
	s_and_not1_saveexec_b32 s0, s0
	s_cbranch_execz .LBB17_56
; %bb.55:
	ds_load_b32 v10, v13 offset:132
	s_waitcnt lgkmcnt(1)
	v_mov_b32_e32 v11, v7
.LBB17_56:
	s_or_b32 exec_lo, exec_lo, s0
	v_add_nc_u32_e32 v14, 1, v12
	v_add_nc_u32_e32 v13, 1, v8
	s_waitcnt lgkmcnt(0)
	v_cmp_lt_i32_e64 s1, v10, v11
                                        ; implicit-def: $vgpr16
	s_delay_alu instid0(VALU_DEP_2) | instskip(NEXT) | instid1(VALU_DEP_1)
	v_dual_cndmask_b32 v14, v12, v14 :: v_dual_cndmask_b32 v13, v13, v8
	v_cmp_gt_i32_e64 s2, 64, v14
	s_delay_alu instid0(VALU_DEP_2) | instskip(NEXT) | instid1(VALU_DEP_1)
	v_cmp_lt_i32_e64 s0, 31, v13
	s_or_b32 s0, s0, s1
	s_delay_alu instid0(VALU_DEP_2) | instid1(SALU_CYCLE_1)
	s_and_b32 s0, s2, s0
	s_delay_alu instid0(SALU_CYCLE_1) | instskip(NEXT) | instid1(SALU_CYCLE_1)
	s_xor_b32 s1, s0, -1
	s_and_saveexec_b32 s2, s1
	s_delay_alu instid0(SALU_CYCLE_1)
	s_xor_b32 s1, exec_lo, s2
	s_cbranch_execz .LBB17_58
; %bb.57:
	v_lshl_add_u32 v15, v13, 2, v6
	ds_load_b32 v16, v15 offset:4
.LBB17_58:
	s_or_saveexec_b32 s1, s1
	v_mov_b32_e32 v15, v10
	s_xor_b32 exec_lo, exec_lo, s1
	s_cbranch_execz .LBB17_60
; %bb.59:
	v_lshl_add_u32 v15, v14, 2, v6
	s_waitcnt lgkmcnt(0)
	v_mov_b32_e32 v16, v11
	ds_load_b32 v15, v15 offset:4
.LBB17_60:
	s_or_b32 exec_lo, exec_lo, s1
	v_add_nc_u32_e32 v17, 1, v13
	v_add_nc_u32_e32 v18, 1, v14
	s_waitcnt lgkmcnt(0)
	v_cmp_ge_i32_e64 s2, v15, v16
                                        ; implicit-def: $vgpr20
                                        ; implicit-def: $vgpr19
	s_delay_alu instid0(VALU_DEP_3) | instskip(NEXT) | instid1(VALU_DEP_3)
	v_cndmask_b32_e64 v21, v17, v13, s0
	v_cndmask_b32_e64 v17, v14, v18, s0
	s_delay_alu instid0(VALU_DEP_2) | instskip(NEXT) | instid1(VALU_DEP_2)
	v_cmp_gt_i32_e64 s1, 32, v21
	v_cmp_lt_i32_e64 s3, 63, v17
	s_delay_alu instid0(VALU_DEP_2)
	s_and_b32 s1, s1, s2
	s_delay_alu instid0(VALU_DEP_1) | instid1(SALU_CYCLE_1)
	s_or_b32 s1, s3, s1
	s_delay_alu instid0(SALU_CYCLE_1) | instskip(NEXT) | instid1(SALU_CYCLE_1)
	s_and_saveexec_b32 s2, s1
	s_xor_b32 s1, exec_lo, s2
	s_cbranch_execz .LBB17_62
; %bb.61:
	v_lshl_add_u32 v18, v21, 2, v6
	v_add_nc_u32_e32 v19, 1, v21
	ds_load_b32 v20, v18 offset:4
.LBB17_62:
	s_or_saveexec_b32 s1, s1
	v_mov_b32_e32 v18, v16
	v_mov_b32_e32 v22, v21
	s_xor_b32 exec_lo, exec_lo, s1
	s_cbranch_execz .LBB17_64
; %bb.63:
	v_lshl_add_u32 v18, v17, 2, v6
	s_waitcnt lgkmcnt(0)
	v_dual_mov_b32 v19, v21 :: v_dual_add_nc_u32 v20, 1, v17
	ds_load_b32 v23, v18 offset:4
	v_mov_b32_e32 v18, v15
	v_dual_mov_b32 v22, v17 :: v_dual_mov_b32 v17, v20
	s_waitcnt lgkmcnt(0)
	v_dual_mov_b32 v20, v16 :: v_dual_mov_b32 v15, v23
.LBB17_64:
	s_or_b32 exec_lo, exec_lo, s1
	v_cmp_lt_i32_e64 s1, 31, v19
	s_waitcnt lgkmcnt(0)
	s_delay_alu instid0(VALU_DEP_2) | instskip(SKIP_3) | instid1(VALU_DEP_4)
	v_cmp_lt_i32_e64 s2, v15, v20
	v_cmp_gt_i32_e64 s3, 64, v17
	v_cndmask_b32_e32 v8, v8, v12, vcc_lo
	v_cndmask_b32_e64 v13, v13, v14, s0
	s_or_b32 s1, s1, s2
	; wave barrier
	s_delay_alu instid0(VALU_DEP_3) | instid1(SALU_CYCLE_1)
	s_and_b32 s1, s3, s1
	ds_store_2addr_b32 v0, v1, v2 offset1:1
	ds_store_2addr_b32 v0, v3, v4 offset0:2 offset1:3
	v_cndmask_b32_e64 v14, v19, v17, s1
	v_lshl_add_u32 v0, v8, 2, v6
	v_lshl_add_u32 v1, v13, 2, v6
	;; [unrolled: 1-line block ×3, first 2 shown]
	s_delay_alu instid0(VALU_DEP_4)
	v_lshl_add_u32 v3, v14, 2, v6
	; wave barrier
	ds_load_b32 v0, v0
	ds_load_b32 v1, v1
	;; [unrolled: 1-line block ×4, first 2 shown]
	v_cndmask_b32_e64 v12, v20, v15, s1
	v_cndmask_b32_e32 v4, v7, v9, vcc_lo
	v_cndmask_b32_e64 v6, v11, v10, s0
	s_add_u32 s0, s10, s12
	s_addc_u32 s1, s11, s13
	s_waitcnt lgkmcnt(3)
	v_add_nc_u32_e32 v0, v0, v4
	s_waitcnt lgkmcnt(2)
	v_add_nc_u32_e32 v1, v1, v6
	;; [unrolled: 2-line block ×4, first 2 shown]
	v_lshlrev_b32_e32 v4, 2, v5
	global_store_b128 v4, v[0:3], s[0:1]
	s_nop 0
	s_sendmsg sendmsg(MSG_DEALLOC_VGPRS)
	s_endpgm
	.section	.rodata,"a",@progbits
	.p2align	6, 0x0
	.amdhsa_kernel _Z10sort_pairsILj256ELj16ELj4EiN10test_utils4lessEEvPKT2_PS2_T3_
		.amdhsa_group_segment_fixed_size 4160
		.amdhsa_private_segment_fixed_size 0
		.amdhsa_kernarg_size 20
		.amdhsa_user_sgpr_count 15
		.amdhsa_user_sgpr_dispatch_ptr 0
		.amdhsa_user_sgpr_queue_ptr 0
		.amdhsa_user_sgpr_kernarg_segment_ptr 1
		.amdhsa_user_sgpr_dispatch_id 0
		.amdhsa_user_sgpr_private_segment_size 0
		.amdhsa_wavefront_size32 1
		.amdhsa_uses_dynamic_stack 0
		.amdhsa_enable_private_segment 0
		.amdhsa_system_sgpr_workgroup_id_x 1
		.amdhsa_system_sgpr_workgroup_id_y 0
		.amdhsa_system_sgpr_workgroup_id_z 0
		.amdhsa_system_sgpr_workgroup_info 0
		.amdhsa_system_vgpr_workitem_id 0
		.amdhsa_next_free_vgpr 29
		.amdhsa_next_free_sgpr 16
		.amdhsa_reserve_vcc 1
		.amdhsa_float_round_mode_32 0
		.amdhsa_float_round_mode_16_64 0
		.amdhsa_float_denorm_mode_32 3
		.amdhsa_float_denorm_mode_16_64 3
		.amdhsa_dx10_clamp 1
		.amdhsa_ieee_mode 1
		.amdhsa_fp16_overflow 0
		.amdhsa_workgroup_processor_mode 1
		.amdhsa_memory_ordered 1
		.amdhsa_forward_progress 0
		.amdhsa_shared_vgpr_count 0
		.amdhsa_exception_fp_ieee_invalid_op 0
		.amdhsa_exception_fp_denorm_src 0
		.amdhsa_exception_fp_ieee_div_zero 0
		.amdhsa_exception_fp_ieee_overflow 0
		.amdhsa_exception_fp_ieee_underflow 0
		.amdhsa_exception_fp_ieee_inexact 0
		.amdhsa_exception_int_div_zero 0
	.end_amdhsa_kernel
	.section	.text._Z10sort_pairsILj256ELj16ELj4EiN10test_utils4lessEEvPKT2_PS2_T3_,"axG",@progbits,_Z10sort_pairsILj256ELj16ELj4EiN10test_utils4lessEEvPKT2_PS2_T3_,comdat
.Lfunc_end17:
	.size	_Z10sort_pairsILj256ELj16ELj4EiN10test_utils4lessEEvPKT2_PS2_T3_, .Lfunc_end17-_Z10sort_pairsILj256ELj16ELj4EiN10test_utils4lessEEvPKT2_PS2_T3_
                                        ; -- End function
	.section	.AMDGPU.csdata,"",@progbits
; Kernel info:
; codeLenInByte = 4000
; NumSgprs: 18
; NumVgprs: 29
; ScratchSize: 0
; MemoryBound: 0
; FloatMode: 240
; IeeeMode: 1
; LDSByteSize: 4160 bytes/workgroup (compile time only)
; SGPRBlocks: 2
; VGPRBlocks: 3
; NumSGPRsForWavesPerEU: 18
; NumVGPRsForWavesPerEU: 29
; Occupancy: 16
; WaveLimiterHint : 0
; COMPUTE_PGM_RSRC2:SCRATCH_EN: 0
; COMPUTE_PGM_RSRC2:USER_SGPR: 15
; COMPUTE_PGM_RSRC2:TRAP_HANDLER: 0
; COMPUTE_PGM_RSRC2:TGID_X_EN: 1
; COMPUTE_PGM_RSRC2:TGID_Y_EN: 0
; COMPUTE_PGM_RSRC2:TGID_Z_EN: 0
; COMPUTE_PGM_RSRC2:TIDIG_COMP_CNT: 0
	.section	.text._Z19sort_keys_segmentedILj256ELj16ELj4EiN10test_utils4lessEEvPKT2_PS2_PKjT3_,"axG",@progbits,_Z19sort_keys_segmentedILj256ELj16ELj4EiN10test_utils4lessEEvPKT2_PS2_PKjT3_,comdat
	.protected	_Z19sort_keys_segmentedILj256ELj16ELj4EiN10test_utils4lessEEvPKT2_PS2_PKjT3_ ; -- Begin function _Z19sort_keys_segmentedILj256ELj16ELj4EiN10test_utils4lessEEvPKT2_PS2_PKjT3_
	.globl	_Z19sort_keys_segmentedILj256ELj16ELj4EiN10test_utils4lessEEvPKT2_PS2_PKjT3_
	.p2align	8
	.type	_Z19sort_keys_segmentedILj256ELj16ELj4EiN10test_utils4lessEEvPKT2_PS2_PKjT3_,@function
_Z19sort_keys_segmentedILj256ELj16ELj4EiN10test_utils4lessEEvPKT2_PS2_PKjT3_: ; @_Z19sort_keys_segmentedILj256ELj16ELj4EiN10test_utils4lessEEvPKT2_PS2_PKjT3_
; %bb.0:
	s_clause 0x1
	s_load_b64 s[2:3], s[0:1], 0x10
	s_load_b128 s[8:11], s[0:1], 0x0
	v_lshrrev_b32_e32 v14, 4, v0
	s_delay_alu instid0(VALU_DEP_1) | instskip(SKIP_1) | instid1(VALU_DEP_1)
	v_lshl_or_b32 v0, s15, 4, v14
	v_mov_b32_e32 v1, 0
	v_lshlrev_b64 v[2:3], 2, v[0:1]
	v_lshlrev_b32_e32 v0, 6, v0
	s_delay_alu instid0(VALU_DEP_1) | instskip(SKIP_1) | instid1(VALU_DEP_3)
	v_lshlrev_b64 v[4:5], 2, v[0:1]
	s_waitcnt lgkmcnt(0)
	v_add_co_u32 v2, vcc_lo, s2, v2
	s_delay_alu instid0(VALU_DEP_4) | instskip(NEXT) | instid1(VALU_DEP_3)
	v_add_co_ci_u32_e32 v3, vcc_lo, s3, v3, vcc_lo
	v_add_co_u32 v0, vcc_lo, s8, v4
	global_load_b32 v9, v[2:3], off
	v_mbcnt_lo_u32_b32 v2, -1, 0
	v_add_co_ci_u32_e32 v1, vcc_lo, s9, v5, vcc_lo
	s_delay_alu instid0(VALU_DEP_2) | instskip(NEXT) | instid1(VALU_DEP_1)
	v_lshlrev_b32_e32 v11, 2, v2
	v_and_b32_e32 v10, 60, v11
	s_delay_alu instid0(VALU_DEP_1) | instskip(NEXT) | instid1(VALU_DEP_1)
	v_lshlrev_b32_e32 v8, 2, v10
	v_add_co_u32 v6, vcc_lo, v0, v8
	v_add_co_ci_u32_e32 v7, vcc_lo, 0, v1, vcc_lo
                                        ; implicit-def: $vgpr0_vgpr1_vgpr2_vgpr3
	s_waitcnt vmcnt(0)
	v_cmp_lt_u32_e32 vcc_lo, v10, v9
	s_and_saveexec_b32 s0, vcc_lo
	s_cbranch_execz .LBB18_2
; %bb.1:
	global_load_b32 v0, v[6:7], off
.LBB18_2:
	s_or_b32 exec_lo, exec_lo, s0
	v_or_b32_e32 v12, 1, v10
	s_delay_alu instid0(VALU_DEP_1) | instskip(NEXT) | instid1(VALU_DEP_1)
	v_cmp_lt_u32_e64 s0, v12, v9
	s_and_saveexec_b32 s1, s0
	s_cbranch_execz .LBB18_4
; %bb.3:
	global_load_b32 v1, v[6:7], off offset:4
.LBB18_4:
	s_or_b32 exec_lo, exec_lo, s1
	v_or_b32_e32 v13, 2, v10
	s_delay_alu instid0(VALU_DEP_1) | instskip(NEXT) | instid1(VALU_DEP_1)
	v_cmp_lt_u32_e64 s1, v13, v9
	s_and_saveexec_b32 s2, s1
	s_cbranch_execz .LBB18_6
; %bb.5:
	global_load_b32 v2, v[6:7], off offset:8
.LBB18_6:
	;; [unrolled: 9-line block ×3, first 2 shown]
	s_or_b32 exec_lo, exec_lo, s3
	v_cmp_lt_i32_e64 s3, v13, v9
	v_cmp_lt_i32_e64 s4, v15, v9
	;; [unrolled: 1-line block ×3, first 2 shown]
	s_mov_b32 s6, exec_lo
	s_delay_alu instid0(VALU_DEP_2) | instskip(SKIP_4) | instid1(SALU_CYCLE_1)
	s_or_b32 s3, s4, s3
	s_waitcnt vmcnt(0)
	v_cndmask_b32_e64 v3, 0x7fffffff, v3, s4
	v_cndmask_b32_e64 v2, 0x7fffffff, v2, s3
	s_or_b32 s3, s3, s5
	v_cndmask_b32_e64 v1, 0x7fffffff, v1, s3
	v_cmpx_lt_i32_e64 v10, v9
	s_cbranch_execz .LBB18_10
; %bb.9:
	v_cmp_lt_i32_e64 s3, v3, v2
	s_delay_alu instid0(VALU_DEP_3) | instskip(SKIP_2) | instid1(VALU_DEP_4)
	v_cmp_lt_i32_e64 s4, v1, v0
	v_max_i32_e32 v7, v1, v0
	v_min_i32_e32 v13, v3, v2
	v_cndmask_b32_e64 v12, v3, v2, s3
	s_delay_alu instid0(VALU_DEP_4)
	v_cndmask_b32_e64 v6, v0, v1, s4
	v_cndmask_b32_e64 v15, v2, v3, s3
	;; [unrolled: 1-line block ×3, first 2 shown]
	v_min_i32_e32 v1, v1, v0
	v_max_i32_e32 v2, v3, v2
	v_cmp_lt_i32_e64 s3, v13, v7
	v_min_i32_e32 v3, v13, v7
	v_max_i32_e32 v17, v13, v7
	v_cmp_lt_i32_e64 s4, v13, v1
	v_cmp_gt_i32_e64 s5, v7, v2
	v_cndmask_b32_e64 v15, v15, v7, s3
	v_cndmask_b32_e64 v7, v16, v13, s3
	s_delay_alu instid0(VALU_DEP_4)
	v_cndmask_b32_e64 v0, v6, v3, s4
	v_cndmask_b32_e64 v6, v3, v1, s4
	;; [unrolled: 1-line block ×6, first 2 shown]
	s_delay_alu instid0(VALU_DEP_3) | instskip(NEXT) | instid1(VALU_DEP_1)
	v_cmp_lt_i32_e64 s3, v12, v6
	v_cndmask_b32_e64 v2, v2, v6, s3
	s_delay_alu instid0(VALU_DEP_4)
	v_cndmask_b32_e64 v1, v1, v12, s3
.LBB18_10:
	s_or_b32 exec_lo, exec_lo, s6
	v_and_b32_e32 v6, 56, v11
	v_and_b32_e32 v7, 4, v11
	s_mov_b32 s5, 0
	s_mov_b32 s4, exec_lo
	s_delay_alu instid0(VALU_DEP_2) | instskip(NEXT) | instid1(VALU_DEP_2)
	v_min_i32_e32 v15, v9, v6
	v_min_i32_e32 v16, v9, v7
	; wave barrier
	s_delay_alu instid0(VALU_DEP_2) | instskip(SKIP_1) | instid1(VALU_DEP_2)
	v_add_nc_u32_e32 v6, 4, v15
	v_lshlrev_b32_e32 v20, 2, v15
	v_min_i32_e32 v13, v9, v6
	s_delay_alu instid0(VALU_DEP_1) | instskip(SKIP_1) | instid1(VALU_DEP_2)
	v_add_nc_u32_e32 v6, 4, v13
	v_sub_nc_u32_e32 v17, v13, v15
	v_min_i32_e32 v12, v9, v6
	v_mul_u32_u24_e32 v6, 0x104, v14
	s_delay_alu instid0(VALU_DEP_3) | instskip(NEXT) | instid1(VALU_DEP_3)
	v_min_i32_e32 v18, v16, v17
	v_sub_nc_u32_e32 v7, v12, v13
	s_delay_alu instid0(VALU_DEP_1)
	v_sub_nc_u32_e32 v19, v16, v7
	v_cmp_ge_i32_e64 s3, v16, v7
	v_mad_u32_u24 v7, 0x104, v14, v8
	v_mad_u32_u24 v14, 0x104, v14, v20
	ds_store_2addr_b32 v7, v0, v1 offset1:1
	ds_store_2addr_b32 v7, v2, v3 offset0:2 offset1:3
	v_cndmask_b32_e64 v17, 0, v19, s3
	; wave barrier
	s_delay_alu instid0(VALU_DEP_1)
	v_cmpx_lt_i32_e64 v17, v18
	s_cbranch_execz .LBB18_14
; %bb.11:
	v_lshlrev_b32_e32 v0, 2, v13
	v_lshlrev_b32_e32 v1, 2, v16
	s_delay_alu instid0(VALU_DEP_1)
	v_add3_u32 v0, v6, v0, v1
	.p2align	6
.LBB18_12:                              ; =>This Inner Loop Header: Depth=1
	v_sub_nc_u32_e32 v1, v18, v17
	s_delay_alu instid0(VALU_DEP_1) | instskip(NEXT) | instid1(VALU_DEP_1)
	v_lshrrev_b32_e32 v2, 31, v1
	v_add_nc_u32_e32 v1, v1, v2
	s_delay_alu instid0(VALU_DEP_1) | instskip(NEXT) | instid1(VALU_DEP_1)
	v_ashrrev_i32_e32 v1, 1, v1
	v_add_nc_u32_e32 v1, v1, v17
	s_delay_alu instid0(VALU_DEP_1) | instskip(SKIP_2) | instid1(VALU_DEP_3)
	v_not_b32_e32 v2, v1
	v_lshl_add_u32 v3, v1, 2, v14
	v_add_nc_u32_e32 v19, 1, v1
	v_lshl_add_u32 v2, v2, 2, v0
	ds_load_b32 v3, v3
	ds_load_b32 v2, v2
	s_waitcnt lgkmcnt(0)
	v_cmp_lt_i32_e64 s3, v2, v3
	s_delay_alu instid0(VALU_DEP_1) | instskip(SKIP_1) | instid1(VALU_DEP_1)
	v_cndmask_b32_e64 v18, v18, v1, s3
	v_cndmask_b32_e64 v17, v19, v17, s3
	v_cmp_ge_i32_e64 s3, v17, v18
	s_delay_alu instid0(VALU_DEP_1) | instskip(NEXT) | instid1(SALU_CYCLE_1)
	s_or_b32 s5, s3, s5
	s_and_not1_b32 exec_lo, exec_lo, s5
	s_cbranch_execnz .LBB18_12
; %bb.13:
	s_or_b32 exec_lo, exec_lo, s5
.LBB18_14:
	s_delay_alu instid0(SALU_CYCLE_1) | instskip(SKIP_3) | instid1(VALU_DEP_3)
	s_or_b32 exec_lo, exec_lo, s4
	v_add_nc_u32_e32 v0, v13, v16
	v_lshl_add_u32 v18, v17, 2, v14
	v_add_nc_u32_e32 v15, v17, v15
                                        ; implicit-def: $vgpr1
                                        ; implicit-def: $vgpr14
	v_sub_nc_u32_e32 v0, v0, v17
	s_delay_alu instid0(VALU_DEP_2) | instskip(NEXT) | instid1(VALU_DEP_2)
	v_cmp_le_i32_e64 s3, v13, v15
	v_lshl_add_u32 v16, v0, 2, v6
	v_cmp_gt_i32_e64 s5, v12, v0
	ds_load_b32 v2, v18
	ds_load_b32 v3, v16
	s_waitcnt lgkmcnt(0)
	v_cmp_lt_i32_e64 s4, v3, v2
	s_delay_alu instid0(VALU_DEP_1) | instskip(NEXT) | instid1(SALU_CYCLE_1)
	s_or_b32 s3, s3, s4
	s_and_b32 s3, s5, s3
	s_delay_alu instid0(SALU_CYCLE_1) | instskip(NEXT) | instid1(SALU_CYCLE_1)
	s_xor_b32 s4, s3, -1
	s_and_saveexec_b32 s5, s4
	s_delay_alu instid0(SALU_CYCLE_1)
	s_xor_b32 s4, exec_lo, s5
	s_cbranch_execz .LBB18_16
; %bb.15:
	ds_load_b32 v14, v18 offset:4
	v_mov_b32_e32 v1, v3
                                        ; implicit-def: $vgpr16
.LBB18_16:
	s_and_not1_saveexec_b32 s4, s4
	s_cbranch_execz .LBB18_18
; %bb.17:
	ds_load_b32 v1, v16 offset:4
	s_waitcnt lgkmcnt(1)
	v_mov_b32_e32 v14, v2
.LBB18_18:
	s_or_b32 exec_lo, exec_lo, s4
	v_add_nc_u32_e32 v16, 1, v15
	v_add_nc_u32_e32 v17, 1, v0
	s_waitcnt lgkmcnt(0)
	v_cmp_lt_i32_e64 s5, v1, v14
	s_delay_alu instid0(VALU_DEP_3) | instskip(NEXT) | instid1(VALU_DEP_3)
	v_cndmask_b32_e64 v15, v16, v15, s3
	v_cndmask_b32_e64 v0, v0, v17, s3
                                        ; implicit-def: $vgpr16
	s_delay_alu instid0(VALU_DEP_2) | instskip(NEXT) | instid1(VALU_DEP_2)
	v_cmp_ge_i32_e64 s4, v15, v13
	v_cmp_lt_i32_e64 s6, v0, v12
	s_delay_alu instid0(VALU_DEP_2)
	s_or_b32 s4, s4, s5
	s_delay_alu instid0(VALU_DEP_1) | instid1(SALU_CYCLE_1)
	s_and_b32 s4, s6, s4
	s_delay_alu instid0(SALU_CYCLE_1) | instskip(NEXT) | instid1(SALU_CYCLE_1)
	s_xor_b32 s5, s4, -1
	s_and_saveexec_b32 s6, s5
	s_delay_alu instid0(SALU_CYCLE_1)
	s_xor_b32 s5, exec_lo, s6
	s_cbranch_execz .LBB18_20
; %bb.19:
	v_lshl_add_u32 v16, v15, 2, v6
	ds_load_b32 v16, v16 offset:4
.LBB18_20:
	s_or_saveexec_b32 s5, s5
	v_mov_b32_e32 v17, v1
	s_xor_b32 exec_lo, exec_lo, s5
	s_cbranch_execz .LBB18_22
; %bb.21:
	s_waitcnt lgkmcnt(0)
	v_lshl_add_u32 v16, v0, 2, v6
	ds_load_b32 v17, v16 offset:4
	v_mov_b32_e32 v16, v14
.LBB18_22:
	s_or_b32 exec_lo, exec_lo, s5
	v_add_nc_u32_e32 v18, 1, v15
	v_add_nc_u32_e32 v19, 1, v0
	s_waitcnt lgkmcnt(0)
	v_cmp_lt_i32_e64 s6, v17, v16
	s_delay_alu instid0(VALU_DEP_3) | instskip(NEXT) | instid1(VALU_DEP_3)
	v_cndmask_b32_e64 v20, v18, v15, s4
	v_cndmask_b32_e64 v19, v0, v19, s4
                                        ; implicit-def: $vgpr18
	s_delay_alu instid0(VALU_DEP_2) | instskip(NEXT) | instid1(VALU_DEP_2)
	v_cmp_ge_i32_e64 s5, v20, v13
	v_cmp_lt_i32_e64 s7, v19, v12
	s_delay_alu instid0(VALU_DEP_2)
	s_or_b32 s5, s5, s6
	s_delay_alu instid0(VALU_DEP_1) | instid1(SALU_CYCLE_1)
	s_and_b32 s5, s7, s5
	s_delay_alu instid0(SALU_CYCLE_1) | instskip(NEXT) | instid1(SALU_CYCLE_1)
	s_xor_b32 s6, s5, -1
	s_and_saveexec_b32 s7, s6
	s_delay_alu instid0(SALU_CYCLE_1)
	s_xor_b32 s6, exec_lo, s7
	s_cbranch_execz .LBB18_24
; %bb.23:
	v_lshl_add_u32 v0, v20, 2, v6
	ds_load_b32 v18, v0 offset:4
.LBB18_24:
	s_or_saveexec_b32 s6, s6
	v_mov_b32_e32 v21, v17
	s_xor_b32 exec_lo, exec_lo, s6
	s_cbranch_execz .LBB18_26
; %bb.25:
	v_lshl_add_u32 v0, v19, 2, v6
	s_waitcnt lgkmcnt(0)
	v_mov_b32_e32 v18, v16
	ds_load_b32 v21, v0 offset:4
.LBB18_26:
	s_or_b32 exec_lo, exec_lo, s6
	v_and_b32_e32 v0, 48, v11
	v_cndmask_b32_e64 v16, v16, v17, s5
	v_add_nc_u32_e32 v23, 1, v20
	v_add_nc_u32_e32 v22, 1, v19
	v_cndmask_b32_e64 v14, v14, v1, s4
	v_min_i32_e32 v15, v9, v0
	v_and_b32_e32 v24, 12, v11
	s_delay_alu instid0(VALU_DEP_4) | instskip(NEXT) | instid1(VALU_DEP_3)
	v_cndmask_b32_e64 v19, v19, v22, s5
	; wave barrier
	v_add_nc_u32_e32 v0, 8, v15
	s_delay_alu instid0(VALU_DEP_1) | instskip(NEXT) | instid1(VALU_DEP_1)
	v_min_i32_e32 v0, v9, v0
	v_add_nc_u32_e32 v17, 8, v0
	s_delay_alu instid0(VALU_DEP_1)
	v_min_i32_e32 v1, v9, v17
	v_cndmask_b32_e64 v17, v2, v3, s3
	v_cndmask_b32_e64 v3, v23, v20, s5
	s_waitcnt lgkmcnt(0)
	v_cmp_lt_i32_e64 s3, v21, v18
	v_min_i32_e32 v2, v9, v24
	v_sub_nc_u32_e32 v20, v1, v0
	v_cmp_lt_i32_e64 s5, v19, v12
	v_cmp_ge_i32_e64 s4, v3, v13
	v_sub_nc_u32_e32 v3, v0, v15
	s_delay_alu instid0(VALU_DEP_4) | instskip(NEXT) | instid1(VALU_DEP_3)
	v_sub_nc_u32_e32 v22, v2, v20
	s_or_b32 s4, s4, s3
	v_cmp_ge_i32_e64 s3, v2, v20
	s_delay_alu instid0(VALU_DEP_3) | instskip(SKIP_1) | instid1(VALU_DEP_3)
	v_min_i32_e32 v13, v2, v3
	v_lshl_add_u32 v3, v15, 2, v6
	v_cndmask_b32_e64 v12, 0, v22, s3
	s_and_b32 s3, s5, s4
	s_mov_b32 s5, 0
	v_cndmask_b32_e64 v18, v18, v21, s3
	s_mov_b32 s4, exec_lo
	ds_store_2addr_b32 v7, v17, v14 offset1:1
	ds_store_2addr_b32 v7, v16, v18 offset0:2 offset1:3
	; wave barrier
	v_cmpx_lt_i32_e64 v12, v13
	s_cbranch_execz .LBB18_30
; %bb.27:
	v_lshlrev_b32_e32 v14, 2, v0
	v_lshlrev_b32_e32 v16, 2, v2
	s_delay_alu instid0(VALU_DEP_1)
	v_add3_u32 v14, v6, v14, v16
	.p2align	6
.LBB18_28:                              ; =>This Inner Loop Header: Depth=1
	v_sub_nc_u32_e32 v16, v13, v12
	s_delay_alu instid0(VALU_DEP_1) | instskip(NEXT) | instid1(VALU_DEP_1)
	v_lshrrev_b32_e32 v17, 31, v16
	v_add_nc_u32_e32 v16, v16, v17
	s_delay_alu instid0(VALU_DEP_1) | instskip(NEXT) | instid1(VALU_DEP_1)
	v_ashrrev_i32_e32 v16, 1, v16
	v_add_nc_u32_e32 v16, v16, v12
	s_delay_alu instid0(VALU_DEP_1) | instskip(SKIP_2) | instid1(VALU_DEP_3)
	v_not_b32_e32 v17, v16
	v_lshl_add_u32 v18, v16, 2, v3
	v_add_nc_u32_e32 v19, 1, v16
	v_lshl_add_u32 v17, v17, 2, v14
	ds_load_b32 v18, v18
	ds_load_b32 v17, v17
	s_waitcnt lgkmcnt(0)
	v_cmp_lt_i32_e64 s3, v17, v18
	s_delay_alu instid0(VALU_DEP_1) | instskip(SKIP_1) | instid1(VALU_DEP_1)
	v_cndmask_b32_e64 v13, v13, v16, s3
	v_cndmask_b32_e64 v12, v19, v12, s3
	v_cmp_ge_i32_e64 s3, v12, v13
	s_delay_alu instid0(VALU_DEP_1) | instskip(NEXT) | instid1(SALU_CYCLE_1)
	s_or_b32 s5, s3, s5
	s_and_not1_b32 exec_lo, exec_lo, s5
	s_cbranch_execnz .LBB18_28
; %bb.29:
	s_or_b32 exec_lo, exec_lo, s5
.LBB18_30:
	s_delay_alu instid0(SALU_CYCLE_1) | instskip(SKIP_2) | instid1(VALU_DEP_2)
	s_or_b32 exec_lo, exec_lo, s4
	v_add_nc_u32_e32 v2, v0, v2
	v_lshl_add_u32 v18, v12, 2, v3
                                        ; implicit-def: $vgpr13
                                        ; implicit-def: $vgpr14
	v_sub_nc_u32_e32 v16, v2, v12
	v_add_nc_u32_e32 v12, v12, v15
	s_delay_alu instid0(VALU_DEP_2) | instskip(NEXT) | instid1(VALU_DEP_2)
	v_lshl_add_u32 v17, v16, 2, v6
	v_cmp_le_i32_e64 s3, v0, v12
	v_cmp_gt_i32_e64 s5, v1, v16
	ds_load_b32 v2, v18
	ds_load_b32 v3, v17
	s_waitcnt lgkmcnt(0)
	v_cmp_lt_i32_e64 s4, v3, v2
	s_delay_alu instid0(VALU_DEP_1) | instskip(NEXT) | instid1(SALU_CYCLE_1)
	s_or_b32 s3, s3, s4
	s_and_b32 s3, s5, s3
	s_delay_alu instid0(SALU_CYCLE_1) | instskip(NEXT) | instid1(SALU_CYCLE_1)
	s_xor_b32 s4, s3, -1
	s_and_saveexec_b32 s5, s4
	s_delay_alu instid0(SALU_CYCLE_1)
	s_xor_b32 s4, exec_lo, s5
	s_cbranch_execz .LBB18_32
; %bb.31:
	ds_load_b32 v14, v18 offset:4
	v_mov_b32_e32 v13, v3
                                        ; implicit-def: $vgpr17
.LBB18_32:
	s_and_not1_saveexec_b32 s4, s4
	s_cbranch_execz .LBB18_34
; %bb.33:
	ds_load_b32 v13, v17 offset:4
	s_waitcnt lgkmcnt(1)
	v_mov_b32_e32 v14, v2
.LBB18_34:
	s_or_b32 exec_lo, exec_lo, s4
	v_add_nc_u32_e32 v15, 1, v12
	v_add_nc_u32_e32 v17, 1, v16
	s_waitcnt lgkmcnt(0)
	v_cmp_lt_i32_e64 s5, v13, v14
	s_delay_alu instid0(VALU_DEP_3) | instskip(NEXT) | instid1(VALU_DEP_3)
	v_cndmask_b32_e64 v15, v15, v12, s3
	v_cndmask_b32_e64 v12, v16, v17, s3
                                        ; implicit-def: $vgpr16
	s_delay_alu instid0(VALU_DEP_2) | instskip(NEXT) | instid1(VALU_DEP_2)
	v_cmp_ge_i32_e64 s4, v15, v0
	v_cmp_lt_i32_e64 s6, v12, v1
	s_delay_alu instid0(VALU_DEP_2)
	s_or_b32 s4, s4, s5
	s_delay_alu instid0(VALU_DEP_1) | instid1(SALU_CYCLE_1)
	s_and_b32 s4, s6, s4
	s_delay_alu instid0(SALU_CYCLE_1) | instskip(NEXT) | instid1(SALU_CYCLE_1)
	s_xor_b32 s5, s4, -1
	s_and_saveexec_b32 s6, s5
	s_delay_alu instid0(SALU_CYCLE_1)
	s_xor_b32 s5, exec_lo, s6
	s_cbranch_execz .LBB18_36
; %bb.35:
	v_lshl_add_u32 v16, v15, 2, v6
	ds_load_b32 v16, v16 offset:4
.LBB18_36:
	s_or_saveexec_b32 s5, s5
	v_mov_b32_e32 v17, v13
	s_xor_b32 exec_lo, exec_lo, s5
	s_cbranch_execz .LBB18_38
; %bb.37:
	s_waitcnt lgkmcnt(0)
	v_lshl_add_u32 v16, v12, 2, v6
	ds_load_b32 v17, v16 offset:4
	v_mov_b32_e32 v16, v14
.LBB18_38:
	s_or_b32 exec_lo, exec_lo, s5
	v_add_nc_u32_e32 v18, 1, v15
	v_add_nc_u32_e32 v19, 1, v12
	s_waitcnt lgkmcnt(0)
	v_cmp_lt_i32_e64 s6, v17, v16
	s_delay_alu instid0(VALU_DEP_3) | instskip(NEXT) | instid1(VALU_DEP_3)
	v_cndmask_b32_e64 v20, v18, v15, s4
	v_cndmask_b32_e64 v19, v12, v19, s4
                                        ; implicit-def: $vgpr18
	s_delay_alu instid0(VALU_DEP_2) | instskip(NEXT) | instid1(VALU_DEP_2)
	v_cmp_ge_i32_e64 s5, v20, v0
	v_cmp_lt_i32_e64 s7, v19, v1
	s_delay_alu instid0(VALU_DEP_2)
	s_or_b32 s5, s5, s6
	s_delay_alu instid0(VALU_DEP_1) | instid1(SALU_CYCLE_1)
	s_and_b32 s5, s7, s5
	s_delay_alu instid0(SALU_CYCLE_1) | instskip(NEXT) | instid1(SALU_CYCLE_1)
	s_xor_b32 s6, s5, -1
	s_and_saveexec_b32 s7, s6
	s_delay_alu instid0(SALU_CYCLE_1)
	s_xor_b32 s6, exec_lo, s7
	s_cbranch_execz .LBB18_40
; %bb.39:
	v_lshl_add_u32 v12, v20, 2, v6
	ds_load_b32 v18, v12 offset:4
.LBB18_40:
	s_or_saveexec_b32 s6, s6
	v_mov_b32_e32 v21, v17
	s_xor_b32 exec_lo, exec_lo, s6
	s_cbranch_execz .LBB18_42
; %bb.41:
	v_lshl_add_u32 v12, v19, 2, v6
	s_waitcnt lgkmcnt(0)
	v_mov_b32_e32 v18, v16
	ds_load_b32 v21, v12 offset:4
.LBB18_42:
	s_or_b32 exec_lo, exec_lo, s6
	v_and_b32_e32 v12, 32, v11
	v_cndmask_b32_e64 v16, v16, v17, s5
	v_add_nc_u32_e32 v23, 1, v20
	v_add_nc_u32_e32 v22, 1, v19
	v_cndmask_b32_e64 v13, v14, v13, s4
	v_min_i32_e32 v15, v9, v12
	v_and_b32_e32 v14, 28, v11
	s_delay_alu instid0(VALU_DEP_4) | instskip(NEXT) | instid1(VALU_DEP_3)
	v_cndmask_b32_e64 v19, v19, v22, s5
	; wave barrier
	v_add_nc_u32_e32 v12, 16, v15
	s_delay_alu instid0(VALU_DEP_1) | instskip(NEXT) | instid1(VALU_DEP_1)
	v_min_i32_e32 v12, v9, v12
	v_add_nc_u32_e32 v17, 16, v12
	s_delay_alu instid0(VALU_DEP_1)
	v_min_i32_e32 v11, v9, v17
	v_cndmask_b32_e64 v17, v2, v3, s3
	v_cndmask_b32_e64 v3, v23, v20, s5
	s_waitcnt lgkmcnt(0)
	v_cmp_lt_i32_e64 s3, v21, v18
	v_min_i32_e32 v2, v9, v14
	v_sub_nc_u32_e32 v14, v11, v12
	v_cmp_lt_i32_e64 s5, v19, v1
	v_cmp_ge_i32_e64 s4, v3, v0
	v_sub_nc_u32_e32 v0, v12, v15
	s_delay_alu instid0(VALU_DEP_4) | instskip(NEXT) | instid1(VALU_DEP_3)
	v_sub_nc_u32_e32 v3, v2, v14
	s_or_b32 s4, s4, s3
	v_cmp_ge_i32_e64 s3, v2, v14
	s_delay_alu instid0(VALU_DEP_3) | instskip(SKIP_1) | instid1(VALU_DEP_3)
	v_min_i32_e32 v1, v2, v0
	v_lshl_add_u32 v0, v15, 2, v6
	v_cndmask_b32_e64 v3, 0, v3, s3
	s_and_b32 s3, s5, s4
	s_mov_b32 s5, 0
	v_cndmask_b32_e64 v14, v18, v21, s3
	s_mov_b32 s4, exec_lo
	ds_store_2addr_b32 v7, v17, v13 offset1:1
	ds_store_2addr_b32 v7, v16, v14 offset0:2 offset1:3
	; wave barrier
	v_cmpx_lt_i32_e64 v3, v1
	s_cbranch_execz .LBB18_46
; %bb.43:
	v_lshlrev_b32_e32 v13, 2, v12
	v_lshlrev_b32_e32 v14, 2, v2
	s_delay_alu instid0(VALU_DEP_1)
	v_add3_u32 v13, v6, v13, v14
	.p2align	6
.LBB18_44:                              ; =>This Inner Loop Header: Depth=1
	v_sub_nc_u32_e32 v14, v1, v3
	s_delay_alu instid0(VALU_DEP_1) | instskip(NEXT) | instid1(VALU_DEP_1)
	v_lshrrev_b32_e32 v16, 31, v14
	v_add_nc_u32_e32 v14, v14, v16
	s_delay_alu instid0(VALU_DEP_1) | instskip(NEXT) | instid1(VALU_DEP_1)
	v_ashrrev_i32_e32 v14, 1, v14
	v_add_nc_u32_e32 v14, v14, v3
	s_delay_alu instid0(VALU_DEP_1) | instskip(SKIP_2) | instid1(VALU_DEP_3)
	v_not_b32_e32 v16, v14
	v_lshl_add_u32 v17, v14, 2, v0
	v_add_nc_u32_e32 v18, 1, v14
	v_lshl_add_u32 v16, v16, 2, v13
	ds_load_b32 v17, v17
	ds_load_b32 v16, v16
	s_waitcnt lgkmcnt(0)
	v_cmp_lt_i32_e64 s3, v16, v17
	s_delay_alu instid0(VALU_DEP_1) | instskip(SKIP_1) | instid1(VALU_DEP_1)
	v_cndmask_b32_e64 v1, v1, v14, s3
	v_cndmask_b32_e64 v3, v18, v3, s3
	v_cmp_ge_i32_e64 s3, v3, v1
	s_delay_alu instid0(VALU_DEP_1) | instskip(NEXT) | instid1(SALU_CYCLE_1)
	s_or_b32 s5, s3, s5
	s_and_not1_b32 exec_lo, exec_lo, s5
	s_cbranch_execnz .LBB18_44
; %bb.45:
	s_or_b32 exec_lo, exec_lo, s5
.LBB18_46:
	s_delay_alu instid0(SALU_CYCLE_1) | instskip(SKIP_3) | instid1(VALU_DEP_3)
	s_or_b32 exec_lo, exec_lo, s4
	v_add_nc_u32_e32 v1, v12, v2
	v_lshl_add_u32 v17, v3, 2, v0
	v_add_nc_u32_e32 v14, v3, v15
                                        ; implicit-def: $vgpr13
	v_sub_nc_u32_e32 v2, v1, v3
                                        ; implicit-def: $vgpr3
	s_delay_alu instid0(VALU_DEP_2) | instskip(NEXT) | instid1(VALU_DEP_2)
	v_cmp_le_i32_e64 s3, v12, v14
	v_lshl_add_u32 v16, v2, 2, v6
	v_cmp_gt_i32_e64 s5, v11, v2
	ds_load_b32 v0, v17
	ds_load_b32 v1, v16
	s_waitcnt lgkmcnt(0)
	v_cmp_lt_i32_e64 s4, v1, v0
	s_delay_alu instid0(VALU_DEP_1) | instskip(NEXT) | instid1(SALU_CYCLE_1)
	s_or_b32 s3, s3, s4
	s_and_b32 s3, s5, s3
	s_delay_alu instid0(SALU_CYCLE_1) | instskip(NEXT) | instid1(SALU_CYCLE_1)
	s_xor_b32 s4, s3, -1
	s_and_saveexec_b32 s5, s4
	s_delay_alu instid0(SALU_CYCLE_1)
	s_xor_b32 s4, exec_lo, s5
	s_cbranch_execz .LBB18_48
; %bb.47:
	ds_load_b32 v13, v17 offset:4
	v_mov_b32_e32 v3, v1
                                        ; implicit-def: $vgpr16
.LBB18_48:
	s_and_not1_saveexec_b32 s4, s4
	s_cbranch_execz .LBB18_50
; %bb.49:
	ds_load_b32 v3, v16 offset:4
	s_waitcnt lgkmcnt(1)
	v_mov_b32_e32 v13, v0
.LBB18_50:
	s_or_b32 exec_lo, exec_lo, s4
	v_add_nc_u32_e32 v15, 1, v14
	v_add_nc_u32_e32 v16, 1, v2
	s_waitcnt lgkmcnt(0)
	v_cmp_lt_i32_e64 s5, v3, v13
	s_delay_alu instid0(VALU_DEP_3) | instskip(NEXT) | instid1(VALU_DEP_3)
	v_cndmask_b32_e64 v14, v15, v14, s3
	v_cndmask_b32_e64 v2, v2, v16, s3
                                        ; implicit-def: $vgpr15
	s_delay_alu instid0(VALU_DEP_2) | instskip(NEXT) | instid1(VALU_DEP_2)
	v_cmp_ge_i32_e64 s4, v14, v12
	v_cmp_lt_i32_e64 s6, v2, v11
	s_delay_alu instid0(VALU_DEP_2)
	s_or_b32 s4, s4, s5
	s_delay_alu instid0(VALU_DEP_1) | instid1(SALU_CYCLE_1)
	s_and_b32 s4, s6, s4
	s_delay_alu instid0(SALU_CYCLE_1) | instskip(NEXT) | instid1(SALU_CYCLE_1)
	s_xor_b32 s5, s4, -1
	s_and_saveexec_b32 s6, s5
	s_delay_alu instid0(SALU_CYCLE_1)
	s_xor_b32 s5, exec_lo, s6
	s_cbranch_execz .LBB18_52
; %bb.51:
	v_lshl_add_u32 v15, v14, 2, v6
	ds_load_b32 v15, v15 offset:4
.LBB18_52:
	s_or_saveexec_b32 s5, s5
	v_mov_b32_e32 v16, v3
	s_xor_b32 exec_lo, exec_lo, s5
	s_cbranch_execz .LBB18_54
; %bb.53:
	s_waitcnt lgkmcnt(0)
	v_lshl_add_u32 v15, v2, 2, v6
	ds_load_b32 v16, v15 offset:4
	v_mov_b32_e32 v15, v13
.LBB18_54:
	s_or_b32 exec_lo, exec_lo, s5
	v_add_nc_u32_e32 v17, 1, v14
	v_add_nc_u32_e32 v18, 1, v2
	s_waitcnt lgkmcnt(0)
	v_cmp_lt_i32_e64 s6, v16, v15
	s_delay_alu instid0(VALU_DEP_3) | instskip(NEXT) | instid1(VALU_DEP_3)
	v_cndmask_b32_e64 v19, v17, v14, s4
	v_cndmask_b32_e64 v18, v2, v18, s4
                                        ; implicit-def: $vgpr17
	s_delay_alu instid0(VALU_DEP_2) | instskip(NEXT) | instid1(VALU_DEP_2)
	v_cmp_ge_i32_e64 s5, v19, v12
	v_cmp_lt_i32_e64 s7, v18, v11
	s_delay_alu instid0(VALU_DEP_2)
	s_or_b32 s5, s5, s6
	s_delay_alu instid0(VALU_DEP_1) | instid1(SALU_CYCLE_1)
	s_and_b32 s5, s7, s5
	s_delay_alu instid0(SALU_CYCLE_1) | instskip(NEXT) | instid1(SALU_CYCLE_1)
	s_xor_b32 s6, s5, -1
	s_and_saveexec_b32 s7, s6
	s_delay_alu instid0(SALU_CYCLE_1)
	s_xor_b32 s6, exec_lo, s7
	s_cbranch_execz .LBB18_56
; %bb.55:
	v_lshl_add_u32 v2, v19, 2, v6
	ds_load_b32 v17, v2 offset:4
.LBB18_56:
	s_or_saveexec_b32 s6, s6
	v_mov_b32_e32 v20, v16
	s_xor_b32 exec_lo, exec_lo, s6
	s_cbranch_execz .LBB18_58
; %bb.57:
	v_lshl_add_u32 v2, v18, 2, v6
	s_waitcnt lgkmcnt(0)
	v_mov_b32_e32 v17, v15
	ds_load_b32 v20, v2 offset:4
.LBB18_58:
	s_or_b32 exec_lo, exec_lo, s6
	v_min_i32_e32 v14, 0, v9
	v_cndmask_b32_e64 v15, v15, v16, s5
	v_add_nc_u32_e32 v16, 1, v19
	v_add_nc_u32_e32 v22, 1, v18
	v_cndmask_b32_e64 v13, v13, v3, s4
	v_add_nc_u32_e32 v2, 32, v14
	; wave barrier
	s_delay_alu instid0(VALU_DEP_1) | instskip(NEXT) | instid1(VALU_DEP_1)
	v_min_i32_e32 v2, v9, v2
	v_add_nc_u32_e32 v21, 32, v2
	s_delay_alu instid0(VALU_DEP_1)
	v_min_i32_e32 v3, v9, v21
	v_cndmask_b32_e64 v21, v0, v1, s3
	v_cndmask_b32_e64 v1, v16, v19, s5
	s_waitcnt lgkmcnt(0)
	v_cmp_lt_i32_e64 s3, v20, v17
	v_min_i32_e32 v0, v9, v10
	v_sub_nc_u32_e32 v9, v3, v2
	v_cndmask_b32_e64 v10, v18, v22, s5
	v_cmp_ge_i32_e64 s4, v1, v12
	v_sub_nc_u32_e32 v1, v2, v14
	s_delay_alu instid0(VALU_DEP_4) | instskip(NEXT) | instid1(VALU_DEP_4)
	v_sub_nc_u32_e32 v12, v0, v9
	v_cmp_lt_i32_e64 s5, v10, v11
	s_delay_alu instid0(VALU_DEP_4) | instskip(SKIP_3) | instid1(VALU_DEP_3)
	s_or_b32 s4, s4, s3
	v_cmp_ge_i32_e64 s3, v0, v9
	v_min_i32_e32 v10, v0, v1
	v_lshl_add_u32 v9, v14, 2, v6
	v_cndmask_b32_e64 v1, 0, v12, s3
	s_and_b32 s3, s5, s4
	s_mov_b32 s5, 0
	v_cndmask_b32_e64 v11, v17, v20, s3
	s_mov_b32 s4, exec_lo
	ds_store_2addr_b32 v7, v21, v13 offset1:1
	ds_store_2addr_b32 v7, v15, v11 offset0:2 offset1:3
	; wave barrier
	v_cmpx_lt_i32_e64 v1, v10
	s_cbranch_execz .LBB18_62
; %bb.59:
	v_lshlrev_b32_e32 v7, 2, v2
	v_lshlrev_b32_e32 v11, 2, v0
	s_delay_alu instid0(VALU_DEP_1)
	v_add3_u32 v7, v6, v7, v11
	.p2align	6
.LBB18_60:                              ; =>This Inner Loop Header: Depth=1
	v_sub_nc_u32_e32 v11, v10, v1
	s_delay_alu instid0(VALU_DEP_1) | instskip(NEXT) | instid1(VALU_DEP_1)
	v_lshrrev_b32_e32 v12, 31, v11
	v_add_nc_u32_e32 v11, v11, v12
	s_delay_alu instid0(VALU_DEP_1) | instskip(NEXT) | instid1(VALU_DEP_1)
	v_ashrrev_i32_e32 v11, 1, v11
	v_add_nc_u32_e32 v11, v11, v1
	s_delay_alu instid0(VALU_DEP_1) | instskip(SKIP_2) | instid1(VALU_DEP_3)
	v_not_b32_e32 v12, v11
	v_lshl_add_u32 v13, v11, 2, v9
	v_add_nc_u32_e32 v15, 1, v11
	v_lshl_add_u32 v12, v12, 2, v7
	ds_load_b32 v13, v13
	ds_load_b32 v12, v12
	s_waitcnt lgkmcnt(0)
	v_cmp_lt_i32_e64 s3, v12, v13
	s_delay_alu instid0(VALU_DEP_1) | instskip(SKIP_1) | instid1(VALU_DEP_1)
	v_cndmask_b32_e64 v10, v10, v11, s3
	v_cndmask_b32_e64 v1, v15, v1, s3
	v_cmp_ge_i32_e64 s3, v1, v10
	s_delay_alu instid0(VALU_DEP_1) | instskip(NEXT) | instid1(SALU_CYCLE_1)
	s_or_b32 s5, s3, s5
	s_and_not1_b32 exec_lo, exec_lo, s5
	s_cbranch_execnz .LBB18_60
; %bb.61:
	s_or_b32 exec_lo, exec_lo, s5
.LBB18_62:
	s_delay_alu instid0(SALU_CYCLE_1) | instskip(SKIP_2) | instid1(VALU_DEP_2)
	s_or_b32 exec_lo, exec_lo, s4
	v_add_nc_u32_e32 v0, v2, v0
	v_lshl_add_u32 v13, v1, 2, v9
                                        ; implicit-def: $vgpr10
                                        ; implicit-def: $vgpr11
	v_sub_nc_u32_e32 v0, v0, v1
	v_add_nc_u32_e32 v1, v1, v14
	s_delay_alu instid0(VALU_DEP_2) | instskip(NEXT) | instid1(VALU_DEP_2)
	v_lshl_add_u32 v12, v0, 2, v6
	v_cmp_le_i32_e64 s3, v2, v1
	v_cmp_gt_i32_e64 s5, v3, v0
	ds_load_b32 v7, v13
	ds_load_b32 v9, v12
	s_waitcnt lgkmcnt(0)
	v_cmp_lt_i32_e64 s4, v9, v7
	s_delay_alu instid0(VALU_DEP_1) | instskip(NEXT) | instid1(SALU_CYCLE_1)
	s_or_b32 s3, s3, s4
	s_and_b32 s3, s5, s3
	s_delay_alu instid0(SALU_CYCLE_1) | instskip(NEXT) | instid1(SALU_CYCLE_1)
	s_xor_b32 s4, s3, -1
	s_and_saveexec_b32 s5, s4
	s_delay_alu instid0(SALU_CYCLE_1)
	s_xor_b32 s4, exec_lo, s5
	s_cbranch_execz .LBB18_64
; %bb.63:
	ds_load_b32 v11, v13 offset:4
	v_mov_b32_e32 v10, v9
                                        ; implicit-def: $vgpr12
.LBB18_64:
	s_and_not1_saveexec_b32 s4, s4
	s_cbranch_execz .LBB18_66
; %bb.65:
	ds_load_b32 v10, v12 offset:4
	s_waitcnt lgkmcnt(1)
	v_mov_b32_e32 v11, v7
.LBB18_66:
	s_or_b32 exec_lo, exec_lo, s4
	v_add_nc_u32_e32 v12, 1, v1
	v_add_nc_u32_e32 v13, 1, v0
	s_waitcnt lgkmcnt(0)
	v_cmp_lt_i32_e64 s5, v10, v11
	s_delay_alu instid0(VALU_DEP_3) | instskip(NEXT) | instid1(VALU_DEP_3)
	v_cndmask_b32_e64 v14, v12, v1, s3
	v_cndmask_b32_e64 v1, v0, v13, s3
                                        ; implicit-def: $vgpr12
	s_delay_alu instid0(VALU_DEP_2) | instskip(NEXT) | instid1(VALU_DEP_2)
	v_cmp_ge_i32_e64 s4, v14, v2
	v_cmp_lt_i32_e64 s6, v1, v3
	s_delay_alu instid0(VALU_DEP_2)
	s_or_b32 s4, s4, s5
	s_delay_alu instid0(VALU_DEP_1) | instid1(SALU_CYCLE_1)
	s_and_b32 s4, s6, s4
	s_delay_alu instid0(SALU_CYCLE_1) | instskip(NEXT) | instid1(SALU_CYCLE_1)
	s_xor_b32 s5, s4, -1
	s_and_saveexec_b32 s6, s5
	s_delay_alu instid0(SALU_CYCLE_1)
	s_xor_b32 s5, exec_lo, s6
	s_cbranch_execz .LBB18_68
; %bb.67:
	v_lshl_add_u32 v0, v14, 2, v6
	ds_load_b32 v12, v0 offset:4
.LBB18_68:
	s_or_saveexec_b32 s5, s5
	v_mov_b32_e32 v13, v10
	s_xor_b32 exec_lo, exec_lo, s5
	s_cbranch_execz .LBB18_70
; %bb.69:
	v_lshl_add_u32 v0, v1, 2, v6
	s_waitcnt lgkmcnt(0)
	v_mov_b32_e32 v12, v11
	ds_load_b32 v13, v0 offset:4
.LBB18_70:
	s_or_b32 exec_lo, exec_lo, s5
	v_add_nc_u32_e32 v0, 1, v14
	v_add_nc_u32_e32 v15, 1, v1
	s_waitcnt lgkmcnt(0)
	v_cmp_lt_i32_e64 s6, v13, v12
                                        ; implicit-def: $vgpr16
	s_delay_alu instid0(VALU_DEP_3) | instskip(NEXT) | instid1(VALU_DEP_3)
	v_cndmask_b32_e64 v0, v0, v14, s4
	v_cndmask_b32_e64 v14, v1, v15, s4
                                        ; implicit-def: $vgpr15
	s_delay_alu instid0(VALU_DEP_2) | instskip(NEXT) | instid1(VALU_DEP_2)
	v_cmp_ge_i32_e64 s5, v0, v2
	v_cmp_lt_i32_e64 s7, v14, v3
	s_delay_alu instid0(VALU_DEP_2)
	s_or_b32 s5, s5, s6
	s_delay_alu instid0(VALU_DEP_1) | instid1(SALU_CYCLE_1)
	s_and_b32 s5, s7, s5
	s_delay_alu instid0(SALU_CYCLE_1) | instskip(NEXT) | instid1(SALU_CYCLE_1)
	s_xor_b32 s6, s5, -1
	s_and_saveexec_b32 s7, s6
	s_delay_alu instid0(SALU_CYCLE_1)
	s_xor_b32 s6, exec_lo, s7
	s_cbranch_execz .LBB18_72
; %bb.71:
	v_lshl_add_u32 v1, v0, 2, v6
	v_add_nc_u32_e32 v16, 1, v0
                                        ; implicit-def: $vgpr0
                                        ; implicit-def: $vgpr6
	ds_load_b32 v15, v1 offset:4
.LBB18_72:
	s_or_saveexec_b32 s6, s6
	v_mov_b32_e32 v17, v13
	s_xor_b32 exec_lo, exec_lo, s6
	s_cbranch_execz .LBB18_74
; %bb.73:
	v_lshl_add_u32 v1, v14, 2, v6
	s_waitcnt lgkmcnt(0)
	v_dual_mov_b32 v15, v12 :: v_dual_add_nc_u32 v14, 1, v14
	v_mov_b32_e32 v16, v0
	ds_load_b32 v17, v1 offset:4
.LBB18_74:
	s_or_b32 exec_lo, exec_lo, s6
	v_add_co_u32 v0, s6, s10, v4
	s_delay_alu instid0(VALU_DEP_1) | instskip(NEXT) | instid1(VALU_DEP_2)
	v_add_co_ci_u32_e64 v1, s6, s11, v5, s6
	v_add_co_u32 v0, s6, v0, v8
	s_delay_alu instid0(VALU_DEP_1)
	v_add_co_ci_u32_e64 v1, s6, 0, v1, s6
	s_and_saveexec_b32 s6, vcc_lo
	s_cbranch_execnz .LBB18_79
; %bb.75:
	s_or_b32 exec_lo, exec_lo, s6
	s_and_saveexec_b32 s3, s0
	s_cbranch_execnz .LBB18_80
.LBB18_76:
	s_or_b32 exec_lo, exec_lo, s3
	s_and_saveexec_b32 s0, s1
	s_cbranch_execnz .LBB18_81
.LBB18_77:
	s_or_b32 exec_lo, exec_lo, s0
	s_and_saveexec_b32 s0, s2
	s_cbranch_execnz .LBB18_82
.LBB18_78:
	s_nop 0
	s_sendmsg sendmsg(MSG_DEALLOC_VGPRS)
	s_endpgm
.LBB18_79:
	v_cndmask_b32_e64 v4, v7, v9, s3
	global_store_b32 v[0:1], v4, off
	s_or_b32 exec_lo, exec_lo, s6
	s_and_saveexec_b32 s3, s0
	s_cbranch_execz .LBB18_76
.LBB18_80:
	v_cndmask_b32_e64 v4, v11, v10, s4
	global_store_b32 v[0:1], v4, off offset:4
	s_or_b32 exec_lo, exec_lo, s3
	s_and_saveexec_b32 s0, s1
	s_cbranch_execz .LBB18_77
.LBB18_81:
	v_cndmask_b32_e64 v4, v12, v13, s5
	global_store_b32 v[0:1], v4, off offset:8
	s_or_b32 exec_lo, exec_lo, s0
	s_and_saveexec_b32 s0, s2
	s_cbranch_execz .LBB18_78
.LBB18_82:
	v_cmp_ge_i32_e32 vcc_lo, v16, v2
	s_waitcnt lgkmcnt(0)
	v_cmp_lt_i32_e64 s0, v17, v15
	v_cmp_lt_i32_e64 s1, v14, v3
	s_delay_alu instid0(VALU_DEP_2)
	s_or_b32 s0, vcc_lo, s0
	s_delay_alu instid0(VALU_DEP_1) | instid1(SALU_CYCLE_1)
	s_and_b32 vcc_lo, s1, s0
	v_cndmask_b32_e32 v2, v15, v17, vcc_lo
	global_store_b32 v[0:1], v2, off offset:12
	s_nop 0
	s_sendmsg sendmsg(MSG_DEALLOC_VGPRS)
	s_endpgm
	.section	.rodata,"a",@progbits
	.p2align	6, 0x0
	.amdhsa_kernel _Z19sort_keys_segmentedILj256ELj16ELj4EiN10test_utils4lessEEvPKT2_PS2_PKjT3_
		.amdhsa_group_segment_fixed_size 4160
		.amdhsa_private_segment_fixed_size 0
		.amdhsa_kernarg_size 28
		.amdhsa_user_sgpr_count 15
		.amdhsa_user_sgpr_dispatch_ptr 0
		.amdhsa_user_sgpr_queue_ptr 0
		.amdhsa_user_sgpr_kernarg_segment_ptr 1
		.amdhsa_user_sgpr_dispatch_id 0
		.amdhsa_user_sgpr_private_segment_size 0
		.amdhsa_wavefront_size32 1
		.amdhsa_uses_dynamic_stack 0
		.amdhsa_enable_private_segment 0
		.amdhsa_system_sgpr_workgroup_id_x 1
		.amdhsa_system_sgpr_workgroup_id_y 0
		.amdhsa_system_sgpr_workgroup_id_z 0
		.amdhsa_system_sgpr_workgroup_info 0
		.amdhsa_system_vgpr_workitem_id 0
		.amdhsa_next_free_vgpr 25
		.amdhsa_next_free_sgpr 16
		.amdhsa_reserve_vcc 1
		.amdhsa_float_round_mode_32 0
		.amdhsa_float_round_mode_16_64 0
		.amdhsa_float_denorm_mode_32 3
		.amdhsa_float_denorm_mode_16_64 3
		.amdhsa_dx10_clamp 1
		.amdhsa_ieee_mode 1
		.amdhsa_fp16_overflow 0
		.amdhsa_workgroup_processor_mode 1
		.amdhsa_memory_ordered 1
		.amdhsa_forward_progress 0
		.amdhsa_shared_vgpr_count 0
		.amdhsa_exception_fp_ieee_invalid_op 0
		.amdhsa_exception_fp_denorm_src 0
		.amdhsa_exception_fp_ieee_div_zero 0
		.amdhsa_exception_fp_ieee_overflow 0
		.amdhsa_exception_fp_ieee_underflow 0
		.amdhsa_exception_fp_ieee_inexact 0
		.amdhsa_exception_int_div_zero 0
	.end_amdhsa_kernel
	.section	.text._Z19sort_keys_segmentedILj256ELj16ELj4EiN10test_utils4lessEEvPKT2_PS2_PKjT3_,"axG",@progbits,_Z19sort_keys_segmentedILj256ELj16ELj4EiN10test_utils4lessEEvPKT2_PS2_PKjT3_,comdat
.Lfunc_end18:
	.size	_Z19sort_keys_segmentedILj256ELj16ELj4EiN10test_utils4lessEEvPKT2_PS2_PKjT3_, .Lfunc_end18-_Z19sort_keys_segmentedILj256ELj16ELj4EiN10test_utils4lessEEvPKT2_PS2_PKjT3_
                                        ; -- End function
	.section	.AMDGPU.csdata,"",@progbits
; Kernel info:
; codeLenInByte = 4172
; NumSgprs: 18
; NumVgprs: 25
; ScratchSize: 0
; MemoryBound: 0
; FloatMode: 240
; IeeeMode: 1
; LDSByteSize: 4160 bytes/workgroup (compile time only)
; SGPRBlocks: 2
; VGPRBlocks: 3
; NumSGPRsForWavesPerEU: 18
; NumVGPRsForWavesPerEU: 25
; Occupancy: 16
; WaveLimiterHint : 0
; COMPUTE_PGM_RSRC2:SCRATCH_EN: 0
; COMPUTE_PGM_RSRC2:USER_SGPR: 15
; COMPUTE_PGM_RSRC2:TRAP_HANDLER: 0
; COMPUTE_PGM_RSRC2:TGID_X_EN: 1
; COMPUTE_PGM_RSRC2:TGID_Y_EN: 0
; COMPUTE_PGM_RSRC2:TGID_Z_EN: 0
; COMPUTE_PGM_RSRC2:TIDIG_COMP_CNT: 0
	.section	.text._Z20sort_pairs_segmentedILj256ELj16ELj4EiN10test_utils4lessEEvPKT2_PS2_PKjT3_,"axG",@progbits,_Z20sort_pairs_segmentedILj256ELj16ELj4EiN10test_utils4lessEEvPKT2_PS2_PKjT3_,comdat
	.protected	_Z20sort_pairs_segmentedILj256ELj16ELj4EiN10test_utils4lessEEvPKT2_PS2_PKjT3_ ; -- Begin function _Z20sort_pairs_segmentedILj256ELj16ELj4EiN10test_utils4lessEEvPKT2_PS2_PKjT3_
	.globl	_Z20sort_pairs_segmentedILj256ELj16ELj4EiN10test_utils4lessEEvPKT2_PS2_PKjT3_
	.p2align	8
	.type	_Z20sort_pairs_segmentedILj256ELj16ELj4EiN10test_utils4lessEEvPKT2_PS2_PKjT3_,@function
_Z20sort_pairs_segmentedILj256ELj16ELj4EiN10test_utils4lessEEvPKT2_PS2_PKjT3_: ; @_Z20sort_pairs_segmentedILj256ELj16ELj4EiN10test_utils4lessEEvPKT2_PS2_PKjT3_
; %bb.0:
	s_clause 0x1
	s_load_b64 s[2:3], s[0:1], 0x10
	s_load_b128 s[8:11], s[0:1], 0x0
	v_lshrrev_b32_e32 v18, 4, v0
	s_delay_alu instid0(VALU_DEP_1) | instskip(SKIP_1) | instid1(VALU_DEP_1)
	v_lshl_or_b32 v0, s15, 4, v18
	v_mov_b32_e32 v1, 0
	v_lshlrev_b64 v[2:3], 2, v[0:1]
	v_lshlrev_b32_e32 v0, 6, v0
	s_delay_alu instid0(VALU_DEP_1) | instskip(SKIP_1) | instid1(VALU_DEP_3)
	v_lshlrev_b64 v[4:5], 2, v[0:1]
	s_waitcnt lgkmcnt(0)
	v_add_co_u32 v2, vcc_lo, s2, v2
	s_delay_alu instid0(VALU_DEP_4) | instskip(NEXT) | instid1(VALU_DEP_3)
	v_add_co_ci_u32_e32 v3, vcc_lo, s3, v3, vcc_lo
	v_add_co_u32 v0, vcc_lo, s8, v4
	global_load_b32 v9, v[2:3], off
	v_mbcnt_lo_u32_b32 v2, -1, 0
	v_add_co_ci_u32_e32 v1, vcc_lo, s9, v5, vcc_lo
	s_delay_alu instid0(VALU_DEP_2) | instskip(NEXT) | instid1(VALU_DEP_1)
	v_lshlrev_b32_e32 v11, 2, v2
	v_and_b32_e32 v10, 60, v11
	s_delay_alu instid0(VALU_DEP_1) | instskip(NEXT) | instid1(VALU_DEP_1)
	v_lshlrev_b32_e32 v8, 2, v10
	v_add_co_u32 v6, vcc_lo, v0, v8
	v_add_co_ci_u32_e32 v7, vcc_lo, 0, v1, vcc_lo
                                        ; implicit-def: $vgpr0_vgpr1_vgpr2_vgpr3
	s_waitcnt vmcnt(0)
	v_cmp_lt_u32_e32 vcc_lo, v10, v9
	s_and_saveexec_b32 s0, vcc_lo
	s_cbranch_execz .LBB19_2
; %bb.1:
	global_load_b32 v0, v[6:7], off
.LBB19_2:
	s_or_b32 exec_lo, exec_lo, s0
	v_or_b32_e32 v14, 1, v10
	s_delay_alu instid0(VALU_DEP_1) | instskip(NEXT) | instid1(VALU_DEP_1)
	v_cmp_lt_u32_e64 s0, v14, v9
	s_and_saveexec_b32 s1, s0
	s_cbranch_execz .LBB19_4
; %bb.3:
	global_load_b32 v1, v[6:7], off offset:4
.LBB19_4:
	s_or_b32 exec_lo, exec_lo, s1
	v_or_b32_e32 v15, 2, v10
	s_delay_alu instid0(VALU_DEP_1) | instskip(NEXT) | instid1(VALU_DEP_1)
	v_cmp_lt_u32_e64 s1, v15, v9
	s_and_saveexec_b32 s2, s1
	s_cbranch_execz .LBB19_6
; %bb.5:
	global_load_b32 v2, v[6:7], off offset:8
.LBB19_6:
	s_or_b32 exec_lo, exec_lo, s2
	v_or_b32_e32 v16, 3, v10
	s_delay_alu instid0(VALU_DEP_1) | instskip(NEXT) | instid1(VALU_DEP_1)
	v_cmp_lt_u32_e64 s2, v16, v9
	s_and_saveexec_b32 s3, s2
	s_cbranch_execz .LBB19_8
; %bb.7:
	global_load_b32 v3, v[6:7], off offset:12
.LBB19_8:
	s_or_b32 exec_lo, exec_lo, s3
	v_cmp_lt_i32_e64 s3, v15, v9
	v_cmp_lt_i32_e64 s4, v16, v9
	v_cmp_lt_i32_e64 s5, v14, v9
	s_waitcnt vmcnt(0)
	v_add_nc_u32_e32 v15, 1, v2
	v_add_nc_u32_e32 v12, 1, v0
	;; [unrolled: 1-line block ×3, first 2 shown]
	s_or_b32 s3, s4, s3
	v_add_nc_u32_e32 v14, 1, v3
	v_cndmask_b32_e64 v2, 0x7fffffff, v2, s3
	s_or_b32 s3, s3, s5
	v_cndmask_b32_e64 v3, 0x7fffffff, v3, s4
	v_cndmask_b32_e64 v1, 0x7fffffff, v1, s3
	s_mov_b32 s6, exec_lo
	v_cmpx_lt_i32_e64 v10, v9
	s_cbranch_execz .LBB19_10
; %bb.9:
	s_delay_alu instid0(VALU_DEP_2) | instskip(SKIP_2) | instid1(VALU_DEP_3)
	v_cmp_lt_i32_e64 s3, v1, v0
	v_min_i32_e32 v7, v3, v2
	v_cmp_lt_i32_e64 s4, v3, v2
	v_cndmask_b32_e64 v16, v1, v0, s3
	v_cndmask_b32_e64 v6, v12, v13, s3
	s_delay_alu instid0(VALU_DEP_3)
	v_cndmask_b32_e64 v17, v14, v15, s4
	v_cndmask_b32_e64 v12, v13, v12, s3
	;; [unrolled: 1-line block ×4, first 2 shown]
	v_cmp_lt_i32_e64 s3, v7, v16
	v_cndmask_b32_e64 v13, v3, v2, s4
	v_min_i32_e32 v15, v7, v16
	v_cndmask_b32_e64 v2, v2, v3, s4
	s_delay_alu instid0(VALU_DEP_4) | instskip(SKIP_1) | instid1(VALU_DEP_4)
	v_cndmask_b32_e64 v7, v16, v7, s3
	v_cndmask_b32_e64 v3, v1, v12, s3
	v_cmp_lt_i32_e64 s4, v15, v0
	s_delay_alu instid0(VALU_DEP_4) | instskip(SKIP_1) | instid1(VALU_DEP_3)
	v_cndmask_b32_e64 v2, v2, v16, s3
	v_cndmask_b32_e64 v1, v12, v1, s3
	;; [unrolled: 1-line block ×3, first 2 shown]
	s_delay_alu instid0(VALU_DEP_3) | instskip(SKIP_1) | instid1(VALU_DEP_4)
	v_cmp_lt_i32_e64 s3, v13, v2
	v_min_i32_e32 v16, v13, v2
	v_cndmask_b32_e64 v12, v6, v1, s4
	v_cndmask_b32_e64 v1, v1, v6, s4
	;; [unrolled: 1-line block ×5, first 2 shown]
	v_cmp_lt_i32_e64 s5, v16, v7
	v_cndmask_b32_e64 v17, v2, v13, s3
	v_cndmask_b32_e64 v3, v13, v2, s3
	s_delay_alu instid0(VALU_DEP_3) | instskip(SKIP_1) | instid1(VALU_DEP_4)
	v_cndmask_b32_e64 v15, v6, v1, s5
	v_cndmask_b32_e64 v13, v1, v6, s5
	;; [unrolled: 1-line block ×4, first 2 shown]
.LBB19_10:
	s_or_b32 exec_lo, exec_lo, s6
	v_and_b32_e32 v6, 56, v11
	v_and_b32_e32 v7, 4, v11
	s_mov_b32 s5, 0
	s_mov_b32 s4, exec_lo
	s_delay_alu instid0(VALU_DEP_2) | instskip(NEXT) | instid1(VALU_DEP_2)
	v_min_i32_e32 v20, v9, v6
	v_min_i32_e32 v19, v9, v7
	; wave barrier
	s_delay_alu instid0(VALU_DEP_2) | instskip(SKIP_1) | instid1(VALU_DEP_2)
	v_add_nc_u32_e32 v6, 4, v20
	v_lshlrev_b32_e32 v24, 2, v20
	v_min_i32_e32 v16, v9, v6
	s_delay_alu instid0(VALU_DEP_1) | instskip(SKIP_1) | instid1(VALU_DEP_2)
	v_add_nc_u32_e32 v6, 4, v16
	v_sub_nc_u32_e32 v21, v16, v20
	v_min_i32_e32 v17, v9, v6
	v_mul_u32_u24_e32 v6, 0x104, v18
	s_delay_alu instid0(VALU_DEP_3) | instskip(NEXT) | instid1(VALU_DEP_3)
	v_min_i32_e32 v22, v19, v21
	v_sub_nc_u32_e32 v7, v17, v16
	s_delay_alu instid0(VALU_DEP_1)
	v_sub_nc_u32_e32 v23, v19, v7
	v_cmp_ge_i32_e64 s3, v19, v7
	v_mad_u32_u24 v7, 0x104, v18, v8
	v_mad_u32_u24 v18, 0x104, v18, v24
	ds_store_2addr_b32 v7, v0, v1 offset1:1
	ds_store_2addr_b32 v7, v2, v3 offset0:2 offset1:3
	v_cndmask_b32_e64 v21, 0, v23, s3
	; wave barrier
	s_delay_alu instid0(VALU_DEP_1)
	v_cmpx_lt_i32_e64 v21, v22
	s_cbranch_execz .LBB19_14
; %bb.11:
	v_lshlrev_b32_e32 v0, 2, v16
	v_lshlrev_b32_e32 v1, 2, v19
	s_delay_alu instid0(VALU_DEP_1)
	v_add3_u32 v0, v6, v0, v1
	.p2align	6
.LBB19_12:                              ; =>This Inner Loop Header: Depth=1
	v_sub_nc_u32_e32 v1, v22, v21
	s_delay_alu instid0(VALU_DEP_1) | instskip(NEXT) | instid1(VALU_DEP_1)
	v_lshrrev_b32_e32 v2, 31, v1
	v_add_nc_u32_e32 v1, v1, v2
	s_delay_alu instid0(VALU_DEP_1) | instskip(NEXT) | instid1(VALU_DEP_1)
	v_ashrrev_i32_e32 v1, 1, v1
	v_add_nc_u32_e32 v1, v1, v21
	s_delay_alu instid0(VALU_DEP_1) | instskip(SKIP_2) | instid1(VALU_DEP_3)
	v_not_b32_e32 v2, v1
	v_lshl_add_u32 v3, v1, 2, v18
	v_add_nc_u32_e32 v23, 1, v1
	v_lshl_add_u32 v2, v2, 2, v0
	ds_load_b32 v3, v3
	ds_load_b32 v2, v2
	s_waitcnt lgkmcnt(0)
	v_cmp_lt_i32_e64 s3, v2, v3
	s_delay_alu instid0(VALU_DEP_1) | instskip(SKIP_1) | instid1(VALU_DEP_1)
	v_cndmask_b32_e64 v22, v22, v1, s3
	v_cndmask_b32_e64 v21, v23, v21, s3
	v_cmp_ge_i32_e64 s3, v21, v22
	s_delay_alu instid0(VALU_DEP_1) | instskip(NEXT) | instid1(SALU_CYCLE_1)
	s_or_b32 s5, s3, s5
	s_and_not1_b32 exec_lo, exec_lo, s5
	s_cbranch_execnz .LBB19_12
; %bb.13:
	s_or_b32 exec_lo, exec_lo, s5
.LBB19_14:
	s_delay_alu instid0(SALU_CYCLE_1) | instskip(SKIP_3) | instid1(VALU_DEP_3)
	s_or_b32 exec_lo, exec_lo, s4
	v_add_nc_u32_e32 v0, v16, v19
	v_lshl_add_u32 v3, v21, 2, v18
	v_add_nc_u32_e32 v1, v21, v20
                                        ; implicit-def: $vgpr20
	v_sub_nc_u32_e32 v0, v0, v21
                                        ; implicit-def: $vgpr21
	s_delay_alu instid0(VALU_DEP_2) | instskip(NEXT) | instid1(VALU_DEP_2)
	v_cmp_le_i32_e64 s3, v16, v1
	v_lshl_add_u32 v2, v0, 2, v6
	v_cmp_gt_i32_e64 s5, v17, v0
	ds_load_b32 v18, v3
	ds_load_b32 v19, v2
	s_waitcnt lgkmcnt(0)
	v_cmp_lt_i32_e64 s4, v19, v18
	s_delay_alu instid0(VALU_DEP_1) | instskip(NEXT) | instid1(SALU_CYCLE_1)
	s_or_b32 s3, s3, s4
	s_and_b32 s3, s5, s3
	s_delay_alu instid0(SALU_CYCLE_1) | instskip(NEXT) | instid1(SALU_CYCLE_1)
	s_xor_b32 s4, s3, -1
	s_and_saveexec_b32 s5, s4
	s_delay_alu instid0(SALU_CYCLE_1)
	s_xor_b32 s4, exec_lo, s5
	s_cbranch_execz .LBB19_16
; %bb.15:
	ds_load_b32 v21, v3 offset:4
	v_mov_b32_e32 v20, v19
                                        ; implicit-def: $vgpr2
.LBB19_16:
	s_and_not1_saveexec_b32 s4, s4
	s_cbranch_execz .LBB19_18
; %bb.17:
	ds_load_b32 v20, v2 offset:4
	s_waitcnt lgkmcnt(1)
	v_mov_b32_e32 v21, v18
.LBB19_18:
	s_or_b32 exec_lo, exec_lo, s4
	v_add_nc_u32_e32 v2, 1, v1
	v_add_nc_u32_e32 v3, 1, v0
	s_waitcnt lgkmcnt(0)
	v_cmp_lt_i32_e64 s5, v20, v21
                                        ; implicit-def: $vgpr22
	s_delay_alu instid0(VALU_DEP_3) | instskip(NEXT) | instid1(VALU_DEP_3)
	v_cndmask_b32_e64 v2, v2, v1, s3
	v_cndmask_b32_e64 v3, v0, v3, s3
	s_delay_alu instid0(VALU_DEP_2) | instskip(NEXT) | instid1(VALU_DEP_2)
	v_cmp_ge_i32_e64 s4, v2, v16
	v_cmp_lt_i32_e64 s6, v3, v17
	s_delay_alu instid0(VALU_DEP_2)
	s_or_b32 s4, s4, s5
	s_delay_alu instid0(VALU_DEP_1) | instid1(SALU_CYCLE_1)
	s_and_b32 s4, s6, s4
	s_delay_alu instid0(SALU_CYCLE_1) | instskip(NEXT) | instid1(SALU_CYCLE_1)
	s_xor_b32 s5, s4, -1
	s_and_saveexec_b32 s6, s5
	s_delay_alu instid0(SALU_CYCLE_1)
	s_xor_b32 s5, exec_lo, s6
	s_cbranch_execz .LBB19_20
; %bb.19:
	v_lshl_add_u32 v22, v2, 2, v6
	ds_load_b32 v22, v22 offset:4
.LBB19_20:
	s_or_saveexec_b32 s5, s5
	v_mov_b32_e32 v23, v20
	s_xor_b32 exec_lo, exec_lo, s5
	s_cbranch_execz .LBB19_22
; %bb.21:
	s_waitcnt lgkmcnt(0)
	v_lshl_add_u32 v22, v3, 2, v6
	ds_load_b32 v23, v22 offset:4
	v_mov_b32_e32 v22, v21
.LBB19_22:
	s_or_b32 exec_lo, exec_lo, s5
	v_add_nc_u32_e32 v24, 1, v2
	v_add_nc_u32_e32 v25, 1, v3
	s_waitcnt lgkmcnt(0)
	v_cmp_lt_i32_e64 s6, v23, v22
                                        ; implicit-def: $vgpr26
	s_delay_alu instid0(VALU_DEP_3) | instskip(NEXT) | instid1(VALU_DEP_3)
	v_cndmask_b32_e64 v24, v24, v2, s4
	v_cndmask_b32_e64 v25, v3, v25, s4
	s_delay_alu instid0(VALU_DEP_2) | instskip(NEXT) | instid1(VALU_DEP_2)
	v_cmp_ge_i32_e64 s5, v24, v16
	v_cmp_lt_i32_e64 s7, v25, v17
	s_delay_alu instid0(VALU_DEP_2)
	s_or_b32 s5, s5, s6
	s_delay_alu instid0(VALU_DEP_1) | instid1(SALU_CYCLE_1)
	s_and_b32 s5, s7, s5
	s_delay_alu instid0(SALU_CYCLE_1) | instskip(NEXT) | instid1(SALU_CYCLE_1)
	s_xor_b32 s6, s5, -1
	s_and_saveexec_b32 s7, s6
	s_delay_alu instid0(SALU_CYCLE_1)
	s_xor_b32 s6, exec_lo, s7
	s_cbranch_execz .LBB19_24
; %bb.23:
	v_lshl_add_u32 v26, v24, 2, v6
	ds_load_b32 v26, v26 offset:4
.LBB19_24:
	s_or_saveexec_b32 s6, s6
	v_mov_b32_e32 v27, v23
	s_xor_b32 exec_lo, exec_lo, s6
	s_cbranch_execz .LBB19_26
; %bb.25:
	s_waitcnt lgkmcnt(0)
	v_lshl_add_u32 v26, v25, 2, v6
	ds_load_b32 v27, v26 offset:4
	v_mov_b32_e32 v26, v22
.LBB19_26:
	s_or_b32 exec_lo, exec_lo, s6
	v_add_nc_u32_e32 v28, 1, v24
	v_and_b32_e32 v29, 48, v11
	v_add_nc_u32_e32 v30, 1, v25
	v_cndmask_b32_e64 v31, v24, v25, s5
	v_cndmask_b32_e64 v2, v2, v3, s4
	;; [unrolled: 1-line block ×3, first 2 shown]
	v_min_i32_e32 v24, v9, v29
	v_cndmask_b32_e64 v25, v25, v30, s5
	v_cndmask_b32_e64 v1, v1, v0, s3
	s_waitcnt lgkmcnt(0)
	v_cmp_lt_i32_e64 s6, v27, v26
	v_cmp_ge_i32_e64 s7, v3, v16
	v_add_nc_u32_e32 v0, 8, v24
	v_cmp_lt_i32_e64 s8, v25, v17
	; wave barrier
	s_delay_alu instid0(VALU_DEP_3) | instskip(NEXT) | instid1(VALU_DEP_2)
	s_or_b32 s6, s7, s6
	v_min_i32_e32 v0, v9, v0
	s_delay_alu instid0(VALU_DEP_2)
	s_and_b32 s6, s8, s6
	ds_store_2addr_b32 v7, v12, v13 offset1:1
	ds_store_2addr_b32 v7, v15, v14 offset0:2 offset1:3
	v_cndmask_b32_e64 v3, v3, v25, s6
	v_lshl_add_u32 v1, v1, 2, v6
	v_add_nc_u32_e32 v12, 8, v0
	v_lshl_add_u32 v2, v2, 2, v6
	s_delay_alu instid0(VALU_DEP_4) | instskip(NEXT) | instid1(VALU_DEP_3)
	v_lshl_add_u32 v15, v3, 2, v6
	; wave barrier
	v_min_i32_e32 v13, v9, v12
	v_lshl_add_u32 v12, v31, 2, v6
	ds_load_b32 v1, v1
	ds_load_b32 v2, v2
	;; [unrolled: 1-line block ×4, first 2 shown]
	v_and_b32_e32 v14, 12, v11
	v_sub_nc_u32_e32 v16, v13, v0
	v_sub_nc_u32_e32 v17, v0, v24
	v_cndmask_b32_e64 v20, v21, v20, s4
	v_cndmask_b32_e64 v18, v18, v19, s3
	v_min_i32_e32 v14, v9, v14
	v_cndmask_b32_e64 v26, v26, v27, s6
	v_cndmask_b32_e64 v22, v22, v23, s5
	s_mov_b32 s5, 0
	s_delay_alu instid0(VALU_DEP_3)
	v_sub_nc_u32_e32 v15, v14, v16
	v_cmp_ge_i32_e64 s4, v14, v16
	v_min_i32_e32 v17, v14, v17
	; wave barrier
	ds_store_2addr_b32 v7, v18, v20 offset1:1
	ds_store_2addr_b32 v7, v22, v26 offset0:2 offset1:3
	v_cndmask_b32_e64 v16, 0, v15, s4
	v_lshl_add_u32 v15, v24, 2, v6
	s_mov_b32 s4, exec_lo
	; wave barrier
	s_delay_alu instid0(VALU_DEP_2)
	v_cmpx_lt_i32_e64 v16, v17
	s_cbranch_execz .LBB19_30
; %bb.27:
	v_lshlrev_b32_e32 v18, 2, v0
	v_lshlrev_b32_e32 v19, 2, v14
	s_delay_alu instid0(VALU_DEP_1)
	v_add3_u32 v18, v6, v18, v19
	.p2align	6
.LBB19_28:                              ; =>This Inner Loop Header: Depth=1
	v_sub_nc_u32_e32 v19, v17, v16
	s_delay_alu instid0(VALU_DEP_1) | instskip(NEXT) | instid1(VALU_DEP_1)
	v_lshrrev_b32_e32 v20, 31, v19
	v_add_nc_u32_e32 v19, v19, v20
	s_delay_alu instid0(VALU_DEP_1) | instskip(NEXT) | instid1(VALU_DEP_1)
	v_ashrrev_i32_e32 v19, 1, v19
	v_add_nc_u32_e32 v19, v19, v16
	s_delay_alu instid0(VALU_DEP_1) | instskip(SKIP_2) | instid1(VALU_DEP_3)
	v_not_b32_e32 v20, v19
	v_lshl_add_u32 v21, v19, 2, v15
	v_add_nc_u32_e32 v22, 1, v19
	v_lshl_add_u32 v20, v20, 2, v18
	ds_load_b32 v21, v21
	ds_load_b32 v20, v20
	s_waitcnt lgkmcnt(0)
	v_cmp_lt_i32_e64 s3, v20, v21
	s_delay_alu instid0(VALU_DEP_1) | instskip(SKIP_1) | instid1(VALU_DEP_1)
	v_cndmask_b32_e64 v17, v17, v19, s3
	v_cndmask_b32_e64 v16, v22, v16, s3
	v_cmp_ge_i32_e64 s3, v16, v17
	s_delay_alu instid0(VALU_DEP_1) | instskip(NEXT) | instid1(SALU_CYCLE_1)
	s_or_b32 s5, s3, s5
	s_and_not1_b32 exec_lo, exec_lo, s5
	s_cbranch_execnz .LBB19_28
; %bb.29:
	s_or_b32 exec_lo, exec_lo, s5
.LBB19_30:
	s_delay_alu instid0(SALU_CYCLE_1) | instskip(SKIP_3) | instid1(VALU_DEP_3)
	s_or_b32 exec_lo, exec_lo, s4
	v_add_nc_u32_e32 v14, v0, v14
	v_lshl_add_u32 v21, v16, 2, v15
	v_add_nc_u32_e32 v19, v16, v24
                                        ; implicit-def: $vgpr17
	v_sub_nc_u32_e32 v18, v14, v16
                                        ; implicit-def: $vgpr16
	s_delay_alu instid0(VALU_DEP_2) | instskip(NEXT) | instid1(VALU_DEP_2)
	v_cmp_le_i32_e64 s3, v0, v19
	v_lshl_add_u32 v20, v18, 2, v6
	v_cmp_gt_i32_e64 s5, v13, v18
	ds_load_b32 v14, v21
	ds_load_b32 v15, v20
	s_waitcnt lgkmcnt(0)
	v_cmp_lt_i32_e64 s4, v15, v14
	s_delay_alu instid0(VALU_DEP_1) | instskip(NEXT) | instid1(SALU_CYCLE_1)
	s_or_b32 s3, s3, s4
	s_and_b32 s3, s5, s3
	s_delay_alu instid0(SALU_CYCLE_1) | instskip(NEXT) | instid1(SALU_CYCLE_1)
	s_xor_b32 s4, s3, -1
	s_and_saveexec_b32 s5, s4
	s_delay_alu instid0(SALU_CYCLE_1)
	s_xor_b32 s4, exec_lo, s5
	s_cbranch_execz .LBB19_32
; %bb.31:
	ds_load_b32 v17, v21 offset:4
	v_mov_b32_e32 v16, v15
                                        ; implicit-def: $vgpr20
.LBB19_32:
	s_and_not1_saveexec_b32 s4, s4
	s_cbranch_execz .LBB19_34
; %bb.33:
	ds_load_b32 v16, v20 offset:4
	s_waitcnt lgkmcnt(1)
	v_mov_b32_e32 v17, v14
.LBB19_34:
	s_or_b32 exec_lo, exec_lo, s4
	v_add_nc_u32_e32 v20, 1, v19
	v_add_nc_u32_e32 v21, 1, v18
	s_waitcnt lgkmcnt(0)
	v_cmp_lt_i32_e64 s5, v16, v17
	s_delay_alu instid0(VALU_DEP_3) | instskip(NEXT) | instid1(VALU_DEP_3)
	v_cndmask_b32_e64 v22, v20, v19, s3
	v_cndmask_b32_e64 v23, v18, v21, s3
                                        ; implicit-def: $vgpr20
	s_delay_alu instid0(VALU_DEP_2) | instskip(NEXT) | instid1(VALU_DEP_2)
	v_cmp_ge_i32_e64 s4, v22, v0
	v_cmp_lt_i32_e64 s6, v23, v13
	s_delay_alu instid0(VALU_DEP_2)
	s_or_b32 s4, s4, s5
	s_delay_alu instid0(VALU_DEP_1) | instid1(SALU_CYCLE_1)
	s_and_b32 s4, s6, s4
	s_delay_alu instid0(SALU_CYCLE_1) | instskip(NEXT) | instid1(SALU_CYCLE_1)
	s_xor_b32 s5, s4, -1
	s_and_saveexec_b32 s6, s5
	s_delay_alu instid0(SALU_CYCLE_1)
	s_xor_b32 s5, exec_lo, s6
	s_cbranch_execz .LBB19_36
; %bb.35:
	v_lshl_add_u32 v20, v22, 2, v6
	ds_load_b32 v20, v20 offset:4
.LBB19_36:
	s_or_saveexec_b32 s5, s5
	v_mov_b32_e32 v21, v16
	s_xor_b32 exec_lo, exec_lo, s5
	s_cbranch_execz .LBB19_38
; %bb.37:
	s_waitcnt lgkmcnt(0)
	v_lshl_add_u32 v20, v23, 2, v6
	ds_load_b32 v21, v20 offset:4
	v_mov_b32_e32 v20, v17
.LBB19_38:
	s_or_b32 exec_lo, exec_lo, s5
	v_add_nc_u32_e32 v24, 1, v22
	v_add_nc_u32_e32 v25, 1, v23
	s_waitcnt lgkmcnt(0)
	v_cmp_lt_i32_e64 s6, v21, v20
	s_delay_alu instid0(VALU_DEP_3) | instskip(NEXT) | instid1(VALU_DEP_3)
	v_cndmask_b32_e64 v26, v24, v22, s4
	v_cndmask_b32_e64 v24, v23, v25, s4
                                        ; implicit-def: $vgpr25
	s_delay_alu instid0(VALU_DEP_2) | instskip(NEXT) | instid1(VALU_DEP_2)
	v_cmp_ge_i32_e64 s5, v26, v0
	v_cmp_lt_i32_e64 s7, v24, v13
	s_delay_alu instid0(VALU_DEP_2)
	s_or_b32 s5, s5, s6
	s_delay_alu instid0(VALU_DEP_1) | instid1(SALU_CYCLE_1)
	s_and_b32 s5, s7, s5
	s_delay_alu instid0(SALU_CYCLE_1) | instskip(NEXT) | instid1(SALU_CYCLE_1)
	s_xor_b32 s6, s5, -1
	s_and_saveexec_b32 s7, s6
	s_delay_alu instid0(SALU_CYCLE_1)
	s_xor_b32 s6, exec_lo, s7
	s_cbranch_execz .LBB19_40
; %bb.39:
	v_lshl_add_u32 v25, v26, 2, v6
	ds_load_b32 v25, v25 offset:4
.LBB19_40:
	s_or_saveexec_b32 s6, s6
	v_mov_b32_e32 v27, v21
	s_xor_b32 exec_lo, exec_lo, s6
	s_cbranch_execz .LBB19_42
; %bb.41:
	s_waitcnt lgkmcnt(0)
	v_lshl_add_u32 v25, v24, 2, v6
	ds_load_b32 v27, v25 offset:4
	v_mov_b32_e32 v25, v20
.LBB19_42:
	s_or_b32 exec_lo, exec_lo, s6
	v_add_nc_u32_e32 v28, 1, v26
	v_and_b32_e32 v29, 32, v11
	v_add_nc_u32_e32 v30, 1, v24
	v_cndmask_b32_e64 v31, v26, v24, s5
	v_cndmask_b32_e64 v23, v22, v23, s4
	;; [unrolled: 1-line block ×3, first 2 shown]
	v_min_i32_e32 v22, v9, v29
	v_cndmask_b32_e64 v24, v24, v30, s5
	s_waitcnt lgkmcnt(0)
	v_cmp_lt_i32_e64 s6, v27, v25
	v_cndmask_b32_e64 v18, v19, v18, s3
	v_cmp_ge_i32_e64 s7, v26, v0
	v_add_nc_u32_e32 v0, 16, v22
	v_cmp_lt_i32_e64 s8, v24, v13
	; wave barrier
	s_delay_alu instid0(VALU_DEP_3) | instskip(NEXT) | instid1(VALU_DEP_2)
	s_or_b32 s6, s7, s6
	v_min_i32_e32 v0, v9, v0
	s_delay_alu instid0(VALU_DEP_2)
	s_and_b32 s6, s8, s6
	ds_store_2addr_b32 v7, v1, v2 offset1:1
	ds_store_2addr_b32 v7, v3, v12 offset0:2 offset1:3
	v_cndmask_b32_e64 v13, v26, v24, s6
	v_lshl_add_u32 v2, v18, 2, v6
	v_add_nc_u32_e32 v1, 16, v0
	v_and_b32_e32 v3, 28, v11
	v_lshl_add_u32 v11, v23, 2, v6
	v_lshl_add_u32 v18, v31, 2, v6
	;; [unrolled: 1-line block ×3, first 2 shown]
	; wave barrier
	v_min_i32_e32 v12, v9, v1
	v_min_i32_e32 v13, v9, v3
	ds_load_b32 v1, v2
	ds_load_b32 v2, v11
	;; [unrolled: 1-line block ×4, first 2 shown]
	v_sub_nc_u32_e32 v23, v0, v22
	v_cndmask_b32_e64 v20, v20, v21, s5
	v_sub_nc_u32_e32 v24, v12, v0
	v_cndmask_b32_e64 v21, v17, v16, s4
	v_cndmask_b32_e64 v15, v14, v15, s3
	v_min_i32_e32 v17, v13, v23
	v_lshl_add_u32 v14, v22, 2, v6
	v_sub_nc_u32_e32 v18, v13, v24
	v_cmp_ge_i32_e64 s4, v13, v24
	v_cndmask_b32_e64 v19, v25, v27, s6
	s_mov_b32 s5, 0
	; wave barrier
	s_delay_alu instid0(VALU_DEP_2)
	v_cndmask_b32_e64 v16, 0, v18, s4
	s_mov_b32 s4, exec_lo
	ds_store_2addr_b32 v7, v15, v21 offset1:1
	ds_store_2addr_b32 v7, v20, v19 offset0:2 offset1:3
	; wave barrier
	v_cmpx_lt_i32_e64 v16, v17
	s_cbranch_execz .LBB19_46
; %bb.43:
	v_lshlrev_b32_e32 v15, 2, v0
	v_lshlrev_b32_e32 v18, 2, v13
	s_delay_alu instid0(VALU_DEP_1)
	v_add3_u32 v15, v6, v15, v18
	.p2align	6
.LBB19_44:                              ; =>This Inner Loop Header: Depth=1
	v_sub_nc_u32_e32 v18, v17, v16
	s_delay_alu instid0(VALU_DEP_1) | instskip(NEXT) | instid1(VALU_DEP_1)
	v_lshrrev_b32_e32 v19, 31, v18
	v_add_nc_u32_e32 v18, v18, v19
	s_delay_alu instid0(VALU_DEP_1) | instskip(NEXT) | instid1(VALU_DEP_1)
	v_ashrrev_i32_e32 v18, 1, v18
	v_add_nc_u32_e32 v18, v18, v16
	s_delay_alu instid0(VALU_DEP_1) | instskip(SKIP_2) | instid1(VALU_DEP_3)
	v_not_b32_e32 v19, v18
	v_lshl_add_u32 v20, v18, 2, v14
	v_add_nc_u32_e32 v21, 1, v18
	v_lshl_add_u32 v19, v19, 2, v15
	ds_load_b32 v20, v20
	ds_load_b32 v19, v19
	s_waitcnt lgkmcnt(0)
	v_cmp_lt_i32_e64 s3, v19, v20
	s_delay_alu instid0(VALU_DEP_1) | instskip(SKIP_1) | instid1(VALU_DEP_1)
	v_cndmask_b32_e64 v17, v17, v18, s3
	v_cndmask_b32_e64 v16, v21, v16, s3
	v_cmp_ge_i32_e64 s3, v16, v17
	s_delay_alu instid0(VALU_DEP_1) | instskip(NEXT) | instid1(SALU_CYCLE_1)
	s_or_b32 s5, s3, s5
	s_and_not1_b32 exec_lo, exec_lo, s5
	s_cbranch_execnz .LBB19_44
; %bb.45:
	s_or_b32 exec_lo, exec_lo, s5
.LBB19_46:
	s_delay_alu instid0(SALU_CYCLE_1) | instskip(SKIP_3) | instid1(VALU_DEP_3)
	s_or_b32 exec_lo, exec_lo, s4
	v_add_nc_u32_e32 v13, v0, v13
	v_lshl_add_u32 v20, v16, 2, v14
	v_add_nc_u32_e32 v18, v16, v22
                                        ; implicit-def: $vgpr15
	v_sub_nc_u32_e32 v17, v13, v16
                                        ; implicit-def: $vgpr16
	s_delay_alu instid0(VALU_DEP_2) | instskip(NEXT) | instid1(VALU_DEP_2)
	v_cmp_le_i32_e64 s3, v0, v18
	v_lshl_add_u32 v19, v17, 2, v6
	v_cmp_gt_i32_e64 s5, v12, v17
	ds_load_b32 v13, v20
	ds_load_b32 v14, v19
	s_waitcnt lgkmcnt(0)
	v_cmp_lt_i32_e64 s4, v14, v13
	s_delay_alu instid0(VALU_DEP_1) | instskip(NEXT) | instid1(SALU_CYCLE_1)
	s_or_b32 s3, s3, s4
	s_and_b32 s3, s5, s3
	s_delay_alu instid0(SALU_CYCLE_1) | instskip(NEXT) | instid1(SALU_CYCLE_1)
	s_xor_b32 s4, s3, -1
	s_and_saveexec_b32 s5, s4
	s_delay_alu instid0(SALU_CYCLE_1)
	s_xor_b32 s4, exec_lo, s5
	s_cbranch_execz .LBB19_48
; %bb.47:
	ds_load_b32 v16, v20 offset:4
	v_mov_b32_e32 v15, v14
                                        ; implicit-def: $vgpr19
.LBB19_48:
	s_and_not1_saveexec_b32 s4, s4
	s_cbranch_execz .LBB19_50
; %bb.49:
	ds_load_b32 v15, v19 offset:4
	s_waitcnt lgkmcnt(1)
	v_mov_b32_e32 v16, v13
.LBB19_50:
	s_or_b32 exec_lo, exec_lo, s4
	v_add_nc_u32_e32 v19, 1, v18
	v_add_nc_u32_e32 v20, 1, v17
	s_waitcnt lgkmcnt(0)
	v_cmp_lt_i32_e64 s5, v15, v16
	s_delay_alu instid0(VALU_DEP_3) | instskip(NEXT) | instid1(VALU_DEP_3)
	v_cndmask_b32_e64 v21, v19, v18, s3
	v_cndmask_b32_e64 v22, v17, v20, s3
                                        ; implicit-def: $vgpr19
	s_delay_alu instid0(VALU_DEP_2) | instskip(NEXT) | instid1(VALU_DEP_2)
	v_cmp_ge_i32_e64 s4, v21, v0
	v_cmp_lt_i32_e64 s6, v22, v12
	s_delay_alu instid0(VALU_DEP_2)
	s_or_b32 s4, s4, s5
	s_delay_alu instid0(VALU_DEP_1) | instid1(SALU_CYCLE_1)
	s_and_b32 s4, s6, s4
	s_delay_alu instid0(SALU_CYCLE_1) | instskip(NEXT) | instid1(SALU_CYCLE_1)
	s_xor_b32 s5, s4, -1
	s_and_saveexec_b32 s6, s5
	s_delay_alu instid0(SALU_CYCLE_1)
	s_xor_b32 s5, exec_lo, s6
	s_cbranch_execz .LBB19_52
; %bb.51:
	v_lshl_add_u32 v19, v21, 2, v6
	ds_load_b32 v19, v19 offset:4
.LBB19_52:
	s_or_saveexec_b32 s5, s5
	v_mov_b32_e32 v20, v15
	s_xor_b32 exec_lo, exec_lo, s5
	s_cbranch_execz .LBB19_54
; %bb.53:
	s_waitcnt lgkmcnt(0)
	v_lshl_add_u32 v19, v22, 2, v6
	ds_load_b32 v20, v19 offset:4
	v_mov_b32_e32 v19, v16
.LBB19_54:
	s_or_b32 exec_lo, exec_lo, s5
	v_add_nc_u32_e32 v23, 1, v21
	v_add_nc_u32_e32 v24, 1, v22
	s_waitcnt lgkmcnt(0)
	v_cmp_lt_i32_e64 s6, v20, v19
                                        ; implicit-def: $vgpr26
	s_delay_alu instid0(VALU_DEP_3) | instskip(NEXT) | instid1(VALU_DEP_3)
	v_cndmask_b32_e64 v25, v23, v21, s4
	v_cndmask_b32_e64 v24, v22, v24, s4
	s_delay_alu instid0(VALU_DEP_2) | instskip(NEXT) | instid1(VALU_DEP_2)
	v_cmp_ge_i32_e64 s5, v25, v0
	v_cmp_lt_i32_e64 s7, v24, v12
	s_delay_alu instid0(VALU_DEP_2)
	s_or_b32 s5, s5, s6
	s_delay_alu instid0(VALU_DEP_1) | instid1(SALU_CYCLE_1)
	s_and_b32 s5, s7, s5
	s_delay_alu instid0(SALU_CYCLE_1) | instskip(NEXT) | instid1(SALU_CYCLE_1)
	s_xor_b32 s6, s5, -1
	s_and_saveexec_b32 s7, s6
	s_delay_alu instid0(SALU_CYCLE_1)
	s_xor_b32 s6, exec_lo, s7
	s_cbranch_execz .LBB19_56
; %bb.55:
	v_lshl_add_u32 v23, v25, 2, v6
	ds_load_b32 v26, v23 offset:4
.LBB19_56:
	s_or_saveexec_b32 s6, s6
	v_mov_b32_e32 v27, v20
	s_xor_b32 exec_lo, exec_lo, s6
	s_cbranch_execz .LBB19_58
; %bb.57:
	v_lshl_add_u32 v23, v24, 2, v6
	s_waitcnt lgkmcnt(0)
	v_mov_b32_e32 v26, v19
	ds_load_b32 v27, v23 offset:4
.LBB19_58:
	s_or_b32 exec_lo, exec_lo, s6
	v_add_nc_u32_e32 v28, 1, v25
	v_add_nc_u32_e32 v29, 1, v24
	v_min_i32_e32 v23, 0, v9
	v_cndmask_b32_e64 v21, v21, v22, s4
	v_cndmask_b32_e64 v30, v25, v24, s5
	;; [unrolled: 1-line block ×4, first 2 shown]
	v_add_nc_u32_e32 v25, 32, v23
	s_waitcnt lgkmcnt(0)
	v_cmp_lt_i32_e64 s6, v27, v26
	v_cndmask_b32_e64 v17, v18, v17, s3
	v_cmp_ge_i32_e64 s7, v22, v0
	v_cmp_lt_i32_e64 s8, v24, v12
	v_min_i32_e32 v0, v9, v25
	; wave barrier
	s_delay_alu instid0(VALU_DEP_3)
	s_or_b32 s6, s7, s6
	ds_store_2addr_b32 v7, v1, v2 offset1:1
	ds_store_2addr_b32 v7, v3, v11 offset0:2 offset1:3
	s_and_b32 s6, s8, s6
	v_add_nc_u32_e32 v12, 32, v0
	v_cndmask_b32_e64 v22, v22, v24, s6
	v_lshl_add_u32 v1, v17, 2, v6
	v_lshl_add_u32 v2, v21, 2, v6
	;; [unrolled: 1-line block ×3, first 2 shown]
	v_min_i32_e32 v11, v9, v12
	v_lshl_add_u32 v12, v22, 2, v6
	; wave barrier
	v_min_i32_e32 v10, v9, v10
	ds_load_b32 v1, v1
	ds_load_b32 v2, v2
	;; [unrolled: 1-line block ×4, first 2 shown]
	v_sub_nc_u32_e32 v17, v11, v0
	v_sub_nc_u32_e32 v21, v0, v23
	v_cndmask_b32_e64 v19, v19, v20, s5
	v_cndmask_b32_e64 v20, v16, v15, s4
	;; [unrolled: 1-line block ×3, first 2 shown]
	v_sub_nc_u32_e32 v12, v10, v17
	v_cmp_ge_i32_e64 s4, v10, v17
	v_min_i32_e32 v15, v10, v21
	v_cndmask_b32_e64 v18, v26, v27, s6
	s_mov_b32 s5, 0
	s_delay_alu instid0(VALU_DEP_3)
	v_cndmask_b32_e64 v16, 0, v12, s4
	v_lshl_add_u32 v12, v23, 2, v6
	s_mov_b32 s4, exec_lo
	; wave barrier
	ds_store_2addr_b32 v7, v13, v20 offset1:1
	ds_store_2addr_b32 v7, v19, v18 offset0:2 offset1:3
	; wave barrier
	v_cmpx_lt_i32_e64 v16, v15
	s_cbranch_execz .LBB19_62
; %bb.59:
	v_lshlrev_b32_e32 v13, 2, v0
	v_lshlrev_b32_e32 v14, 2, v10
	s_delay_alu instid0(VALU_DEP_1)
	v_add3_u32 v13, v6, v13, v14
	.p2align	6
.LBB19_60:                              ; =>This Inner Loop Header: Depth=1
	v_sub_nc_u32_e32 v14, v15, v16
	s_delay_alu instid0(VALU_DEP_1) | instskip(NEXT) | instid1(VALU_DEP_1)
	v_lshrrev_b32_e32 v17, 31, v14
	v_add_nc_u32_e32 v14, v14, v17
	s_delay_alu instid0(VALU_DEP_1) | instskip(NEXT) | instid1(VALU_DEP_1)
	v_ashrrev_i32_e32 v14, 1, v14
	v_add_nc_u32_e32 v14, v14, v16
	s_delay_alu instid0(VALU_DEP_1) | instskip(SKIP_2) | instid1(VALU_DEP_3)
	v_not_b32_e32 v17, v14
	v_lshl_add_u32 v18, v14, 2, v12
	v_add_nc_u32_e32 v19, 1, v14
	v_lshl_add_u32 v17, v17, 2, v13
	ds_load_b32 v18, v18
	ds_load_b32 v17, v17
	s_waitcnt lgkmcnt(0)
	v_cmp_lt_i32_e64 s3, v17, v18
	s_delay_alu instid0(VALU_DEP_1) | instskip(SKIP_1) | instid1(VALU_DEP_1)
	v_cndmask_b32_e64 v15, v15, v14, s3
	v_cndmask_b32_e64 v16, v19, v16, s3
	v_cmp_ge_i32_e64 s3, v16, v15
	s_delay_alu instid0(VALU_DEP_1) | instskip(NEXT) | instid1(SALU_CYCLE_1)
	s_or_b32 s5, s3, s5
	s_and_not1_b32 exec_lo, exec_lo, s5
	s_cbranch_execnz .LBB19_60
; %bb.61:
	s_or_b32 exec_lo, exec_lo, s5
.LBB19_62:
	s_delay_alu instid0(SALU_CYCLE_1) | instskip(SKIP_2) | instid1(VALU_DEP_2)
	s_or_b32 exec_lo, exec_lo, s4
	v_add_nc_u32_e32 v10, v0, v10
	v_lshl_add_u32 v18, v16, 2, v12
                                        ; implicit-def: $vgpr13
                                        ; implicit-def: $vgpr14
	v_sub_nc_u32_e32 v15, v10, v16
	v_add_nc_u32_e32 v16, v16, v23
	s_delay_alu instid0(VALU_DEP_2) | instskip(NEXT) | instid1(VALU_DEP_2)
	v_lshl_add_u32 v17, v15, 2, v6
	v_cmp_le_i32_e64 s3, v0, v16
	v_cmp_gt_i32_e64 s5, v11, v15
	ds_load_b32 v10, v18
	ds_load_b32 v12, v17
	s_waitcnt lgkmcnt(0)
	v_cmp_lt_i32_e64 s4, v12, v10
	s_delay_alu instid0(VALU_DEP_1) | instskip(NEXT) | instid1(SALU_CYCLE_1)
	s_or_b32 s3, s3, s4
	s_and_b32 s3, s5, s3
	s_delay_alu instid0(SALU_CYCLE_1) | instskip(NEXT) | instid1(SALU_CYCLE_1)
	s_xor_b32 s4, s3, -1
	s_and_saveexec_b32 s5, s4
	s_delay_alu instid0(SALU_CYCLE_1)
	s_xor_b32 s4, exec_lo, s5
	s_cbranch_execz .LBB19_64
; %bb.63:
	ds_load_b32 v14, v18 offset:4
	v_mov_b32_e32 v13, v12
                                        ; implicit-def: $vgpr17
.LBB19_64:
	s_and_not1_saveexec_b32 s4, s4
	s_cbranch_execz .LBB19_66
; %bb.65:
	ds_load_b32 v13, v17 offset:4
	s_waitcnt lgkmcnt(1)
	v_mov_b32_e32 v14, v10
.LBB19_66:
	s_or_b32 exec_lo, exec_lo, s4
	v_add_nc_u32_e32 v17, 1, v16
	v_add_nc_u32_e32 v18, 1, v15
	s_waitcnt lgkmcnt(0)
	v_cmp_lt_i32_e64 s5, v13, v14
	s_delay_alu instid0(VALU_DEP_3) | instskip(NEXT) | instid1(VALU_DEP_3)
	v_cndmask_b32_e64 v19, v17, v16, s3
	v_cndmask_b32_e64 v20, v15, v18, s3
                                        ; implicit-def: $vgpr17
	s_delay_alu instid0(VALU_DEP_2) | instskip(NEXT) | instid1(VALU_DEP_2)
	v_cmp_ge_i32_e64 s4, v19, v0
	v_cmp_lt_i32_e64 s6, v20, v11
	s_delay_alu instid0(VALU_DEP_2)
	s_or_b32 s4, s4, s5
	s_delay_alu instid0(VALU_DEP_1) | instid1(SALU_CYCLE_1)
	s_and_b32 s4, s6, s4
	s_delay_alu instid0(SALU_CYCLE_1) | instskip(NEXT) | instid1(SALU_CYCLE_1)
	s_xor_b32 s5, s4, -1
	s_and_saveexec_b32 s6, s5
	s_delay_alu instid0(SALU_CYCLE_1)
	s_xor_b32 s5, exec_lo, s6
	s_cbranch_execz .LBB19_68
; %bb.67:
	v_lshl_add_u32 v17, v19, 2, v6
	ds_load_b32 v17, v17 offset:4
.LBB19_68:
	s_or_saveexec_b32 s5, s5
	v_mov_b32_e32 v18, v13
	s_xor_b32 exec_lo, exec_lo, s5
	s_cbranch_execz .LBB19_70
; %bb.69:
	s_waitcnt lgkmcnt(0)
	v_lshl_add_u32 v17, v20, 2, v6
	ds_load_b32 v18, v17 offset:4
	v_mov_b32_e32 v17, v14
.LBB19_70:
	s_or_b32 exec_lo, exec_lo, s5
	v_add_nc_u32_e32 v21, 1, v19
	v_add_nc_u32_e32 v22, 1, v20
	s_waitcnt lgkmcnt(0)
	v_cmp_lt_i32_e64 s6, v18, v17
                                        ; implicit-def: $vgpr23
	s_delay_alu instid0(VALU_DEP_3) | instskip(NEXT) | instid1(VALU_DEP_3)
	v_cndmask_b32_e64 v24, v21, v19, s4
	v_cndmask_b32_e64 v21, v20, v22, s4
                                        ; implicit-def: $vgpr22
	s_delay_alu instid0(VALU_DEP_2) | instskip(NEXT) | instid1(VALU_DEP_2)
	v_cmp_ge_i32_e64 s5, v24, v0
	v_cmp_lt_i32_e64 s7, v21, v11
	s_delay_alu instid0(VALU_DEP_2)
	s_or_b32 s5, s5, s6
	s_delay_alu instid0(VALU_DEP_1) | instid1(SALU_CYCLE_1)
	s_and_b32 s5, s7, s5
	s_delay_alu instid0(SALU_CYCLE_1) | instskip(NEXT) | instid1(SALU_CYCLE_1)
	s_xor_b32 s6, s5, -1
	s_and_saveexec_b32 s7, s6
	s_delay_alu instid0(SALU_CYCLE_1)
	s_xor_b32 s6, exec_lo, s7
	s_cbranch_execz .LBB19_72
; %bb.71:
	v_lshl_add_u32 v22, v24, 2, v6
	ds_load_b32 v23, v22 offset:4
	v_add_nc_u32_e32 v22, 1, v24
.LBB19_72:
	s_or_saveexec_b32 s6, s6
	v_dual_mov_b32 v25, v24 :: v_dual_mov_b32 v26, v18
	s_xor_b32 exec_lo, exec_lo, s6
	s_cbranch_execz .LBB19_74
; %bb.73:
	v_lshl_add_u32 v22, v21, 2, v6
	s_waitcnt lgkmcnt(0)
	v_add_nc_u32_e32 v23, 1, v21
	v_mov_b32_e32 v25, v21
	ds_load_b32 v26, v22 offset:4
	v_dual_mov_b32 v22, v24 :: v_dual_mov_b32 v21, v23
	v_mov_b32_e32 v23, v17
.LBB19_74:
	s_or_b32 exec_lo, exec_lo, s6
	s_delay_alu instid0(VALU_DEP_2) | instskip(SKIP_1) | instid1(VALU_DEP_2)
	v_cmp_ge_i32_e64 s6, v22, v0
	s_waitcnt lgkmcnt(0)
	v_cmp_lt_i32_e64 s7, v26, v23
	v_cmp_lt_i32_e64 s8, v21, v11
	v_cndmask_b32_e64 v11, v16, v15, s3
	v_cndmask_b32_e64 v0, v19, v20, s4
	s_delay_alu instid0(VALU_DEP_4)
	s_or_b32 s6, s6, s7
	; wave barrier
	s_delay_alu instid0(VALU_DEP_3) | instid1(SALU_CYCLE_1)
	s_and_b32 s6, s8, s6
	ds_store_2addr_b32 v7, v1, v2 offset1:1
	ds_store_2addr_b32 v7, v3, v9 offset0:2 offset1:3
	v_cndmask_b32_e64 v16, v22, v21, s6
	v_lshl_add_u32 v1, v11, 2, v6
	v_lshl_add_u32 v0, v0, 2, v6
	v_lshl_add_u32 v2, v25, 2, v6
	s_delay_alu instid0(VALU_DEP_4)
	v_lshl_add_u32 v3, v16, 2, v6
	; wave barrier
	ds_load_b32 v1, v1
	ds_load_b32 v0, v0
	;; [unrolled: 1-line block ×4, first 2 shown]
	v_cndmask_b32_e64 v6, v10, v12, s3
	v_cndmask_b32_e64 v7, v14, v13, s4
	;; [unrolled: 1-line block ×4, first 2 shown]
	v_add_co_u32 v11, s3, s10, v4
	s_delay_alu instid0(VALU_DEP_1)
	v_add_co_ci_u32_e64 v12, s3, s11, v5, s3
	s_waitcnt lgkmcnt(3)
	v_add_nc_u32_e32 v1, v1, v6
	s_waitcnt lgkmcnt(2)
	v_add_nc_u32_e32 v0, v7, v0
	;; [unrolled: 2-line block ×3, first 2 shown]
	s_waitcnt lgkmcnt(0)
	v_dual_cndmask_b32 v5, v6, v1 :: v_dual_add_nc_u32 v10, v15, v3
	v_cndmask_b32_e64 v4, v7, v0, s0
	v_add_co_u32 v0, s3, v11, v8
	v_cndmask_b32_e64 v3, v9, v2, s1
	s_delay_alu instid0(VALU_DEP_4)
	v_cndmask_b32_e64 v2, v15, v10, s2
	v_add_co_ci_u32_e64 v1, s3, 0, v12, s3
	s_and_saveexec_b32 s3, vcc_lo
	s_cbranch_execnz .LBB19_79
; %bb.75:
	s_or_b32 exec_lo, exec_lo, s3
	s_and_saveexec_b32 s3, s0
	s_cbranch_execnz .LBB19_80
.LBB19_76:
	s_or_b32 exec_lo, exec_lo, s3
	s_and_saveexec_b32 s0, s1
	s_cbranch_execnz .LBB19_81
.LBB19_77:
	s_or_b32 exec_lo, exec_lo, s0
	s_and_saveexec_b32 s0, s2
	s_cbranch_execnz .LBB19_82
.LBB19_78:
	s_nop 0
	s_sendmsg sendmsg(MSG_DEALLOC_VGPRS)
	s_endpgm
.LBB19_79:
	global_store_b32 v[0:1], v5, off
	s_or_b32 exec_lo, exec_lo, s3
	s_and_saveexec_b32 s3, s0
	s_cbranch_execz .LBB19_76
.LBB19_80:
	global_store_b32 v[0:1], v4, off offset:4
	s_or_b32 exec_lo, exec_lo, s3
	s_and_saveexec_b32 s0, s1
	s_cbranch_execz .LBB19_77
.LBB19_81:
	global_store_b32 v[0:1], v3, off offset:8
	s_or_b32 exec_lo, exec_lo, s0
	s_and_saveexec_b32 s0, s2
	s_cbranch_execz .LBB19_78
.LBB19_82:
	global_store_b32 v[0:1], v2, off offset:12
	s_nop 0
	s_sendmsg sendmsg(MSG_DEALLOC_VGPRS)
	s_endpgm
	.section	.rodata,"a",@progbits
	.p2align	6, 0x0
	.amdhsa_kernel _Z20sort_pairs_segmentedILj256ELj16ELj4EiN10test_utils4lessEEvPKT2_PS2_PKjT3_
		.amdhsa_group_segment_fixed_size 4160
		.amdhsa_private_segment_fixed_size 0
		.amdhsa_kernarg_size 28
		.amdhsa_user_sgpr_count 15
		.amdhsa_user_sgpr_dispatch_ptr 0
		.amdhsa_user_sgpr_queue_ptr 0
		.amdhsa_user_sgpr_kernarg_segment_ptr 1
		.amdhsa_user_sgpr_dispatch_id 0
		.amdhsa_user_sgpr_private_segment_size 0
		.amdhsa_wavefront_size32 1
		.amdhsa_uses_dynamic_stack 0
		.amdhsa_enable_private_segment 0
		.amdhsa_system_sgpr_workgroup_id_x 1
		.amdhsa_system_sgpr_workgroup_id_y 0
		.amdhsa_system_sgpr_workgroup_id_z 0
		.amdhsa_system_sgpr_workgroup_info 0
		.amdhsa_system_vgpr_workitem_id 0
		.amdhsa_next_free_vgpr 32
		.amdhsa_next_free_sgpr 16
		.amdhsa_reserve_vcc 1
		.amdhsa_float_round_mode_32 0
		.amdhsa_float_round_mode_16_64 0
		.amdhsa_float_denorm_mode_32 3
		.amdhsa_float_denorm_mode_16_64 3
		.amdhsa_dx10_clamp 1
		.amdhsa_ieee_mode 1
		.amdhsa_fp16_overflow 0
		.amdhsa_workgroup_processor_mode 1
		.amdhsa_memory_ordered 1
		.amdhsa_forward_progress 0
		.amdhsa_shared_vgpr_count 0
		.amdhsa_exception_fp_ieee_invalid_op 0
		.amdhsa_exception_fp_denorm_src 0
		.amdhsa_exception_fp_ieee_div_zero 0
		.amdhsa_exception_fp_ieee_overflow 0
		.amdhsa_exception_fp_ieee_underflow 0
		.amdhsa_exception_fp_ieee_inexact 0
		.amdhsa_exception_int_div_zero 0
	.end_amdhsa_kernel
	.section	.text._Z20sort_pairs_segmentedILj256ELj16ELj4EiN10test_utils4lessEEvPKT2_PS2_PKjT3_,"axG",@progbits,_Z20sort_pairs_segmentedILj256ELj16ELj4EiN10test_utils4lessEEvPKT2_PS2_PKjT3_,comdat
.Lfunc_end19:
	.size	_Z20sort_pairs_segmentedILj256ELj16ELj4EiN10test_utils4lessEEvPKT2_PS2_PKjT3_, .Lfunc_end19-_Z20sort_pairs_segmentedILj256ELj16ELj4EiN10test_utils4lessEEvPKT2_PS2_PKjT3_
                                        ; -- End function
	.section	.AMDGPU.csdata,"",@progbits
; Kernel info:
; codeLenInByte = 4768
; NumSgprs: 18
; NumVgprs: 32
; ScratchSize: 0
; MemoryBound: 0
; FloatMode: 240
; IeeeMode: 1
; LDSByteSize: 4160 bytes/workgroup (compile time only)
; SGPRBlocks: 2
; VGPRBlocks: 3
; NumSGPRsForWavesPerEU: 18
; NumVGPRsForWavesPerEU: 32
; Occupancy: 16
; WaveLimiterHint : 0
; COMPUTE_PGM_RSRC2:SCRATCH_EN: 0
; COMPUTE_PGM_RSRC2:USER_SGPR: 15
; COMPUTE_PGM_RSRC2:TRAP_HANDLER: 0
; COMPUTE_PGM_RSRC2:TGID_X_EN: 1
; COMPUTE_PGM_RSRC2:TGID_Y_EN: 0
; COMPUTE_PGM_RSRC2:TGID_Z_EN: 0
; COMPUTE_PGM_RSRC2:TIDIG_COMP_CNT: 0
	.section	.text._Z9sort_keysILj256ELj16ELj8EiN10test_utils4lessEEvPKT2_PS2_T3_,"axG",@progbits,_Z9sort_keysILj256ELj16ELj8EiN10test_utils4lessEEvPKT2_PS2_T3_,comdat
	.protected	_Z9sort_keysILj256ELj16ELj8EiN10test_utils4lessEEvPKT2_PS2_T3_ ; -- Begin function _Z9sort_keysILj256ELj16ELj8EiN10test_utils4lessEEvPKT2_PS2_T3_
	.globl	_Z9sort_keysILj256ELj16ELj8EiN10test_utils4lessEEvPKT2_PS2_T3_
	.p2align	8
	.type	_Z9sort_keysILj256ELj16ELj8EiN10test_utils4lessEEvPKT2_PS2_T3_,@function
_Z9sort_keysILj256ELj16ELj8EiN10test_utils4lessEEvPKT2_PS2_T3_: ; @_Z9sort_keysILj256ELj16ELj8EiN10test_utils4lessEEvPKT2_PS2_T3_
; %bb.0:
	s_load_b128 s[8:11], s[0:1], 0x0
	s_mov_b32 s3, 0
	s_lshl_b32 s2, s15, 11
	v_lshlrev_b32_e32 v1, 5, v0
	s_lshl_b64 s[12:13], s[2:3], 2
	v_lshrrev_b32_e32 v9, 4, v0
	s_waitcnt lgkmcnt(0)
	s_add_u32 s0, s8, s12
	s_addc_u32 s1, s9, s13
	s_clause 0x1
	global_load_b128 v[12:15], v1, s[0:1]
	global_load_b128 v[16:19], v1, s[0:1] offset:16
	v_mbcnt_lo_u32_b32 v1, -1, 0
	; wave barrier
	s_delay_alu instid0(VALU_DEP_1) | instskip(NEXT) | instid1(VALU_DEP_1)
	v_lshlrev_b32_e32 v4, 3, v1
	v_and_b32_e32 v7, 0x70, v4
	s_delay_alu instid0(VALU_DEP_1) | instskip(SKIP_1) | instid1(VALU_DEP_1)
	v_or_b32_e32 v6, 8, v7
	v_add_nc_u32_e32 v5, 16, v7
	v_sub_nc_u32_e32 v8, v5, v6
	s_waitcnt vmcnt(1)
	v_max_i32_e32 v22, v13, v12
	s_waitcnt vmcnt(0)
	v_max_i32_e32 v27, v17, v16
	v_min_i32_e32 v31, v19, v18
	v_cmp_lt_i32_e64 s0, v15, v14
	v_max_i32_e32 v24, v15, v14
	v_min_i32_e32 v25, v15, v14
	v_cmp_lt_i32_e64 s1, v17, v16
	v_min_i32_e32 v33, v31, v27
	v_and_b32_e32 v11, 8, v4
	v_min_i32_e32 v28, v17, v16
	v_cmp_lt_i32_e64 s2, v19, v18
	v_min_i32_e32 v21, v13, v12
	v_cndmask_b32_e64 v23, v15, v14, s0
	v_sub_nc_u32_e32 v20, v11, v8
	v_cmp_ge_i32_e32 vcc_lo, v11, v8
	v_cndmask_b32_e64 v26, v17, v16, s1
	v_max_i32_e32 v30, v19, v18
	v_cndmask_b32_e64 v29, v19, v18, s2
	v_max_i32_e32 v32, v31, v27
	v_cndmask_b32_e32 v8, 0, v20, vcc_lo
	v_cmp_lt_i32_e32 vcc_lo, v13, v12
	v_cndmask_b32_e32 v20, v12, v13, vcc_lo
	v_cndmask_b32_e32 v12, v13, v12, vcc_lo
	v_cndmask_b32_e64 v13, v14, v15, s0
	v_cndmask_b32_e64 v14, v16, v17, s1
	;; [unrolled: 1-line block ×3, first 2 shown]
	v_cmp_lt_i32_e32 vcc_lo, v28, v24
	v_cmp_lt_i32_e64 s0, v31, v27
	v_cmp_lt_i32_e64 s1, v25, v22
	v_max_i32_e32 v16, v25, v22
	v_min_i32_e32 v17, v25, v22
	v_max_i32_e32 v18, v28, v24
	v_min_i32_e32 v19, v28, v24
	v_cmp_lt_i32_e64 s2, v25, v21
	v_cndmask_b32_e64 v13, v13, v22, s1
	v_cndmask_b32_e32 v22, v23, v28, vcc_lo
	v_cndmask_b32_e64 v15, v15, v27, s0
	v_cndmask_b32_e64 v23, v26, v31, s0
	v_cmp_gt_i32_e64 s0, v27, v30
	v_cndmask_b32_e64 v12, v12, v25, s1
	v_cndmask_b32_e32 v14, v14, v24, vcc_lo
	v_cndmask_b32_e64 v20, v20, v17, s2
	v_cndmask_b32_e64 v24, v21, v17, s2
	;; [unrolled: 1-line block ×3, first 2 shown]
	v_max_i32_e32 v25, v19, v16
	v_min_i32_e32 v26, v19, v16
	v_cmp_lt_i32_e32 vcc_lo, v33, v18
	v_min_i32_e32 v28, v33, v18
	v_cmp_lt_i32_e64 s1, v19, v16
	v_max_i32_e32 v27, v33, v18
	v_cndmask_b32_e64 v29, v29, v32, s0
	v_cndmask_b32_e32 v14, v14, v33, vcc_lo
	v_cndmask_b32_e64 v31, v30, v32, s0
	v_cndmask_b32_e64 v32, v32, v30, s0
	;; [unrolled: 1-line block ×4, first 2 shown]
	v_cndmask_b32_e32 v18, v23, v18, vcc_lo
	v_min_i32_e32 v21, v26, v17
	v_cmp_lt_i32_e32 vcc_lo, v28, v25
	v_cndmask_b32_e64 v13, v13, v19, s1
	v_cndmask_b32_e64 v15, v15, v30, s0
	v_cmp_lt_i32_e64 s0, v26, v17
	v_cmp_lt_i32_e64 s1, v32, v27
	v_max_i32_e32 v30, v32, v27
	v_dual_cndmask_b32 v14, v14, v25 :: v_dual_lshlrev_b32 v3, 3, v0
	v_max_i32_e32 v19, v26, v17
	v_max_i32_e32 v22, v28, v25
	v_min_i32_e32 v23, v28, v25
	v_min_i32_e32 v33, v32, v27
	v_cndmask_b32_e32 v16, v16, v28, vcc_lo
	v_cmp_lt_i32_e32 vcc_lo, v21, v24
	v_cndmask_b32_e64 v13, v13, v17, s0
	v_cndmask_b32_e64 v15, v15, v27, s1
	;; [unrolled: 1-line block ×3, first 2 shown]
	v_cmp_lt_i32_e64 s1, v31, v30
	v_cndmask_b32_e64 v12, v12, v26, s0
	v_cndmask_b32_e32 v18, v20, v21, vcc_lo
	v_min_i32_e32 v20, v21, v24
	v_max_i32_e32 v21, v21, v24
	v_max_i32_e32 v25, v23, v19
	v_min_i32_e32 v26, v23, v19
	v_cmp_lt_i32_e64 s0, v33, v22
	v_min_i32_e32 v28, v33, v22
	v_cmp_lt_i32_e64 s2, v23, v19
	v_max_i32_e32 v27, v33, v22
	v_cndmask_b32_e64 v29, v29, v30, s1
	v_max_i32_e32 v32, v31, v30
	v_min_i32_e32 v30, v31, v30
	v_cndmask_b32_e32 v12, v12, v24, vcc_lo
	v_cndmask_b32_e64 v16, v16, v19, s2
	v_cndmask_b32_e64 v13, v13, v23, s2
	;; [unrolled: 1-line block ×4, first 2 shown]
	v_max_i32_e32 v19, v26, v21
	v_cmp_lt_i32_e32 vcc_lo, v28, v25
	v_min_i32_e32 v24, v28, v25
	v_cmp_lt_i32_e64 s1, v26, v21
	v_cndmask_b32_e64 v17, v17, v22, s0
	v_cmp_lt_i32_e64 s0, v30, v27
	v_min_i32_e32 v22, v26, v21
	v_cmp_lt_i32_e64 s2, v26, v20
	v_cndmask_b32_e64 v13, v13, v21, s1
	v_cndmask_b32_e32 v14, v14, v25, vcc_lo
	v_cndmask_b32_e32 v16, v16, v28, vcc_lo
	v_cmp_lt_i32_e32 vcc_lo, v24, v19
	v_max_i32_e32 v23, v28, v25
	v_min_i32_e32 v33, v30, v27
	v_max_i32_e32 v31, v30, v27
	v_cndmask_b32_e64 v15, v15, v27, s0
	v_cndmask_b32_e64 v17, v17, v30, s0
	v_cmp_gt_i32_e64 s0, v27, v32
	v_cndmask_b32_e64 v12, v12, v26, s1
	v_cndmask_b32_e64 v21, v22, v20, s2
	v_min_i32_e32 v25, v24, v19
	v_cndmask_b32_e32 v13, v13, v24, vcc_lo
	v_dual_cndmask_b32 v16, v16, v19 :: v_dual_and_b32 v1, 0x78, v4
	v_cndmask_b32_e64 v18, v18, v22, s2
	v_max_i32_e32 v22, v24, v19
	v_min_i32_e32 v27, v33, v23
	v_cmp_lt_i32_e64 s1, v33, v23
	v_max_i32_e32 v26, v33, v23
	v_cndmask_b32_e64 v28, v29, v31, s0
	v_cndmask_b32_e64 v29, v31, v32, s0
	v_lshlrev_b32_e32 v2, 2, v1
	v_sub_nc_u32_e32 v0, v6, v7
	v_cndmask_b32_e64 v12, v12, v20, s2
	v_cmp_lt_i32_e32 vcc_lo, v25, v21
	v_lshlrev_b32_e32 v10, 2, v7
	v_cndmask_b32_e64 v15, v15, v32, s0
	v_cmp_lt_i32_e64 s0, v27, v22
	v_cndmask_b32_e64 v17, v17, v23, s1
	v_cndmask_b32_e32 v13, v13, v21, vcc_lo
	v_cndmask_b32_e64 v14, v14, v33, s1
	v_cmp_lt_i32_e64 s1, v29, v26
	v_mad_u32_u24 v2, 0x204, v9, v2
	v_mad_u32_u24 v10, 0x204, v9, v10
	v_min_i32_e32 v0, v11, v0
	v_cndmask_b32_e32 v12, v12, v25, vcc_lo
	v_cndmask_b32_e64 v16, v16, v27, s0
	v_cndmask_b32_e64 v14, v14, v22, s0
	;; [unrolled: 1-line block ×4, first 2 shown]
	s_mov_b32 s0, exec_lo
	ds_store_2addr_b32 v2, v18, v12 offset1:1
	ds_store_2addr_b32 v2, v13, v16 offset0:2 offset1:3
	ds_store_2addr_b32 v2, v14, v17 offset0:4 offset1:5
	;; [unrolled: 1-line block ×3, first 2 shown]
	; wave barrier
	v_cmpx_lt_i32_e64 v8, v0
	s_cbranch_execz .LBB20_4
; %bb.1:
	v_lshlrev_b32_e32 v12, 2, v11
	s_delay_alu instid0(VALU_DEP_1)
	v_add3_u32 v12, v10, v12, 32
	.p2align	6
.LBB20_2:                               ; =>This Inner Loop Header: Depth=1
	v_sub_nc_u32_e32 v13, v0, v8
	s_delay_alu instid0(VALU_DEP_1) | instskip(NEXT) | instid1(VALU_DEP_1)
	v_lshrrev_b32_e32 v14, 31, v13
	v_add_nc_u32_e32 v13, v13, v14
	s_delay_alu instid0(VALU_DEP_1) | instskip(NEXT) | instid1(VALU_DEP_1)
	v_ashrrev_i32_e32 v13, 1, v13
	v_add_nc_u32_e32 v13, v13, v8
	s_delay_alu instid0(VALU_DEP_1) | instskip(SKIP_2) | instid1(VALU_DEP_3)
	v_not_b32_e32 v14, v13
	v_lshl_add_u32 v15, v13, 2, v10
	v_add_nc_u32_e32 v16, 1, v13
	v_lshl_add_u32 v14, v14, 2, v12
	ds_load_b32 v15, v15
	ds_load_b32 v14, v14
	s_waitcnt lgkmcnt(0)
	v_cmp_lt_i32_e32 vcc_lo, v14, v15
	v_cndmask_b32_e32 v8, v16, v8, vcc_lo
	v_cndmask_b32_e32 v0, v0, v13, vcc_lo
	s_delay_alu instid0(VALU_DEP_1) | instskip(SKIP_1) | instid1(SALU_CYCLE_1)
	v_cmp_ge_i32_e32 vcc_lo, v8, v0
	s_or_b32 s3, vcc_lo, s3
	s_and_not1_b32 exec_lo, exec_lo, s3
	s_cbranch_execnz .LBB20_2
; %bb.3:
	s_or_b32 exec_lo, exec_lo, s3
.LBB20_4:
	s_delay_alu instid0(SALU_CYCLE_1)
	s_or_b32 exec_lo, exec_lo, s0
	v_mul_u32_u24_e32 v0, 0x204, v9
	v_add_nc_u32_e32 v9, v7, v11
	v_lshl_add_u32 v15, v8, 2, v10
	v_add_nc_u32_e32 v11, v6, v11
	v_cmp_lt_i32_e32 vcc_lo, 7, v8
                                        ; implicit-def: $vgpr12
	s_delay_alu instid0(VALU_DEP_4) | instskip(NEXT) | instid1(VALU_DEP_3)
	v_sub_nc_u32_e32 v9, v9, v8
	v_sub_nc_u32_e32 v13, v11, v8
                                        ; implicit-def: $vgpr11
	s_delay_alu instid0(VALU_DEP_2)
	v_lshl_add_u32 v14, v9, 2, v0
	ds_load_b32 v9, v15
	ds_load_b32 v10, v14 offset:32
	v_cmp_gt_i32_e64 s1, v5, v13
	s_waitcnt lgkmcnt(0)
	v_cmp_lt_i32_e64 s0, v10, v9
	s_delay_alu instid0(VALU_DEP_1)
	s_or_b32 s0, vcc_lo, s0
	s_delay_alu instid0(VALU_DEP_2) | instid1(SALU_CYCLE_1)
	s_and_b32 vcc_lo, s1, s0
	s_delay_alu instid0(SALU_CYCLE_1) | instskip(NEXT) | instid1(SALU_CYCLE_1)
	s_xor_b32 s0, vcc_lo, -1
	s_and_saveexec_b32 s1, s0
	s_delay_alu instid0(SALU_CYCLE_1)
	s_xor_b32 s0, exec_lo, s1
	s_cbranch_execz .LBB20_6
; %bb.5:
	ds_load_b32 v12, v15 offset:4
	v_mov_b32_e32 v11, v10
                                        ; implicit-def: $vgpr14
.LBB20_6:
	s_and_not1_saveexec_b32 s0, s0
	s_cbranch_execz .LBB20_8
; %bb.7:
	ds_load_b32 v11, v14 offset:36
	s_waitcnt lgkmcnt(1)
	v_mov_b32_e32 v12, v9
.LBB20_8:
	s_or_b32 exec_lo, exec_lo, s0
	v_add_nc_u32_e32 v7, v8, v7
	v_add_nc_u32_e32 v14, 1, v13
	s_waitcnt lgkmcnt(0)
	v_cmp_lt_i32_e64 s1, v11, v12
	s_delay_alu instid0(VALU_DEP_3) | instskip(NEXT) | instid1(VALU_DEP_1)
	v_add_nc_u32_e32 v8, 1, v7
	v_dual_cndmask_b32 v8, v8, v7 :: v_dual_cndmask_b32 v7, v13, v14
                                        ; implicit-def: $vgpr13
	s_delay_alu instid0(VALU_DEP_1) | instskip(NEXT) | instid1(VALU_DEP_2)
	v_cmp_ge_i32_e64 s0, v8, v6
	v_cmp_lt_i32_e64 s2, v7, v5
	s_delay_alu instid0(VALU_DEP_2)
	s_or_b32 s0, s0, s1
	s_delay_alu instid0(VALU_DEP_1) | instid1(SALU_CYCLE_1)
	s_and_b32 s0, s2, s0
	s_delay_alu instid0(SALU_CYCLE_1) | instskip(NEXT) | instid1(SALU_CYCLE_1)
	s_xor_b32 s1, s0, -1
	s_and_saveexec_b32 s2, s1
	s_delay_alu instid0(SALU_CYCLE_1)
	s_xor_b32 s1, exec_lo, s2
	s_cbranch_execz .LBB20_10
; %bb.9:
	v_lshl_add_u32 v13, v8, 2, v0
	ds_load_b32 v13, v13 offset:4
.LBB20_10:
	s_or_saveexec_b32 s1, s1
	v_mov_b32_e32 v14, v11
	s_xor_b32 exec_lo, exec_lo, s1
	s_cbranch_execz .LBB20_12
; %bb.11:
	s_waitcnt lgkmcnt(0)
	v_lshl_add_u32 v13, v7, 2, v0
	ds_load_b32 v14, v13 offset:4
	v_mov_b32_e32 v13, v12
.LBB20_12:
	s_or_b32 exec_lo, exec_lo, s1
	v_add_nc_u32_e32 v15, 1, v8
	v_add_nc_u32_e32 v16, 1, v7
	s_waitcnt lgkmcnt(0)
	v_cmp_lt_i32_e64 s2, v14, v13
	s_delay_alu instid0(VALU_DEP_3) | instskip(NEXT) | instid1(VALU_DEP_3)
	v_cndmask_b32_e64 v8, v15, v8, s0
	v_cndmask_b32_e64 v7, v7, v16, s0
                                        ; implicit-def: $vgpr15
	s_delay_alu instid0(VALU_DEP_2) | instskip(NEXT) | instid1(VALU_DEP_2)
	v_cmp_ge_i32_e64 s1, v8, v6
	v_cmp_lt_i32_e64 s3, v7, v5
	s_delay_alu instid0(VALU_DEP_2)
	s_or_b32 s1, s1, s2
	s_delay_alu instid0(VALU_DEP_1) | instid1(SALU_CYCLE_1)
	s_and_b32 s1, s3, s1
	s_delay_alu instid0(SALU_CYCLE_1) | instskip(NEXT) | instid1(SALU_CYCLE_1)
	s_xor_b32 s2, s1, -1
	s_and_saveexec_b32 s3, s2
	s_delay_alu instid0(SALU_CYCLE_1)
	s_xor_b32 s2, exec_lo, s3
	s_cbranch_execz .LBB20_14
; %bb.13:
	v_lshl_add_u32 v15, v8, 2, v0
	ds_load_b32 v15, v15 offset:4
.LBB20_14:
	s_or_saveexec_b32 s2, s2
	v_mov_b32_e32 v16, v14
	s_xor_b32 exec_lo, exec_lo, s2
	s_cbranch_execz .LBB20_16
; %bb.15:
	s_waitcnt lgkmcnt(0)
	v_lshl_add_u32 v15, v7, 2, v0
	ds_load_b32 v16, v15 offset:4
	v_mov_b32_e32 v15, v13
.LBB20_16:
	s_or_b32 exec_lo, exec_lo, s2
	v_add_nc_u32_e32 v17, 1, v8
	v_add_nc_u32_e32 v18, 1, v7
	s_waitcnt lgkmcnt(0)
	v_cmp_lt_i32_e64 s3, v16, v15
	s_delay_alu instid0(VALU_DEP_3) | instskip(NEXT) | instid1(VALU_DEP_3)
	v_cndmask_b32_e64 v8, v17, v8, s1
	v_cndmask_b32_e64 v7, v7, v18, s1
                                        ; implicit-def: $vgpr17
	s_delay_alu instid0(VALU_DEP_2) | instskip(NEXT) | instid1(VALU_DEP_2)
	v_cmp_ge_i32_e64 s2, v8, v6
	v_cmp_lt_i32_e64 s4, v7, v5
	s_delay_alu instid0(VALU_DEP_2)
	s_or_b32 s2, s2, s3
	s_delay_alu instid0(VALU_DEP_1) | instid1(SALU_CYCLE_1)
	s_and_b32 s2, s4, s2
	s_delay_alu instid0(SALU_CYCLE_1) | instskip(NEXT) | instid1(SALU_CYCLE_1)
	s_xor_b32 s3, s2, -1
	s_and_saveexec_b32 s4, s3
	s_delay_alu instid0(SALU_CYCLE_1)
	s_xor_b32 s3, exec_lo, s4
	s_cbranch_execz .LBB20_18
; %bb.17:
	v_lshl_add_u32 v17, v8, 2, v0
	ds_load_b32 v17, v17 offset:4
.LBB20_18:
	s_or_saveexec_b32 s3, s3
	v_mov_b32_e32 v18, v16
	s_xor_b32 exec_lo, exec_lo, s3
	s_cbranch_execz .LBB20_20
; %bb.19:
	s_waitcnt lgkmcnt(0)
	v_lshl_add_u32 v17, v7, 2, v0
	ds_load_b32 v18, v17 offset:4
	v_mov_b32_e32 v17, v15
.LBB20_20:
	s_or_b32 exec_lo, exec_lo, s3
	v_add_nc_u32_e32 v19, 1, v8
	v_add_nc_u32_e32 v21, 1, v7
	s_waitcnt lgkmcnt(0)
	v_cmp_lt_i32_e64 s4, v18, v17
	s_delay_alu instid0(VALU_DEP_3) | instskip(NEXT) | instid1(VALU_DEP_3)
	v_cndmask_b32_e64 v20, v19, v8, s2
	v_cndmask_b32_e64 v19, v7, v21, s2
                                        ; implicit-def: $vgpr7
	s_delay_alu instid0(VALU_DEP_2) | instskip(NEXT) | instid1(VALU_DEP_2)
	v_cmp_ge_i32_e64 s3, v20, v6
	v_cmp_lt_i32_e64 s5, v19, v5
	s_delay_alu instid0(VALU_DEP_2)
	s_or_b32 s3, s3, s4
	s_delay_alu instid0(VALU_DEP_1) | instid1(SALU_CYCLE_1)
	s_and_b32 s3, s5, s3
	s_delay_alu instid0(SALU_CYCLE_1) | instskip(NEXT) | instid1(SALU_CYCLE_1)
	s_xor_b32 s4, s3, -1
	s_and_saveexec_b32 s5, s4
	s_delay_alu instid0(SALU_CYCLE_1)
	s_xor_b32 s4, exec_lo, s5
	s_cbranch_execz .LBB20_22
; %bb.21:
	v_lshl_add_u32 v7, v20, 2, v0
	ds_load_b32 v7, v7 offset:4
.LBB20_22:
	s_or_saveexec_b32 s4, s4
	v_mov_b32_e32 v8, v18
	s_xor_b32 exec_lo, exec_lo, s4
	s_cbranch_execz .LBB20_24
; %bb.23:
	s_waitcnt lgkmcnt(0)
	v_lshl_add_u32 v7, v19, 2, v0
	ds_load_b32 v8, v7 offset:4
	v_mov_b32_e32 v7, v17
.LBB20_24:
	s_or_b32 exec_lo, exec_lo, s4
	v_add_nc_u32_e32 v21, 1, v20
	v_add_nc_u32_e32 v23, 1, v19
	s_waitcnt lgkmcnt(0)
	v_cmp_lt_i32_e64 s5, v8, v7
	s_delay_alu instid0(VALU_DEP_3) | instskip(NEXT) | instid1(VALU_DEP_3)
	v_cndmask_b32_e64 v22, v21, v20, s3
	v_cndmask_b32_e64 v19, v19, v23, s3
                                        ; implicit-def: $vgpr20
	s_delay_alu instid0(VALU_DEP_2) | instskip(NEXT) | instid1(VALU_DEP_2)
	v_cmp_ge_i32_e64 s4, v22, v6
	v_cmp_lt_i32_e64 s6, v19, v5
	s_delay_alu instid0(VALU_DEP_2)
	s_or_b32 s4, s4, s5
	s_delay_alu instid0(VALU_DEP_1) | instid1(SALU_CYCLE_1)
	s_and_b32 s4, s6, s4
	s_delay_alu instid0(SALU_CYCLE_1) | instskip(NEXT) | instid1(SALU_CYCLE_1)
	s_xor_b32 s5, s4, -1
	s_and_saveexec_b32 s6, s5
	s_delay_alu instid0(SALU_CYCLE_1)
	s_xor_b32 s5, exec_lo, s6
	s_cbranch_execz .LBB20_26
; %bb.25:
	v_lshl_add_u32 v20, v22, 2, v0
	ds_load_b32 v20, v20 offset:4
.LBB20_26:
	s_or_saveexec_b32 s5, s5
	v_mov_b32_e32 v21, v8
	s_xor_b32 exec_lo, exec_lo, s5
	s_cbranch_execz .LBB20_28
; %bb.27:
	s_waitcnt lgkmcnt(0)
	v_lshl_add_u32 v20, v19, 2, v0
	ds_load_b32 v21, v20 offset:4
	v_mov_b32_e32 v20, v7
.LBB20_28:
	s_or_b32 exec_lo, exec_lo, s5
	v_add_nc_u32_e32 v23, 1, v22
	v_add_nc_u32_e32 v24, 1, v19
	s_waitcnt lgkmcnt(0)
	v_cmp_lt_i32_e64 s6, v21, v20
	s_delay_alu instid0(VALU_DEP_3) | instskip(NEXT) | instid1(VALU_DEP_3)
	v_cndmask_b32_e64 v23, v23, v22, s4
	v_cndmask_b32_e64 v24, v19, v24, s4
                                        ; implicit-def: $vgpr22
	s_delay_alu instid0(VALU_DEP_2) | instskip(NEXT) | instid1(VALU_DEP_2)
	v_cmp_ge_i32_e64 s5, v23, v6
	v_cmp_lt_i32_e64 s7, v24, v5
	s_delay_alu instid0(VALU_DEP_2)
	s_or_b32 s5, s5, s6
	s_delay_alu instid0(VALU_DEP_1) | instid1(SALU_CYCLE_1)
	s_and_b32 s5, s7, s5
	s_delay_alu instid0(SALU_CYCLE_1) | instskip(NEXT) | instid1(SALU_CYCLE_1)
	s_xor_b32 s6, s5, -1
	s_and_saveexec_b32 s7, s6
	s_delay_alu instid0(SALU_CYCLE_1)
	s_xor_b32 s6, exec_lo, s7
	s_cbranch_execz .LBB20_30
; %bb.29:
	v_lshl_add_u32 v19, v23, 2, v0
	ds_load_b32 v22, v19 offset:4
.LBB20_30:
	s_or_saveexec_b32 s6, s6
	v_mov_b32_e32 v25, v21
	s_xor_b32 exec_lo, exec_lo, s6
	s_cbranch_execz .LBB20_32
; %bb.31:
	v_lshl_add_u32 v19, v24, 2, v0
	s_waitcnt lgkmcnt(0)
	v_mov_b32_e32 v22, v20
	ds_load_b32 v25, v19 offset:4
.LBB20_32:
	s_or_b32 exec_lo, exec_lo, s6
	v_dual_cndmask_b32 v10, v9, v10 :: v_dual_add_nc_u32 v27, 1, v23
	v_add_nc_u32_e32 v26, 1, v24
	v_cndmask_b32_e64 v20, v20, v21, s5
	v_cndmask_b32_e64 v14, v13, v14, s1
	s_delay_alu instid0(VALU_DEP_4)
	v_cndmask_b32_e64 v23, v27, v23, s5
	v_cndmask_b32_e64 v11, v12, v11, s0
	;; [unrolled: 1-line block ×3, first 2 shown]
	s_waitcnt lgkmcnt(0)
	v_cmp_lt_i32_e64 s1, v25, v22
	v_cndmask_b32_e64 v24, v7, v8, s4
	v_cmp_ge_i32_e64 s0, v23, v6
	v_cndmask_b32_e64 v15, v15, v16, s2
	v_cmp_lt_i32_e32 vcc_lo, v21, v5
	v_and_b32_e32 v13, 24, v4
	v_cndmask_b32_e64 v17, v17, v18, s3
	s_or_b32 s1, s0, s1
	s_delay_alu instid0(SALU_CYCLE_1)
	s_and_b32 vcc_lo, vcc_lo, s1
	v_dual_cndmask_b32 v12, v22, v25 :: v_dual_and_b32 v19, 0x60, v4
	s_mov_b32 s1, 0
	; wave barrier
	ds_store_2addr_b32 v2, v10, v11 offset1:1
	ds_store_2addr_b32 v2, v14, v15 offset0:2 offset1:3
	ds_store_2addr_b32 v2, v17, v24 offset0:4 offset1:5
	;; [unrolled: 1-line block ×3, first 2 shown]
	v_or_b32_e32 v8, 16, v19
	v_add_nc_u32_e32 v7, 32, v19
	; wave barrier
	s_delay_alu instid0(VALU_DEP_2) | instskip(NEXT) | instid1(VALU_DEP_2)
	v_sub_nc_u32_e32 v9, v8, v19
	v_sub_nc_u32_e32 v16, v7, v8
	s_delay_alu instid0(VALU_DEP_2) | instskip(NEXT) | instid1(VALU_DEP_2)
	v_min_i32_e32 v9, v13, v9
	v_sub_nc_u32_e32 v6, v13, v16
	v_cmp_ge_i32_e64 s0, v13, v16
	s_delay_alu instid0(VALU_DEP_1) | instskip(SKIP_2) | instid1(VALU_DEP_2)
	v_cndmask_b32_e64 v5, 0, v6, s0
	v_lshl_add_u32 v6, v19, 2, v0
	s_mov_b32 s0, exec_lo
	v_cmpx_lt_i32_e64 v5, v9
	s_cbranch_execz .LBB20_36
; %bb.33:
	v_lshlrev_b32_e32 v10, 2, v13
	s_delay_alu instid0(VALU_DEP_1)
	v_add3_u32 v10, v6, v10, 64
	.p2align	6
.LBB20_34:                              ; =>This Inner Loop Header: Depth=1
	v_sub_nc_u32_e32 v11, v9, v5
	s_delay_alu instid0(VALU_DEP_1) | instskip(NEXT) | instid1(VALU_DEP_1)
	v_lshrrev_b32_e32 v12, 31, v11
	v_add_nc_u32_e32 v11, v11, v12
	s_delay_alu instid0(VALU_DEP_1) | instskip(NEXT) | instid1(VALU_DEP_1)
	v_ashrrev_i32_e32 v11, 1, v11
	v_add_nc_u32_e32 v11, v11, v5
	s_delay_alu instid0(VALU_DEP_1) | instskip(SKIP_2) | instid1(VALU_DEP_3)
	v_not_b32_e32 v12, v11
	v_lshl_add_u32 v14, v11, 2, v6
	v_add_nc_u32_e32 v15, 1, v11
	v_lshl_add_u32 v12, v12, 2, v10
	ds_load_b32 v14, v14
	ds_load_b32 v12, v12
	s_waitcnt lgkmcnt(0)
	v_cmp_lt_i32_e32 vcc_lo, v12, v14
	v_cndmask_b32_e32 v9, v9, v11, vcc_lo
	v_cndmask_b32_e32 v5, v15, v5, vcc_lo
	s_delay_alu instid0(VALU_DEP_1) | instskip(SKIP_1) | instid1(SALU_CYCLE_1)
	v_cmp_ge_i32_e32 vcc_lo, v5, v9
	s_or_b32 s1, vcc_lo, s1
	s_and_not1_b32 exec_lo, exec_lo, s1
	s_cbranch_execnz .LBB20_34
; %bb.35:
	s_or_b32 exec_lo, exec_lo, s1
.LBB20_36:
	s_delay_alu instid0(SALU_CYCLE_1) | instskip(SKIP_4) | instid1(VALU_DEP_4)
	s_or_b32 exec_lo, exec_lo, s0
	v_add_nc_u32_e32 v9, v19, v13
	v_lshl_add_u32 v15, v5, 2, v6
	v_add_nc_u32_e32 v6, v8, v13
	v_cmp_lt_i32_e32 vcc_lo, 15, v5
                                        ; implicit-def: $vgpr11
                                        ; implicit-def: $vgpr12
	v_sub_nc_u32_e32 v9, v9, v5
	s_delay_alu instid0(VALU_DEP_3) | instskip(NEXT) | instid1(VALU_DEP_2)
	v_sub_nc_u32_e32 v6, v6, v5
	v_lshl_add_u32 v14, v9, 2, v0
	ds_load_b32 v9, v15
	ds_load_b32 v10, v14 offset:64
	v_cmp_gt_i32_e64 s1, v7, v6
	s_waitcnt lgkmcnt(0)
	v_cmp_lt_i32_e64 s0, v10, v9
	s_delay_alu instid0(VALU_DEP_1)
	s_or_b32 s0, vcc_lo, s0
	s_delay_alu instid0(VALU_DEP_2) | instid1(SALU_CYCLE_1)
	s_and_b32 vcc_lo, s1, s0
	s_delay_alu instid0(SALU_CYCLE_1) | instskip(NEXT) | instid1(SALU_CYCLE_1)
	s_xor_b32 s0, vcc_lo, -1
	s_and_saveexec_b32 s1, s0
	s_delay_alu instid0(SALU_CYCLE_1)
	s_xor_b32 s0, exec_lo, s1
	s_cbranch_execz .LBB20_38
; %bb.37:
	ds_load_b32 v12, v15 offset:4
	v_mov_b32_e32 v11, v10
                                        ; implicit-def: $vgpr14
.LBB20_38:
	s_and_not1_saveexec_b32 s0, s0
	s_cbranch_execz .LBB20_40
; %bb.39:
	ds_load_b32 v11, v14 offset:68
	s_waitcnt lgkmcnt(1)
	v_mov_b32_e32 v12, v9
.LBB20_40:
	s_or_b32 exec_lo, exec_lo, s0
	v_add_nc_u32_e32 v5, v5, v19
	s_waitcnt lgkmcnt(0)
	s_delay_alu instid0(VALU_DEP_2) | instskip(NEXT) | instid1(VALU_DEP_2)
	v_cmp_lt_i32_e64 s1, v11, v12
	v_add_nc_u32_e32 v13, 1, v5
	s_delay_alu instid0(VALU_DEP_1) | instskip(NEXT) | instid1(VALU_DEP_1)
	v_dual_cndmask_b32 v15, v13, v5 :: v_dual_add_nc_u32 v14, 1, v6
	v_cndmask_b32_e32 v5, v6, v14, vcc_lo
                                        ; implicit-def: $vgpr13
	s_delay_alu instid0(VALU_DEP_2) | instskip(NEXT) | instid1(VALU_DEP_2)
	v_cmp_ge_i32_e64 s0, v15, v8
	v_cmp_lt_i32_e64 s2, v5, v7
	s_delay_alu instid0(VALU_DEP_2)
	s_or_b32 s0, s0, s1
	s_delay_alu instid0(VALU_DEP_1) | instid1(SALU_CYCLE_1)
	s_and_b32 s0, s2, s0
	s_delay_alu instid0(SALU_CYCLE_1) | instskip(NEXT) | instid1(SALU_CYCLE_1)
	s_xor_b32 s1, s0, -1
	s_and_saveexec_b32 s2, s1
	s_delay_alu instid0(SALU_CYCLE_1)
	s_xor_b32 s1, exec_lo, s2
	s_cbranch_execz .LBB20_42
; %bb.41:
	v_lshl_add_u32 v6, v15, 2, v0
	ds_load_b32 v13, v6 offset:4
.LBB20_42:
	s_or_saveexec_b32 s1, s1
	v_mov_b32_e32 v14, v11
	s_xor_b32 exec_lo, exec_lo, s1
	s_cbranch_execz .LBB20_44
; %bb.43:
	v_lshl_add_u32 v6, v5, 2, v0
	s_waitcnt lgkmcnt(0)
	v_mov_b32_e32 v13, v12
	ds_load_b32 v14, v6 offset:4
.LBB20_44:
	s_or_b32 exec_lo, exec_lo, s1
	v_add_nc_u32_e32 v6, 1, v15
	v_add_nc_u32_e32 v16, 1, v5
	s_waitcnt lgkmcnt(0)
	v_cmp_lt_i32_e64 s2, v14, v13
	s_delay_alu instid0(VALU_DEP_3) | instskip(NEXT) | instid1(VALU_DEP_3)
	v_cndmask_b32_e64 v6, v6, v15, s0
	v_cndmask_b32_e64 v5, v5, v16, s0
                                        ; implicit-def: $vgpr15
	s_delay_alu instid0(VALU_DEP_2) | instskip(NEXT) | instid1(VALU_DEP_2)
	v_cmp_ge_i32_e64 s1, v6, v8
	v_cmp_lt_i32_e64 s3, v5, v7
	s_delay_alu instid0(VALU_DEP_2)
	s_or_b32 s1, s1, s2
	s_delay_alu instid0(VALU_DEP_1) | instid1(SALU_CYCLE_1)
	s_and_b32 s1, s3, s1
	s_delay_alu instid0(SALU_CYCLE_1) | instskip(NEXT) | instid1(SALU_CYCLE_1)
	s_xor_b32 s2, s1, -1
	s_and_saveexec_b32 s3, s2
	s_delay_alu instid0(SALU_CYCLE_1)
	s_xor_b32 s2, exec_lo, s3
	s_cbranch_execz .LBB20_46
; %bb.45:
	v_lshl_add_u32 v15, v6, 2, v0
	ds_load_b32 v15, v15 offset:4
.LBB20_46:
	s_or_saveexec_b32 s2, s2
	v_mov_b32_e32 v16, v14
	s_xor_b32 exec_lo, exec_lo, s2
	s_cbranch_execz .LBB20_48
; %bb.47:
	s_waitcnt lgkmcnt(0)
	v_lshl_add_u32 v15, v5, 2, v0
	ds_load_b32 v16, v15 offset:4
	v_mov_b32_e32 v15, v13
.LBB20_48:
	s_or_b32 exec_lo, exec_lo, s2
	v_add_nc_u32_e32 v17, 1, v6
	v_add_nc_u32_e32 v18, 1, v5
	s_waitcnt lgkmcnt(0)
	v_cmp_lt_i32_e64 s3, v16, v15
	s_delay_alu instid0(VALU_DEP_3) | instskip(NEXT) | instid1(VALU_DEP_3)
	v_cndmask_b32_e64 v6, v17, v6, s1
	v_cndmask_b32_e64 v5, v5, v18, s1
                                        ; implicit-def: $vgpr17
	s_delay_alu instid0(VALU_DEP_2) | instskip(NEXT) | instid1(VALU_DEP_2)
	v_cmp_ge_i32_e64 s2, v6, v8
	v_cmp_lt_i32_e64 s4, v5, v7
	s_delay_alu instid0(VALU_DEP_2)
	s_or_b32 s2, s2, s3
	s_delay_alu instid0(VALU_DEP_1) | instid1(SALU_CYCLE_1)
	s_and_b32 s2, s4, s2
	s_delay_alu instid0(SALU_CYCLE_1) | instskip(NEXT) | instid1(SALU_CYCLE_1)
	s_xor_b32 s3, s2, -1
	s_and_saveexec_b32 s4, s3
	s_delay_alu instid0(SALU_CYCLE_1)
	s_xor_b32 s3, exec_lo, s4
	s_cbranch_execz .LBB20_50
; %bb.49:
	v_lshl_add_u32 v17, v6, 2, v0
	ds_load_b32 v17, v17 offset:4
.LBB20_50:
	s_or_saveexec_b32 s3, s3
	v_mov_b32_e32 v18, v16
	s_xor_b32 exec_lo, exec_lo, s3
	s_cbranch_execz .LBB20_52
; %bb.51:
	s_waitcnt lgkmcnt(0)
	v_lshl_add_u32 v17, v5, 2, v0
	ds_load_b32 v18, v17 offset:4
	v_mov_b32_e32 v17, v15
.LBB20_52:
	s_or_b32 exec_lo, exec_lo, s3
	v_add_nc_u32_e32 v19, 1, v6
	v_add_nc_u32_e32 v21, 1, v5
	s_waitcnt lgkmcnt(0)
	v_cmp_lt_i32_e64 s4, v18, v17
	s_delay_alu instid0(VALU_DEP_3) | instskip(NEXT) | instid1(VALU_DEP_3)
	v_cndmask_b32_e64 v20, v19, v6, s2
	v_cndmask_b32_e64 v19, v5, v21, s2
                                        ; implicit-def: $vgpr5
	s_delay_alu instid0(VALU_DEP_2) | instskip(NEXT) | instid1(VALU_DEP_2)
	v_cmp_ge_i32_e64 s3, v20, v8
	v_cmp_lt_i32_e64 s5, v19, v7
	s_delay_alu instid0(VALU_DEP_2)
	s_or_b32 s3, s3, s4
	s_delay_alu instid0(VALU_DEP_1) | instid1(SALU_CYCLE_1)
	s_and_b32 s3, s5, s3
	s_delay_alu instid0(SALU_CYCLE_1) | instskip(NEXT) | instid1(SALU_CYCLE_1)
	s_xor_b32 s4, s3, -1
	s_and_saveexec_b32 s5, s4
	s_delay_alu instid0(SALU_CYCLE_1)
	s_xor_b32 s4, exec_lo, s5
	s_cbranch_execz .LBB20_54
; %bb.53:
	v_lshl_add_u32 v5, v20, 2, v0
	ds_load_b32 v5, v5 offset:4
.LBB20_54:
	s_or_saveexec_b32 s4, s4
	v_mov_b32_e32 v6, v18
	s_xor_b32 exec_lo, exec_lo, s4
	s_cbranch_execz .LBB20_56
; %bb.55:
	s_waitcnt lgkmcnt(0)
	v_lshl_add_u32 v5, v19, 2, v0
	ds_load_b32 v6, v5 offset:4
	v_mov_b32_e32 v5, v17
.LBB20_56:
	s_or_b32 exec_lo, exec_lo, s4
	v_add_nc_u32_e32 v21, 1, v20
	v_add_nc_u32_e32 v23, 1, v19
	s_waitcnt lgkmcnt(0)
	v_cmp_lt_i32_e64 s5, v6, v5
	s_delay_alu instid0(VALU_DEP_3) | instskip(NEXT) | instid1(VALU_DEP_3)
	v_cndmask_b32_e64 v22, v21, v20, s3
	v_cndmask_b32_e64 v19, v19, v23, s3
                                        ; implicit-def: $vgpr20
	s_delay_alu instid0(VALU_DEP_2) | instskip(NEXT) | instid1(VALU_DEP_2)
	v_cmp_ge_i32_e64 s4, v22, v8
	v_cmp_lt_i32_e64 s6, v19, v7
	s_delay_alu instid0(VALU_DEP_2)
	s_or_b32 s4, s4, s5
	s_delay_alu instid0(VALU_DEP_1) | instid1(SALU_CYCLE_1)
	s_and_b32 s4, s6, s4
	s_delay_alu instid0(SALU_CYCLE_1) | instskip(NEXT) | instid1(SALU_CYCLE_1)
	s_xor_b32 s5, s4, -1
	s_and_saveexec_b32 s6, s5
	s_delay_alu instid0(SALU_CYCLE_1)
	s_xor_b32 s5, exec_lo, s6
	s_cbranch_execz .LBB20_58
; %bb.57:
	v_lshl_add_u32 v20, v22, 2, v0
	ds_load_b32 v20, v20 offset:4
.LBB20_58:
	s_or_saveexec_b32 s5, s5
	v_mov_b32_e32 v21, v6
	s_xor_b32 exec_lo, exec_lo, s5
	s_cbranch_execz .LBB20_60
; %bb.59:
	s_waitcnt lgkmcnt(0)
	v_lshl_add_u32 v20, v19, 2, v0
	ds_load_b32 v21, v20 offset:4
	v_mov_b32_e32 v20, v5
.LBB20_60:
	s_or_b32 exec_lo, exec_lo, s5
	v_add_nc_u32_e32 v23, 1, v22
	v_add_nc_u32_e32 v24, 1, v19
	s_waitcnt lgkmcnt(0)
	v_cmp_lt_i32_e64 s6, v21, v20
	s_delay_alu instid0(VALU_DEP_3) | instskip(NEXT) | instid1(VALU_DEP_3)
	v_cndmask_b32_e64 v23, v23, v22, s4
	v_cndmask_b32_e64 v24, v19, v24, s4
                                        ; implicit-def: $vgpr22
	s_delay_alu instid0(VALU_DEP_2) | instskip(NEXT) | instid1(VALU_DEP_2)
	v_cmp_ge_i32_e64 s5, v23, v8
	v_cmp_lt_i32_e64 s7, v24, v7
	s_delay_alu instid0(VALU_DEP_2)
	s_or_b32 s5, s5, s6
	s_delay_alu instid0(VALU_DEP_1) | instid1(SALU_CYCLE_1)
	s_and_b32 s5, s7, s5
	s_delay_alu instid0(SALU_CYCLE_1) | instskip(NEXT) | instid1(SALU_CYCLE_1)
	s_xor_b32 s6, s5, -1
	s_and_saveexec_b32 s7, s6
	s_delay_alu instid0(SALU_CYCLE_1)
	s_xor_b32 s6, exec_lo, s7
	s_cbranch_execz .LBB20_62
; %bb.61:
	v_lshl_add_u32 v19, v23, 2, v0
	ds_load_b32 v22, v19 offset:4
.LBB20_62:
	s_or_saveexec_b32 s6, s6
	v_mov_b32_e32 v25, v21
	s_xor_b32 exec_lo, exec_lo, s6
	s_cbranch_execz .LBB20_64
; %bb.63:
	v_lshl_add_u32 v19, v24, 2, v0
	s_waitcnt lgkmcnt(0)
	v_mov_b32_e32 v22, v20
	ds_load_b32 v25, v19 offset:4
.LBB20_64:
	s_or_b32 exec_lo, exec_lo, s6
	v_add_nc_u32_e32 v26, 1, v24
	v_add_nc_u32_e32 v27, 1, v23
	v_and_b32_e32 v19, 64, v4
	v_cndmask_b32_e64 v20, v20, v21, s5
	v_cndmask_b32_e64 v14, v13, v14, s1
	v_cndmask_b32_e64 v21, v24, v26, s5
	v_cndmask_b32_e64 v23, v27, v23, s5
	v_cndmask_b32_e64 v24, v5, v6, s4
	v_or_b32_e32 v6, 32, v19
	v_add_nc_u32_e32 v5, 64, v19
	v_and_b32_e32 v13, 56, v4
	v_cndmask_b32_e64 v11, v12, v11, s0
	v_cmp_ge_i32_e64 s0, v23, v8
	v_cndmask_b32_e32 v8, v9, v10, vcc_lo
	v_sub_nc_u32_e32 v4, v5, v6
	s_waitcnt lgkmcnt(0)
	v_cmp_lt_i32_e64 s1, v25, v22
	v_sub_nc_u32_e32 v12, v6, v19
	v_cmp_lt_i32_e32 vcc_lo, v21, v7
	v_cndmask_b32_e64 v15, v15, v16, s2
	v_sub_nc_u32_e32 v9, v13, v4
	s_or_b32 s1, s0, s1
	v_cmp_ge_i32_e64 s0, v13, v4
	v_min_i32_e32 v7, v13, v12
	v_lshl_add_u32 v4, v19, 2, v0
	s_and_b32 vcc_lo, vcc_lo, s1
	v_cndmask_b32_e64 v17, v17, v18, s3
	v_cndmask_b32_e64 v10, 0, v9, s0
	v_cndmask_b32_e32 v9, v22, v25, vcc_lo
	s_mov_b32 s1, 0
	s_mov_b32 s0, exec_lo
	; wave barrier
	ds_store_2addr_b32 v2, v8, v11 offset1:1
	ds_store_2addr_b32 v2, v14, v15 offset0:2 offset1:3
	ds_store_2addr_b32 v2, v17, v24 offset0:4 offset1:5
	;; [unrolled: 1-line block ×3, first 2 shown]
	; wave barrier
	v_cmpx_lt_i32_e64 v10, v7
	s_cbranch_execz .LBB20_68
; %bb.65:
	v_lshlrev_b32_e32 v8, 2, v13
	s_delay_alu instid0(VALU_DEP_1)
	v_add3_u32 v8, v4, v8, 0x80
	.p2align	6
.LBB20_66:                              ; =>This Inner Loop Header: Depth=1
	v_sub_nc_u32_e32 v9, v7, v10
	s_delay_alu instid0(VALU_DEP_1) | instskip(NEXT) | instid1(VALU_DEP_1)
	v_lshrrev_b32_e32 v11, 31, v9
	v_add_nc_u32_e32 v9, v9, v11
	s_delay_alu instid0(VALU_DEP_1) | instskip(NEXT) | instid1(VALU_DEP_1)
	v_ashrrev_i32_e32 v9, 1, v9
	v_add_nc_u32_e32 v9, v9, v10
	s_delay_alu instid0(VALU_DEP_1) | instskip(SKIP_2) | instid1(VALU_DEP_3)
	v_not_b32_e32 v11, v9
	v_lshl_add_u32 v12, v9, 2, v4
	v_add_nc_u32_e32 v14, 1, v9
	v_lshl_add_u32 v11, v11, 2, v8
	ds_load_b32 v12, v12
	ds_load_b32 v11, v11
	s_waitcnt lgkmcnt(0)
	v_cmp_lt_i32_e32 vcc_lo, v11, v12
	v_dual_cndmask_b32 v10, v14, v10 :: v_dual_cndmask_b32 v7, v7, v9
	s_delay_alu instid0(VALU_DEP_1) | instskip(SKIP_1) | instid1(SALU_CYCLE_1)
	v_cmp_ge_i32_e32 vcc_lo, v10, v7
	s_or_b32 s1, vcc_lo, s1
	s_and_not1_b32 exec_lo, exec_lo, s1
	s_cbranch_execnz .LBB20_66
; %bb.67:
	s_or_b32 exec_lo, exec_lo, s1
.LBB20_68:
	s_delay_alu instid0(SALU_CYCLE_1) | instskip(SKIP_4) | instid1(VALU_DEP_4)
	s_or_b32 exec_lo, exec_lo, s0
	v_add_nc_u32_e32 v7, v19, v13
	v_lshl_add_u32 v14, v10, 2, v4
	v_add_nc_u32_e32 v8, v6, v13
	v_cmp_lt_i32_e32 vcc_lo, 31, v10
                                        ; implicit-def: $vgpr9
	v_sub_nc_u32_e32 v7, v7, v10
	s_delay_alu instid0(VALU_DEP_3) | instskip(NEXT) | instid1(VALU_DEP_2)
	v_sub_nc_u32_e32 v11, v8, v10
                                        ; implicit-def: $vgpr8
	v_lshl_add_u32 v12, v7, 2, v0
	ds_load_b32 v4, v14
	ds_load_b32 v7, v12 offset:128
	v_cmp_gt_i32_e64 s1, v5, v11
	s_waitcnt lgkmcnt(0)
	v_cmp_lt_i32_e64 s0, v7, v4
	s_delay_alu instid0(VALU_DEP_1)
	s_or_b32 s0, vcc_lo, s0
	s_delay_alu instid0(VALU_DEP_2) | instid1(SALU_CYCLE_1)
	s_and_b32 vcc_lo, s1, s0
	s_delay_alu instid0(SALU_CYCLE_1) | instskip(NEXT) | instid1(SALU_CYCLE_1)
	s_xor_b32 s0, vcc_lo, -1
	s_and_saveexec_b32 s1, s0
	s_delay_alu instid0(SALU_CYCLE_1)
	s_xor_b32 s0, exec_lo, s1
	s_cbranch_execz .LBB20_70
; %bb.69:
	ds_load_b32 v9, v14 offset:4
	v_mov_b32_e32 v8, v7
                                        ; implicit-def: $vgpr12
.LBB20_70:
	s_and_not1_saveexec_b32 s0, s0
	s_cbranch_execz .LBB20_72
; %bb.71:
	ds_load_b32 v8, v12 offset:132
	s_waitcnt lgkmcnt(1)
	v_mov_b32_e32 v9, v4
.LBB20_72:
	s_or_b32 exec_lo, exec_lo, s0
	v_add_nc_u32_e32 v10, v10, v19
	s_waitcnt lgkmcnt(0)
	s_delay_alu instid0(VALU_DEP_2) | instskip(NEXT) | instid1(VALU_DEP_2)
	v_cmp_lt_i32_e64 s1, v8, v9
	v_add_nc_u32_e32 v12, 1, v10
	s_delay_alu instid0(VALU_DEP_1) | instskip(NEXT) | instid1(VALU_DEP_1)
	v_dual_cndmask_b32 v13, v12, v10 :: v_dual_add_nc_u32 v14, 1, v11
	v_cndmask_b32_e32 v12, v11, v14, vcc_lo
                                        ; implicit-def: $vgpr10
	s_delay_alu instid0(VALU_DEP_2) | instskip(NEXT) | instid1(VALU_DEP_2)
	v_cmp_ge_i32_e64 s0, v13, v6
	v_cmp_lt_i32_e64 s2, v12, v5
	s_delay_alu instid0(VALU_DEP_2)
	s_or_b32 s0, s0, s1
	s_delay_alu instid0(VALU_DEP_1) | instid1(SALU_CYCLE_1)
	s_and_b32 s0, s2, s0
	s_delay_alu instid0(SALU_CYCLE_1) | instskip(NEXT) | instid1(SALU_CYCLE_1)
	s_xor_b32 s1, s0, -1
	s_and_saveexec_b32 s2, s1
	s_delay_alu instid0(SALU_CYCLE_1)
	s_xor_b32 s1, exec_lo, s2
	s_cbranch_execz .LBB20_74
; %bb.73:
	v_lshl_add_u32 v10, v13, 2, v0
	ds_load_b32 v10, v10 offset:4
.LBB20_74:
	s_or_saveexec_b32 s1, s1
	v_mov_b32_e32 v11, v8
	s_xor_b32 exec_lo, exec_lo, s1
	s_cbranch_execz .LBB20_76
; %bb.75:
	s_waitcnt lgkmcnt(0)
	v_lshl_add_u32 v10, v12, 2, v0
	ds_load_b32 v11, v10 offset:4
	v_mov_b32_e32 v10, v9
.LBB20_76:
	s_or_b32 exec_lo, exec_lo, s1
	v_add_nc_u32_e32 v14, 1, v13
	v_add_nc_u32_e32 v16, 1, v12
	s_waitcnt lgkmcnt(0)
	v_cmp_lt_i32_e64 s2, v11, v10
	s_delay_alu instid0(VALU_DEP_3) | instskip(NEXT) | instid1(VALU_DEP_3)
	v_cndmask_b32_e64 v15, v14, v13, s0
	v_cndmask_b32_e64 v14, v12, v16, s0
                                        ; implicit-def: $vgpr12
	s_delay_alu instid0(VALU_DEP_2) | instskip(NEXT) | instid1(VALU_DEP_2)
	v_cmp_ge_i32_e64 s1, v15, v6
	v_cmp_lt_i32_e64 s3, v14, v5
	s_delay_alu instid0(VALU_DEP_2)
	s_or_b32 s1, s1, s2
	s_delay_alu instid0(VALU_DEP_1) | instid1(SALU_CYCLE_1)
	s_and_b32 s1, s3, s1
	s_delay_alu instid0(SALU_CYCLE_1) | instskip(NEXT) | instid1(SALU_CYCLE_1)
	s_xor_b32 s2, s1, -1
	s_and_saveexec_b32 s3, s2
	s_delay_alu instid0(SALU_CYCLE_1)
	s_xor_b32 s2, exec_lo, s3
	s_cbranch_execz .LBB20_78
; %bb.77:
	v_lshl_add_u32 v12, v15, 2, v0
	ds_load_b32 v12, v12 offset:4
.LBB20_78:
	s_or_saveexec_b32 s2, s2
	v_mov_b32_e32 v13, v11
	s_xor_b32 exec_lo, exec_lo, s2
	s_cbranch_execz .LBB20_80
; %bb.79:
	s_waitcnt lgkmcnt(0)
	v_lshl_add_u32 v12, v14, 2, v0
	ds_load_b32 v13, v12 offset:4
	v_mov_b32_e32 v12, v10
.LBB20_80:
	s_or_b32 exec_lo, exec_lo, s2
	v_add_nc_u32_e32 v16, 1, v15
	v_add_nc_u32_e32 v18, 1, v14
	s_waitcnt lgkmcnt(0)
	v_cmp_lt_i32_e64 s3, v13, v12
	s_delay_alu instid0(VALU_DEP_3) | instskip(NEXT) | instid1(VALU_DEP_3)
	v_cndmask_b32_e64 v17, v16, v15, s1
	v_cndmask_b32_e64 v16, v14, v18, s1
                                        ; implicit-def: $vgpr14
	s_delay_alu instid0(VALU_DEP_2) | instskip(NEXT) | instid1(VALU_DEP_2)
	v_cmp_ge_i32_e64 s2, v17, v6
	v_cmp_lt_i32_e64 s4, v16, v5
	s_delay_alu instid0(VALU_DEP_2)
	s_or_b32 s2, s2, s3
	s_delay_alu instid0(VALU_DEP_1) | instid1(SALU_CYCLE_1)
	s_and_b32 s2, s4, s2
	s_delay_alu instid0(SALU_CYCLE_1) | instskip(NEXT) | instid1(SALU_CYCLE_1)
	s_xor_b32 s3, s2, -1
	s_and_saveexec_b32 s4, s3
	s_delay_alu instid0(SALU_CYCLE_1)
	s_xor_b32 s3, exec_lo, s4
	s_cbranch_execz .LBB20_82
; %bb.81:
	v_lshl_add_u32 v14, v17, 2, v0
	ds_load_b32 v14, v14 offset:4
.LBB20_82:
	s_or_saveexec_b32 s3, s3
	v_mov_b32_e32 v15, v13
	s_xor_b32 exec_lo, exec_lo, s3
	s_cbranch_execz .LBB20_84
; %bb.83:
	s_waitcnt lgkmcnt(0)
	v_lshl_add_u32 v14, v16, 2, v0
	ds_load_b32 v15, v14 offset:4
	v_mov_b32_e32 v14, v12
.LBB20_84:
	s_or_b32 exec_lo, exec_lo, s3
	v_add_nc_u32_e32 v18, 1, v17
	v_add_nc_u32_e32 v20, 1, v16
	s_waitcnt lgkmcnt(0)
	v_cmp_lt_i32_e64 s4, v15, v14
	s_delay_alu instid0(VALU_DEP_3) | instskip(NEXT) | instid1(VALU_DEP_3)
	v_cndmask_b32_e64 v19, v18, v17, s2
	v_cndmask_b32_e64 v18, v16, v20, s2
                                        ; implicit-def: $vgpr16
	s_delay_alu instid0(VALU_DEP_2) | instskip(NEXT) | instid1(VALU_DEP_2)
	v_cmp_ge_i32_e64 s3, v19, v6
	v_cmp_lt_i32_e64 s5, v18, v5
	s_delay_alu instid0(VALU_DEP_2)
	s_or_b32 s3, s3, s4
	s_delay_alu instid0(VALU_DEP_1) | instid1(SALU_CYCLE_1)
	s_and_b32 s3, s5, s3
	s_delay_alu instid0(SALU_CYCLE_1) | instskip(NEXT) | instid1(SALU_CYCLE_1)
	s_xor_b32 s4, s3, -1
	s_and_saveexec_b32 s5, s4
	s_delay_alu instid0(SALU_CYCLE_1)
	s_xor_b32 s4, exec_lo, s5
	s_cbranch_execz .LBB20_86
; %bb.85:
	v_lshl_add_u32 v16, v19, 2, v0
	ds_load_b32 v16, v16 offset:4
.LBB20_86:
	s_or_saveexec_b32 s4, s4
	v_mov_b32_e32 v17, v15
	s_xor_b32 exec_lo, exec_lo, s4
	s_cbranch_execz .LBB20_88
; %bb.87:
	s_waitcnt lgkmcnt(0)
	v_lshl_add_u32 v16, v18, 2, v0
	ds_load_b32 v17, v16 offset:4
	v_mov_b32_e32 v16, v14
.LBB20_88:
	s_or_b32 exec_lo, exec_lo, s4
	v_add_nc_u32_e32 v20, 1, v19
	v_add_nc_u32_e32 v22, 1, v18
	s_waitcnt lgkmcnt(0)
	v_cmp_lt_i32_e64 s5, v17, v16
	s_delay_alu instid0(VALU_DEP_3) | instskip(NEXT) | instid1(VALU_DEP_3)
	v_cndmask_b32_e64 v21, v20, v19, s3
	v_cndmask_b32_e64 v19, v18, v22, s3
                                        ; implicit-def: $vgpr18
	s_delay_alu instid0(VALU_DEP_2) | instskip(NEXT) | instid1(VALU_DEP_2)
	v_cmp_ge_i32_e64 s4, v21, v6
	v_cmp_lt_i32_e64 s6, v19, v5
	s_delay_alu instid0(VALU_DEP_2)
	s_or_b32 s4, s4, s5
	s_delay_alu instid0(VALU_DEP_1) | instid1(SALU_CYCLE_1)
	s_and_b32 s4, s6, s4
	s_delay_alu instid0(SALU_CYCLE_1) | instskip(NEXT) | instid1(SALU_CYCLE_1)
	s_xor_b32 s5, s4, -1
	s_and_saveexec_b32 s6, s5
	s_delay_alu instid0(SALU_CYCLE_1)
	s_xor_b32 s5, exec_lo, s6
	s_cbranch_execz .LBB20_90
; %bb.89:
	v_lshl_add_u32 v18, v21, 2, v0
	ds_load_b32 v18, v18 offset:4
.LBB20_90:
	s_or_saveexec_b32 s5, s5
	v_mov_b32_e32 v20, v17
	s_xor_b32 exec_lo, exec_lo, s5
	s_cbranch_execz .LBB20_92
; %bb.91:
	s_waitcnt lgkmcnt(0)
	v_lshl_add_u32 v18, v19, 2, v0
	ds_load_b32 v20, v18 offset:4
	v_mov_b32_e32 v18, v16
.LBB20_92:
	s_or_b32 exec_lo, exec_lo, s5
	v_add_nc_u32_e32 v22, 1, v21
	v_add_nc_u32_e32 v24, 1, v19
	s_waitcnt lgkmcnt(0)
	v_cmp_lt_i32_e64 s6, v20, v18
	s_delay_alu instid0(VALU_DEP_3) | instskip(NEXT) | instid1(VALU_DEP_3)
	v_cndmask_b32_e64 v23, v22, v21, s4
	v_cndmask_b32_e64 v21, v19, v24, s4
                                        ; implicit-def: $vgpr19
	s_delay_alu instid0(VALU_DEP_2) | instskip(NEXT) | instid1(VALU_DEP_2)
	v_cmp_ge_i32_e64 s5, v23, v6
	v_cmp_lt_i32_e64 s7, v21, v5
	s_delay_alu instid0(VALU_DEP_2)
	s_or_b32 s5, s5, s6
	s_delay_alu instid0(VALU_DEP_1) | instid1(SALU_CYCLE_1)
	s_and_b32 s5, s7, s5
	s_delay_alu instid0(SALU_CYCLE_1) | instskip(NEXT) | instid1(SALU_CYCLE_1)
	s_xor_b32 s6, s5, -1
	s_and_saveexec_b32 s7, s6
	s_delay_alu instid0(SALU_CYCLE_1)
	s_xor_b32 s6, exec_lo, s7
	s_cbranch_execz .LBB20_94
; %bb.93:
	v_lshl_add_u32 v19, v23, 2, v0
	ds_load_b32 v19, v19 offset:4
.LBB20_94:
	s_or_saveexec_b32 s6, s6
	v_mov_b32_e32 v22, v20
	s_xor_b32 exec_lo, exec_lo, s6
	s_cbranch_execz .LBB20_96
; %bb.95:
	s_waitcnt lgkmcnt(0)
	v_lshl_add_u32 v19, v21, 2, v0
	ds_load_b32 v22, v19 offset:4
	v_mov_b32_e32 v19, v18
.LBB20_96:
	s_or_b32 exec_lo, exec_lo, s6
	v_add_nc_u32_e32 v24, 1, v23
	v_cndmask_b32_e64 v18, v18, v20, s5
	v_add_nc_u32_e32 v20, 1, v21
	v_cndmask_b32_e64 v14, v14, v15, s3
	v_cndmask_b32_e64 v12, v12, v13, s2
	;; [unrolled: 1-line block ×5, first 2 shown]
	s_waitcnt lgkmcnt(0)
	v_cmp_lt_i32_e64 s1, v22, v19
	v_cndmask_b32_e64 v16, v16, v17, s4
	v_cmp_ge_i32_e64 s2, v15, v6
	v_cndmask_b32_e64 v6, v9, v8, s0
	v_cmp_lt_i32_e64 s0, v13, v5
	v_cndmask_b32_e32 v5, v4, v7, vcc_lo
	v_sub_nc_u32_e64 v8, v1, 64 clamp
	s_or_b32 s1, s2, s1
	v_min_i32_e32 v4, 64, v1
	s_and_b32 vcc_lo, s0, s1
	s_mov_b32 s0, exec_lo
	v_cndmask_b32_e32 v7, v19, v22, vcc_lo
	; wave barrier
	ds_store_2addr_b32 v2, v5, v6 offset1:1
	ds_store_2addr_b32 v2, v10, v12 offset0:2 offset1:3
	ds_store_2addr_b32 v2, v14, v16 offset0:4 offset1:5
	;; [unrolled: 1-line block ×3, first 2 shown]
	; wave barrier
	v_cmpx_lt_u32_e64 v8, v4
	s_cbranch_execz .LBB20_100
; %bb.97:
	v_add_nc_u32_e32 v2, 0x100, v2
	s_mov_b32 s1, 0
	.p2align	6
.LBB20_98:                              ; =>This Inner Loop Header: Depth=1
	v_sub_nc_u32_e32 v5, v4, v8
	s_delay_alu instid0(VALU_DEP_1) | instskip(NEXT) | instid1(VALU_DEP_1)
	v_lshrrev_b32_e32 v6, 31, v5
	v_add_nc_u32_e32 v5, v5, v6
	s_delay_alu instid0(VALU_DEP_1) | instskip(NEXT) | instid1(VALU_DEP_1)
	v_ashrrev_i32_e32 v5, 1, v5
	v_add_nc_u32_e32 v5, v5, v8
	s_delay_alu instid0(VALU_DEP_1) | instskip(SKIP_2) | instid1(VALU_DEP_3)
	v_not_b32_e32 v6, v5
	v_lshl_add_u32 v7, v5, 2, v0
	v_add_nc_u32_e32 v9, 1, v5
	v_lshl_add_u32 v6, v6, 2, v2
	ds_load_b32 v7, v7
	ds_load_b32 v6, v6
	s_waitcnt lgkmcnt(0)
	v_cmp_lt_i32_e32 vcc_lo, v6, v7
	v_cndmask_b32_e32 v4, v4, v5, vcc_lo
	v_cndmask_b32_e32 v8, v9, v8, vcc_lo
	s_delay_alu instid0(VALU_DEP_1) | instskip(SKIP_1) | instid1(SALU_CYCLE_1)
	v_cmp_ge_i32_e32 vcc_lo, v8, v4
	s_or_b32 s1, vcc_lo, s1
	s_and_not1_b32 exec_lo, exec_lo, s1
	s_cbranch_execnz .LBB20_98
; %bb.99:
	s_or_b32 exec_lo, exec_lo, s1
.LBB20_100:
	s_delay_alu instid0(SALU_CYCLE_1) | instskip(SKIP_3) | instid1(VALU_DEP_3)
	s_or_b32 exec_lo, exec_lo, s0
	v_sub_nc_u32_e32 v1, v1, v8
	v_lshl_add_u32 v9, v8, 2, v0
	v_cmp_lt_i32_e32 vcc_lo, 63, v8
                                        ; implicit-def: $vgpr6
                                        ; implicit-def: $vgpr7
	v_lshl_add_u32 v2, v1, 2, v0
	v_add_nc_u32_e32 v1, 64, v1
	ds_load_b32 v4, v9
	ds_load_b32 v5, v2 offset:256
	v_cmp_gt_i32_e64 s1, 0x80, v1
	s_waitcnt lgkmcnt(0)
	v_cmp_lt_i32_e64 s0, v5, v4
	s_delay_alu instid0(VALU_DEP_1)
	s_or_b32 s0, vcc_lo, s0
	s_delay_alu instid0(VALU_DEP_2) | instid1(SALU_CYCLE_1)
	s_and_b32 vcc_lo, s1, s0
	s_delay_alu instid0(SALU_CYCLE_1) | instskip(NEXT) | instid1(SALU_CYCLE_1)
	s_xor_b32 s0, vcc_lo, -1
	s_and_saveexec_b32 s1, s0
	s_delay_alu instid0(SALU_CYCLE_1)
	s_xor_b32 s0, exec_lo, s1
	s_cbranch_execz .LBB20_102
; %bb.101:
	ds_load_b32 v7, v9 offset:4
	v_mov_b32_e32 v6, v5
                                        ; implicit-def: $vgpr2
.LBB20_102:
	s_and_not1_saveexec_b32 s0, s0
	s_cbranch_execz .LBB20_104
; %bb.103:
	ds_load_b32 v6, v2 offset:260
	s_waitcnt lgkmcnt(1)
	v_mov_b32_e32 v7, v4
.LBB20_104:
	s_or_b32 exec_lo, exec_lo, s0
	v_add_nc_u32_e32 v9, 1, v1
	v_add_nc_u32_e32 v2, 1, v8
	s_waitcnt lgkmcnt(0)
	v_cmp_lt_i32_e64 s1, v6, v7
	s_delay_alu instid0(VALU_DEP_2) | instskip(NEXT) | instid1(VALU_DEP_1)
	v_dual_cndmask_b32 v1, v1, v9 :: v_dual_cndmask_b32 v2, v2, v8
                                        ; implicit-def: $vgpr8
	v_cmp_gt_i32_e64 s2, 0x80, v1
	s_delay_alu instid0(VALU_DEP_2) | instskip(NEXT) | instid1(VALU_DEP_1)
	v_cmp_lt_i32_e64 s0, 63, v2
	s_or_b32 s0, s0, s1
	s_delay_alu instid0(VALU_DEP_2) | instid1(SALU_CYCLE_1)
	s_and_b32 s0, s2, s0
	s_delay_alu instid0(SALU_CYCLE_1) | instskip(NEXT) | instid1(SALU_CYCLE_1)
	s_xor_b32 s1, s0, -1
	s_and_saveexec_b32 s2, s1
	s_delay_alu instid0(SALU_CYCLE_1)
	s_xor_b32 s1, exec_lo, s2
	s_cbranch_execz .LBB20_106
; %bb.105:
	v_lshl_add_u32 v8, v2, 2, v0
	ds_load_b32 v8, v8 offset:4
.LBB20_106:
	s_or_saveexec_b32 s1, s1
	v_mov_b32_e32 v9, v6
	s_xor_b32 exec_lo, exec_lo, s1
	s_cbranch_execz .LBB20_108
; %bb.107:
	s_waitcnt lgkmcnt(0)
	v_lshl_add_u32 v8, v1, 2, v0
	ds_load_b32 v9, v8 offset:4
	v_mov_b32_e32 v8, v7
.LBB20_108:
	s_or_b32 exec_lo, exec_lo, s1
	v_add_nc_u32_e32 v10, 1, v2
	v_add_nc_u32_e32 v11, 1, v1
	s_waitcnt lgkmcnt(0)
	v_cmp_lt_i32_e64 s2, v9, v8
	s_delay_alu instid0(VALU_DEP_3) | instskip(NEXT) | instid1(VALU_DEP_3)
	v_cndmask_b32_e64 v2, v10, v2, s0
	v_cndmask_b32_e64 v1, v1, v11, s0
                                        ; implicit-def: $vgpr10
	s_delay_alu instid0(VALU_DEP_2) | instskip(NEXT) | instid1(VALU_DEP_2)
	v_cmp_lt_i32_e64 s1, 63, v2
	v_cmp_gt_i32_e64 s3, 0x80, v1
	s_delay_alu instid0(VALU_DEP_2)
	s_or_b32 s1, s1, s2
	s_delay_alu instid0(VALU_DEP_1) | instid1(SALU_CYCLE_1)
	s_and_b32 s1, s3, s1
	s_delay_alu instid0(SALU_CYCLE_1) | instskip(NEXT) | instid1(SALU_CYCLE_1)
	s_xor_b32 s2, s1, -1
	s_and_saveexec_b32 s3, s2
	s_delay_alu instid0(SALU_CYCLE_1)
	s_xor_b32 s2, exec_lo, s3
	s_cbranch_execz .LBB20_110
; %bb.109:
	v_lshl_add_u32 v10, v2, 2, v0
	ds_load_b32 v10, v10 offset:4
.LBB20_110:
	s_or_saveexec_b32 s2, s2
	v_mov_b32_e32 v11, v9
	s_xor_b32 exec_lo, exec_lo, s2
	s_cbranch_execz .LBB20_112
; %bb.111:
	s_waitcnt lgkmcnt(0)
	v_lshl_add_u32 v10, v1, 2, v0
	ds_load_b32 v11, v10 offset:4
	v_mov_b32_e32 v10, v8
.LBB20_112:
	s_or_b32 exec_lo, exec_lo, s2
	v_add_nc_u32_e32 v12, 1, v2
	v_add_nc_u32_e32 v13, 1, v1
	s_waitcnt lgkmcnt(0)
	v_cmp_lt_i32_e64 s3, v11, v10
	s_delay_alu instid0(VALU_DEP_3) | instskip(NEXT) | instid1(VALU_DEP_3)
	v_cndmask_b32_e64 v2, v12, v2, s1
	v_cndmask_b32_e64 v1, v1, v13, s1
                                        ; implicit-def: $vgpr12
	s_delay_alu instid0(VALU_DEP_2) | instskip(NEXT) | instid1(VALU_DEP_2)
	v_cmp_lt_i32_e64 s2, 63, v2
	v_cmp_gt_i32_e64 s4, 0x80, v1
	s_delay_alu instid0(VALU_DEP_2)
	s_or_b32 s2, s2, s3
	s_delay_alu instid0(VALU_DEP_1) | instid1(SALU_CYCLE_1)
	s_and_b32 s2, s4, s2
	s_delay_alu instid0(SALU_CYCLE_1) | instskip(NEXT) | instid1(SALU_CYCLE_1)
	s_xor_b32 s3, s2, -1
	s_and_saveexec_b32 s4, s3
	s_delay_alu instid0(SALU_CYCLE_1)
	s_xor_b32 s3, exec_lo, s4
	s_cbranch_execz .LBB20_114
; %bb.113:
	v_lshl_add_u32 v12, v2, 2, v0
	ds_load_b32 v12, v12 offset:4
.LBB20_114:
	s_or_saveexec_b32 s3, s3
	v_mov_b32_e32 v13, v11
	s_xor_b32 exec_lo, exec_lo, s3
	s_cbranch_execz .LBB20_116
; %bb.115:
	s_waitcnt lgkmcnt(0)
	v_lshl_add_u32 v12, v1, 2, v0
	ds_load_b32 v13, v12 offset:4
	v_mov_b32_e32 v12, v10
.LBB20_116:
	s_or_b32 exec_lo, exec_lo, s3
	v_add_nc_u32_e32 v14, 1, v2
	v_add_nc_u32_e32 v16, 1, v1
	s_waitcnt lgkmcnt(0)
	v_cmp_lt_i32_e64 s4, v13, v12
	s_delay_alu instid0(VALU_DEP_3) | instskip(NEXT) | instid1(VALU_DEP_3)
	v_cndmask_b32_e64 v15, v14, v2, s2
	v_cndmask_b32_e64 v2, v1, v16, s2
                                        ; implicit-def: $vgpr1
	s_delay_alu instid0(VALU_DEP_2) | instskip(NEXT) | instid1(VALU_DEP_2)
	v_cmp_lt_i32_e64 s3, 63, v15
	v_cmp_gt_i32_e64 s5, 0x80, v2
	s_delay_alu instid0(VALU_DEP_2)
	s_or_b32 s3, s3, s4
	s_delay_alu instid0(VALU_DEP_1) | instid1(SALU_CYCLE_1)
	s_and_b32 s3, s5, s3
	s_delay_alu instid0(SALU_CYCLE_1) | instskip(NEXT) | instid1(SALU_CYCLE_1)
	s_xor_b32 s4, s3, -1
	s_and_saveexec_b32 s5, s4
	s_delay_alu instid0(SALU_CYCLE_1)
	s_xor_b32 s4, exec_lo, s5
	s_cbranch_execz .LBB20_118
; %bb.117:
	v_lshl_add_u32 v1, v15, 2, v0
	ds_load_b32 v1, v1 offset:4
.LBB20_118:
	s_or_saveexec_b32 s4, s4
	v_mov_b32_e32 v14, v13
	s_xor_b32 exec_lo, exec_lo, s4
	s_cbranch_execz .LBB20_120
; %bb.119:
	s_waitcnt lgkmcnt(0)
	v_lshl_add_u32 v1, v2, 2, v0
	ds_load_b32 v14, v1 offset:4
	v_mov_b32_e32 v1, v12
.LBB20_120:
	s_or_b32 exec_lo, exec_lo, s4
	v_add_nc_u32_e32 v16, 1, v15
	v_add_nc_u32_e32 v18, 1, v2
	s_waitcnt lgkmcnt(0)
	v_cmp_lt_i32_e64 s5, v14, v1
	s_delay_alu instid0(VALU_DEP_3) | instskip(NEXT) | instid1(VALU_DEP_3)
	v_cndmask_b32_e64 v17, v16, v15, s3
	v_cndmask_b32_e64 v2, v2, v18, s3
                                        ; implicit-def: $vgpr16
	s_delay_alu instid0(VALU_DEP_2) | instskip(NEXT) | instid1(VALU_DEP_2)
	v_cmp_lt_i32_e64 s4, 63, v17
	v_cmp_gt_i32_e64 s6, 0x80, v2
	s_delay_alu instid0(VALU_DEP_2)
	s_or_b32 s4, s4, s5
	s_delay_alu instid0(VALU_DEP_1) | instid1(SALU_CYCLE_1)
	s_and_b32 s4, s6, s4
	s_delay_alu instid0(SALU_CYCLE_1) | instskip(NEXT) | instid1(SALU_CYCLE_1)
	s_xor_b32 s5, s4, -1
	s_and_saveexec_b32 s6, s5
	s_delay_alu instid0(SALU_CYCLE_1)
	s_xor_b32 s5, exec_lo, s6
	s_cbranch_execz .LBB20_122
; %bb.121:
	v_lshl_add_u32 v15, v17, 2, v0
	ds_load_b32 v16, v15 offset:4
.LBB20_122:
	s_or_saveexec_b32 s5, s5
	v_mov_b32_e32 v15, v14
	s_xor_b32 exec_lo, exec_lo, s5
	s_cbranch_execz .LBB20_124
; %bb.123:
	v_lshl_add_u32 v15, v2, 2, v0
	s_waitcnt lgkmcnt(0)
	v_mov_b32_e32 v16, v1
	ds_load_b32 v15, v15 offset:4
.LBB20_124:
	s_or_b32 exec_lo, exec_lo, s5
	v_add_nc_u32_e32 v18, 1, v17
	v_add_nc_u32_e32 v19, 1, v2
	s_waitcnt lgkmcnt(0)
	v_cmp_ge_i32_e64 s6, v15, v16
	s_delay_alu instid0(VALU_DEP_3) | instskip(NEXT) | instid1(VALU_DEP_3)
	v_cndmask_b32_e64 v20, v18, v17, s4
	v_cndmask_b32_e64 v17, v2, v19, s4
                                        ; implicit-def: $vgpr18
                                        ; implicit-def: $vgpr19
	s_delay_alu instid0(VALU_DEP_2) | instskip(NEXT) | instid1(VALU_DEP_2)
	v_cmp_gt_i32_e64 s5, 64, v20
	v_cmp_lt_i32_e64 s7, 0x7f, v17
	s_delay_alu instid0(VALU_DEP_2)
	s_and_b32 s5, s5, s6
	s_delay_alu instid0(VALU_DEP_1) | instid1(SALU_CYCLE_1)
	s_or_b32 s5, s7, s5
	s_delay_alu instid0(SALU_CYCLE_1) | instskip(NEXT) | instid1(SALU_CYCLE_1)
	s_and_saveexec_b32 s6, s5
	s_xor_b32 s5, exec_lo, s6
	s_cbranch_execz .LBB20_126
; %bb.125:
	v_lshl_add_u32 v0, v20, 2, v0
	v_add_nc_u32_e32 v19, 1, v20
                                        ; implicit-def: $vgpr20
	ds_load_b32 v18, v0 offset:4
                                        ; implicit-def: $vgpr0
.LBB20_126:
	s_or_saveexec_b32 s5, s5
	v_mov_b32_e32 v2, v16
	s_xor_b32 exec_lo, exec_lo, s5
	s_cbranch_execz .LBB20_128
; %bb.127:
	v_lshl_add_u32 v0, v17, 2, v0
	v_dual_mov_b32 v2, v15 :: v_dual_add_nc_u32 v17, 1, v17
	v_mov_b32_e32 v19, v20
	s_waitcnt lgkmcnt(0)
	v_mov_b32_e32 v18, v16
	ds_load_b32 v0, v0 offset:4
	s_waitcnt lgkmcnt(0)
	v_mov_b32_e32 v15, v0
.LBB20_128:
	s_or_b32 exec_lo, exec_lo, s5
	v_cndmask_b32_e64 v0, v12, v13, s3
	v_cndmask_b32_e64 v10, v10, v11, s2
	v_cmp_lt_i32_e64 s2, 63, v19
	s_waitcnt lgkmcnt(0)
	v_cmp_lt_i32_e64 s3, v15, v18
	v_cndmask_b32_e64 v9, v8, v9, s1
	v_cmp_gt_i32_e64 s1, 0x80, v17
	v_cndmask_b32_e64 v8, v7, v6, s0
	v_dual_cndmask_b32 v7, v4, v5 :: v_dual_lshlrev_b32 v4, 2, v3
	s_or_b32 s0, s2, s3
	v_cndmask_b32_e64 v1, v1, v14, s4
	s_and_b32 vcc_lo, s1, s0
	s_add_u32 s0, s10, s12
	v_cndmask_b32_e32 v3, v18, v15, vcc_lo
	s_addc_u32 s1, s11, s13
	s_clause 0x1
	global_store_b128 v4, v[7:10], s[0:1]
	global_store_b128 v4, v[0:3], s[0:1] offset:16
	s_nop 0
	s_sendmsg sendmsg(MSG_DEALLOC_VGPRS)
	s_endpgm
	.section	.rodata,"a",@progbits
	.p2align	6, 0x0
	.amdhsa_kernel _Z9sort_keysILj256ELj16ELj8EiN10test_utils4lessEEvPKT2_PS2_T3_
		.amdhsa_group_segment_fixed_size 8256
		.amdhsa_private_segment_fixed_size 0
		.amdhsa_kernarg_size 20
		.amdhsa_user_sgpr_count 15
		.amdhsa_user_sgpr_dispatch_ptr 0
		.amdhsa_user_sgpr_queue_ptr 0
		.amdhsa_user_sgpr_kernarg_segment_ptr 1
		.amdhsa_user_sgpr_dispatch_id 0
		.amdhsa_user_sgpr_private_segment_size 0
		.amdhsa_wavefront_size32 1
		.amdhsa_uses_dynamic_stack 0
		.amdhsa_enable_private_segment 0
		.amdhsa_system_sgpr_workgroup_id_x 1
		.amdhsa_system_sgpr_workgroup_id_y 0
		.amdhsa_system_sgpr_workgroup_id_z 0
		.amdhsa_system_sgpr_workgroup_info 0
		.amdhsa_system_vgpr_workitem_id 0
		.amdhsa_next_free_vgpr 34
		.amdhsa_next_free_sgpr 16
		.amdhsa_reserve_vcc 1
		.amdhsa_float_round_mode_32 0
		.amdhsa_float_round_mode_16_64 0
		.amdhsa_float_denorm_mode_32 3
		.amdhsa_float_denorm_mode_16_64 3
		.amdhsa_dx10_clamp 1
		.amdhsa_ieee_mode 1
		.amdhsa_fp16_overflow 0
		.amdhsa_workgroup_processor_mode 1
		.amdhsa_memory_ordered 1
		.amdhsa_forward_progress 0
		.amdhsa_shared_vgpr_count 0
		.amdhsa_exception_fp_ieee_invalid_op 0
		.amdhsa_exception_fp_denorm_src 0
		.amdhsa_exception_fp_ieee_div_zero 0
		.amdhsa_exception_fp_ieee_overflow 0
		.amdhsa_exception_fp_ieee_underflow 0
		.amdhsa_exception_fp_ieee_inexact 0
		.amdhsa_exception_int_div_zero 0
	.end_amdhsa_kernel
	.section	.text._Z9sort_keysILj256ELj16ELj8EiN10test_utils4lessEEvPKT2_PS2_T3_,"axG",@progbits,_Z9sort_keysILj256ELj16ELj8EiN10test_utils4lessEEvPKT2_PS2_T3_,comdat
.Lfunc_end20:
	.size	_Z9sort_keysILj256ELj16ELj8EiN10test_utils4lessEEvPKT2_PS2_T3_, .Lfunc_end20-_Z9sort_keysILj256ELj16ELj8EiN10test_utils4lessEEvPKT2_PS2_T3_
                                        ; -- End function
	.section	.AMDGPU.csdata,"",@progbits
; Kernel info:
; codeLenInByte = 6824
; NumSgprs: 18
; NumVgprs: 34
; ScratchSize: 0
; MemoryBound: 0
; FloatMode: 240
; IeeeMode: 1
; LDSByteSize: 8256 bytes/workgroup (compile time only)
; SGPRBlocks: 2
; VGPRBlocks: 4
; NumSGPRsForWavesPerEU: 18
; NumVGPRsForWavesPerEU: 34
; Occupancy: 16
; WaveLimiterHint : 0
; COMPUTE_PGM_RSRC2:SCRATCH_EN: 0
; COMPUTE_PGM_RSRC2:USER_SGPR: 15
; COMPUTE_PGM_RSRC2:TRAP_HANDLER: 0
; COMPUTE_PGM_RSRC2:TGID_X_EN: 1
; COMPUTE_PGM_RSRC2:TGID_Y_EN: 0
; COMPUTE_PGM_RSRC2:TGID_Z_EN: 0
; COMPUTE_PGM_RSRC2:TIDIG_COMP_CNT: 0
	.section	.text._Z10sort_pairsILj256ELj16ELj8EiN10test_utils4lessEEvPKT2_PS2_T3_,"axG",@progbits,_Z10sort_pairsILj256ELj16ELj8EiN10test_utils4lessEEvPKT2_PS2_T3_,comdat
	.protected	_Z10sort_pairsILj256ELj16ELj8EiN10test_utils4lessEEvPKT2_PS2_T3_ ; -- Begin function _Z10sort_pairsILj256ELj16ELj8EiN10test_utils4lessEEvPKT2_PS2_T3_
	.globl	_Z10sort_pairsILj256ELj16ELj8EiN10test_utils4lessEEvPKT2_PS2_T3_
	.p2align	8
	.type	_Z10sort_pairsILj256ELj16ELj8EiN10test_utils4lessEEvPKT2_PS2_T3_,@function
_Z10sort_pairsILj256ELj16ELj8EiN10test_utils4lessEEvPKT2_PS2_T3_: ; @_Z10sort_pairsILj256ELj16ELj8EiN10test_utils4lessEEvPKT2_PS2_T3_
; %bb.0:
	s_load_b128 s[20:23], s[0:1], 0x0
	s_mov_b32 s1, 0
	s_lshl_b32 s0, s15, 11
	v_lshlrev_b32_e32 v5, 5, v0
	s_lshl_b64 s[24:25], s[0:1], 2
	s_mov_b32 s12, exec_lo
	s_waitcnt lgkmcnt(0)
	s_add_u32 s0, s20, s24
	s_addc_u32 s1, s21, s25
	s_clause 0x1
	global_load_b128 v[1:4], v5, s[0:1]
	global_load_b128 v[6:9], v5, s[0:1] offset:16
	s_waitcnt vmcnt(1)
	v_add_nc_u32_e32 v5, 1, v1
	v_cmp_lt_i32_e32 vcc_lo, v2, v1
	v_add_nc_u32_e32 v10, 1, v2
	v_add_nc_u32_e32 v12, 1, v4
	s_waitcnt vmcnt(0)
	v_add_nc_u32_e32 v14, 1, v7
	v_cmp_lt_i32_e64 s0, v4, v3
	v_cndmask_b32_e32 v17, v10, v5, vcc_lo
	v_cndmask_b32_e32 v5, v5, v10, vcc_lo
	v_add_nc_u32_e32 v13, 1, v6
	v_dual_cndmask_b32 v10, v1, v2 :: v_dual_cndmask_b32 v1, v2, v1
	v_cmp_lt_i32_e32 vcc_lo, v7, v6
	v_add_nc_u32_e32 v11, 1, v3
	v_add_nc_u32_e32 v15, 1, v8
	;; [unrolled: 1-line block ×3, first 2 shown]
	s_delay_alu instid0(VALU_DEP_3)
	v_cndmask_b32_e64 v2, v12, v11, s0
	v_cndmask_b32_e64 v11, v11, v12, s0
	;; [unrolled: 1-line block ×4, first 2 shown]
	v_cmp_lt_i32_e64 s0, v9, v8
	v_dual_cndmask_b32 v4, v14, v13 :: v_dual_cndmask_b32 v13, v13, v14
	v_dual_cndmask_b32 v14, v7, v6 :: v_dual_cndmask_b32 v7, v6, v7
	s_delay_alu instid0(VALU_DEP_3)
	v_cndmask_b32_e64 v18, v16, v15, s0
	v_cndmask_b32_e64 v15, v15, v16, s0
	;; [unrolled: 1-line block ×4, first 2 shown]
	v_cmp_lt_i32_e32 vcc_lo, v3, v1
	v_cmp_lt_i32_e64 s0, v7, v12
	s_delay_alu instid0(VALU_DEP_3) | instskip(SKIP_1) | instid1(VALU_DEP_3)
	v_cmp_lt_i32_e64 s1, v8, v14
	v_cndmask_b32_e32 v9, v11, v17, vcc_lo
	v_cndmask_b32_e64 v19, v13, v2, s0
	v_dual_cndmask_b32 v6, v17, v11 :: v_dual_cndmask_b32 v11, v3, v1
	v_cndmask_b32_e32 v1, v1, v3, vcc_lo
	v_cndmask_b32_e64 v2, v2, v13, s0
	v_cndmask_b32_e64 v3, v7, v12, s0
	;; [unrolled: 1-line block ×7, first 2 shown]
	v_cmp_lt_i32_e32 vcc_lo, v1, v10
	v_cmp_lt_i32_e64 s0, v12, v11
	v_cmp_lt_i32_e64 s1, v14, v3
	;; [unrolled: 1-line block ×3, first 2 shown]
	v_cndmask_b32_e32 v22, v10, v1, vcc_lo
	s_delay_alu instid0(VALU_DEP_4) | instskip(SKIP_1) | instid1(VALU_DEP_4)
	v_cndmask_b32_e64 v15, v2, v9, s0
	v_cndmask_b32_e32 v1, v1, v10, vcc_lo
	v_cndmask_b32_e64 v21, v18, v20, s2
	v_cndmask_b32_e64 v8, v9, v2, s0
	v_cndmask_b32_e64 v2, v12, v11, s0
	v_cndmask_b32_e64 v10, v11, v12, s0
	v_cndmask_b32_e64 v11, v14, v3, s1
	v_cndmask_b32_e64 v3, v3, v14, s1
	v_cndmask_b32_e64 v12, v20, v18, s2
	v_cndmask_b32_e64 v18, v16, v13, s2
	v_cndmask_b32_e64 v13, v13, v16, s2
	v_cndmask_b32_e64 v17, v4, v19, s1
	v_cndmask_b32_e64 v4, v19, v4, s1
	v_cmp_lt_i32_e64 s0, v10, v1
	v_cmp_lt_i32_e64 s1, v3, v2
	;; [unrolled: 1-line block ×3, first 2 shown]
	v_cndmask_b32_e32 v7, v6, v5, vcc_lo
	s_delay_alu instid0(VALU_DEP_4) | instskip(NEXT) | instid1(VALU_DEP_4)
	v_cndmask_b32_e64 v19, v10, v1, s0
	v_cndmask_b32_e64 v14, v4, v15, s1
	v_cndmask_b32_e64 v1, v1, v10, s0
	v_cndmask_b32_e64 v10, v15, v4, s1
	v_cndmask_b32_e64 v4, v3, v2, s1
	v_cndmask_b32_e64 v2, v2, v3, s1
	v_cndmask_b32_e64 v15, v13, v11, s2
	v_cndmask_b32_e64 v13, v11, v13, s2
	v_cndmask_b32_e64 v16, v12, v17, s2
	v_cndmask_b32_e64 v3, v17, v12, s2
	v_cmp_lt_i32_e64 s1, v1, v22
	v_cmp_lt_i32_e64 s2, v2, v19
	;; [unrolled: 1-line block ×4, first 2 shown]
	v_cndmask_b32_e64 v9, v8, v7, s0
	v_cndmask_b32_e64 v20, v22, v1, s1
	;; [unrolled: 1-line block ×13, first 2 shown]
	v_cmp_lt_i32_e64 s3, v2, v1
	v_cmp_lt_i32_e64 s4, v4, v22
	;; [unrolled: 1-line block ×3, first 2 shown]
	v_cndmask_b32_e64 v11, v10, v9, s2
	s_delay_alu instid0(VALU_DEP_4)
	v_cndmask_b32_e64 v21, v2, v1, s3
	v_cndmask_b32_e64 v23, v1, v2, s3
	v_cndmask_b32_e64 v24, v4, v22, s4
	v_cndmask_b32_e64 v4, v22, v4, s4
	v_cndmask_b32_e64 v25, v18, v3, s5
	v_cndmask_b32_e64 v3, v3, v18, s5
	v_cndmask_b32_e64 v16, v13, v17, s5
	v_cndmask_b32_e64 v17, v17, v13, s5
	v_cmp_lt_i32_e64 s5, v23, v20
	v_cmp_lt_i32_e64 s6, v4, v21
	v_cmp_lt_i32_e64 s7, v3, v24
	v_cmp_lt_i32_e64 s10, v19, v25
	v_cndmask_b32_e64 v15, v14, v11, s4
	v_cndmask_b32_e64 v2, v20, v23, s5
	;; [unrolled: 1-line block ×9, first 2 shown]
	v_cmp_lt_i32_e64 s8, v4, v20
	v_cmp_lt_i32_e64 s9, v26, v18
	v_cndmask_b32_e64 v13, v17, v15, s7
	v_cndmask_b32_e64 v22, v19, v25, s10
	v_mov_b32_e32 v30, v3
	v_cndmask_b32_e64 v23, v4, v20, s8
	v_cndmask_b32_e64 v24, v26, v18, s9
	;; [unrolled: 1-line block ×4, first 2 shown]
	v_mov_b32_e32 v18, v1
	v_cmpx_lt_i32_e64 v3, v21
; %bb.1:
	v_dual_mov_b32 v30, v21 :: v_dual_mov_b32 v21, v3
	v_mov_b32_e32 v18, v13
	v_mov_b32_e32 v13, v1
; %bb.2:
	s_or_b32 exec_lo, exec_lo, s12
	v_mbcnt_lo_u32_b32 v1, -1, 0
	v_lshrrev_b32_e32 v31, 4, v0
	s_mov_b32 s12, exec_lo
	; wave barrier
	s_delay_alu instid0(VALU_DEP_2) | instskip(SKIP_1) | instid1(VALU_DEP_2)
	v_lshlrev_b32_e32 v4, 3, v1
	v_lshlrev_b32_e32 v1, 3, v0
	v_and_b32_e32 v25, 0x70, v4
	v_and_b32_e32 v27, 8, v4
	;; [unrolled: 1-line block ×3, first 2 shown]
	s_delay_alu instid0(VALU_DEP_3) | instskip(SKIP_1) | instid1(VALU_DEP_3)
	v_or_b32_e32 v20, 8, v25
	v_add_nc_u32_e32 v19, 16, v25
	v_lshlrev_b32_e32 v34, 2, v3
	v_lshlrev_b32_e32 v35, 2, v25
	s_delay_alu instid0(VALU_DEP_4) | instskip(NEXT) | instid1(VALU_DEP_4)
	v_sub_nc_u32_e32 v32, v20, v25
	v_sub_nc_u32_e32 v26, v19, v20
	s_delay_alu instid0(VALU_DEP_2) | instskip(NEXT) | instid1(VALU_DEP_2)
	v_min_i32_e32 v33, v27, v32
	v_sub_nc_u32_e32 v0, v27, v26
	v_cmp_ge_i32_e64 s11, v27, v26
	v_mad_u32_u24 v32, 0x204, v31, v35
	s_delay_alu instid0(VALU_DEP_2)
	v_cndmask_b32_e64 v26, 0, v0, s11
	v_mad_u32_u24 v0, 0x204, v31, v34
	ds_store_2addr_b32 v0, v2, v28 offset1:1
	ds_store_2addr_b32 v0, v23, v29 offset0:2 offset1:3
	ds_store_2addr_b32 v0, v24, v21 offset0:4 offset1:5
	;; [unrolled: 1-line block ×3, first 2 shown]
	; wave barrier
	v_cmpx_lt_i32_e64 v26, v33
	s_cbranch_execz .LBB21_6
; %bb.3:
	v_lshlrev_b32_e32 v2, 2, v27
	s_mov_b32 s13, 0
	s_delay_alu instid0(VALU_DEP_1)
	v_add3_u32 v2, v32, v2, 32
	.p2align	6
.LBB21_4:                               ; =>This Inner Loop Header: Depth=1
	v_sub_nc_u32_e32 v21, v33, v26
	s_delay_alu instid0(VALU_DEP_1) | instskip(NEXT) | instid1(VALU_DEP_1)
	v_lshrrev_b32_e32 v22, 31, v21
	v_add_nc_u32_e32 v21, v21, v22
	s_delay_alu instid0(VALU_DEP_1) | instskip(NEXT) | instid1(VALU_DEP_1)
	v_ashrrev_i32_e32 v21, 1, v21
	v_add_nc_u32_e32 v21, v21, v26
	s_delay_alu instid0(VALU_DEP_1) | instskip(SKIP_2) | instid1(VALU_DEP_3)
	v_not_b32_e32 v22, v21
	v_lshl_add_u32 v23, v21, 2, v32
	v_add_nc_u32_e32 v24, 1, v21
	v_lshl_add_u32 v22, v22, 2, v2
	ds_load_b32 v23, v23
	ds_load_b32 v22, v22
	s_waitcnt lgkmcnt(0)
	v_cmp_lt_i32_e64 s11, v22, v23
	s_delay_alu instid0(VALU_DEP_1) | instskip(SKIP_1) | instid1(VALU_DEP_1)
	v_cndmask_b32_e64 v33, v33, v21, s11
	v_cndmask_b32_e64 v26, v24, v26, s11
	v_cmp_ge_i32_e64 s11, v26, v33
	s_delay_alu instid0(VALU_DEP_1) | instskip(NEXT) | instid1(SALU_CYCLE_1)
	s_or_b32 s13, s11, s13
	s_and_not1_b32 exec_lo, exec_lo, s13
	s_cbranch_execnz .LBB21_4
; %bb.5:
	s_or_b32 exec_lo, exec_lo, s13
.LBB21_6:
	s_delay_alu instid0(SALU_CYCLE_1)
	s_or_b32 exec_lo, exec_lo, s12
	v_add_nc_u32_e32 v21, v25, v27
	v_mul_u32_u24_e32 v2, 0x204, v31
	v_lshl_add_u32 v29, v26, 2, v32
	v_add_nc_u32_e32 v23, v20, v27
	v_cmp_lt_i32_e64 s11, 7, v26
	v_sub_nc_u32_e32 v21, v21, v26
                                        ; implicit-def: $vgpr24
	s_delay_alu instid0(VALU_DEP_3) | instskip(NEXT) | instid1(VALU_DEP_2)
	v_sub_nc_u32_e32 v27, v23, v26
                                        ; implicit-def: $vgpr23
	v_lshl_add_u32 v28, v21, 2, v2
	ds_load_b32 v21, v29
	ds_load_b32 v22, v28 offset:32
	v_cmp_gt_i32_e64 s13, v19, v27
	s_waitcnt lgkmcnt(0)
	v_cmp_lt_i32_e64 s12, v22, v21
	s_delay_alu instid0(VALU_DEP_1)
	s_or_b32 s11, s11, s12
	s_delay_alu instid0(VALU_DEP_2) | instid1(SALU_CYCLE_1)
	s_and_b32 s11, s13, s11
	s_delay_alu instid0(SALU_CYCLE_1) | instskip(NEXT) | instid1(SALU_CYCLE_1)
	s_xor_b32 s12, s11, -1
	s_and_saveexec_b32 s13, s12
	s_delay_alu instid0(SALU_CYCLE_1)
	s_xor_b32 s12, exec_lo, s13
	s_cbranch_execz .LBB21_8
; %bb.7:
	ds_load_b32 v24, v29 offset:4
	v_mov_b32_e32 v23, v22
                                        ; implicit-def: $vgpr28
.LBB21_8:
	s_and_not1_saveexec_b32 s12, s12
	s_cbranch_execz .LBB21_10
; %bb.9:
	ds_load_b32 v23, v28 offset:36
	s_waitcnt lgkmcnt(1)
	v_mov_b32_e32 v24, v21
.LBB21_10:
	s_or_b32 exec_lo, exec_lo, s12
	v_add_nc_u32_e32 v28, v26, v25
	v_add_nc_u32_e32 v26, 1, v27
	s_waitcnt lgkmcnt(0)
	v_cmp_lt_i32_e64 s13, v23, v24
	s_delay_alu instid0(VALU_DEP_3) | instskip(NEXT) | instid1(VALU_DEP_3)
	v_add_nc_u32_e32 v25, 1, v28
	v_cndmask_b32_e64 v30, v27, v26, s11
	s_delay_alu instid0(VALU_DEP_2) | instskip(NEXT) | instid1(VALU_DEP_2)
	v_cndmask_b32_e64 v29, v25, v28, s11
	v_cmp_lt_i32_e64 s14, v30, v19
                                        ; implicit-def: $vgpr25
	s_delay_alu instid0(VALU_DEP_2) | instskip(NEXT) | instid1(VALU_DEP_1)
	v_cmp_ge_i32_e64 s12, v29, v20
	s_or_b32 s12, s12, s13
	s_delay_alu instid0(VALU_DEP_2) | instid1(SALU_CYCLE_1)
	s_and_b32 s12, s14, s12
	s_delay_alu instid0(SALU_CYCLE_1) | instskip(NEXT) | instid1(SALU_CYCLE_1)
	s_xor_b32 s13, s12, -1
	s_and_saveexec_b32 s14, s13
	s_delay_alu instid0(SALU_CYCLE_1)
	s_xor_b32 s13, exec_lo, s14
	s_cbranch_execz .LBB21_12
; %bb.11:
	v_lshl_add_u32 v25, v29, 2, v2
	ds_load_b32 v25, v25 offset:4
.LBB21_12:
	s_or_saveexec_b32 s13, s13
	v_mov_b32_e32 v26, v23
	s_xor_b32 exec_lo, exec_lo, s13
	s_cbranch_execz .LBB21_14
; %bb.13:
	s_waitcnt lgkmcnt(0)
	v_lshl_add_u32 v25, v30, 2, v2
	ds_load_b32 v26, v25 offset:4
	v_mov_b32_e32 v25, v24
.LBB21_14:
	s_or_b32 exec_lo, exec_lo, s13
	v_add_nc_u32_e32 v31, 1, v29
	v_add_nc_u32_e32 v32, 1, v30
	s_waitcnt lgkmcnt(0)
	v_cmp_lt_i32_e64 s14, v26, v25
                                        ; implicit-def: $vgpr33
	s_delay_alu instid0(VALU_DEP_3) | instskip(NEXT) | instid1(VALU_DEP_3)
	v_cndmask_b32_e64 v31, v31, v29, s12
	v_cndmask_b32_e64 v32, v30, v32, s12
	s_delay_alu instid0(VALU_DEP_2) | instskip(NEXT) | instid1(VALU_DEP_2)
	v_cmp_ge_i32_e64 s13, v31, v20
	v_cmp_lt_i32_e64 s15, v32, v19
	s_delay_alu instid0(VALU_DEP_2)
	s_or_b32 s13, s13, s14
	s_delay_alu instid0(VALU_DEP_1) | instid1(SALU_CYCLE_1)
	s_and_b32 s13, s15, s13
	s_delay_alu instid0(SALU_CYCLE_1) | instskip(NEXT) | instid1(SALU_CYCLE_1)
	s_xor_b32 s14, s13, -1
	s_and_saveexec_b32 s15, s14
	s_delay_alu instid0(SALU_CYCLE_1)
	s_xor_b32 s14, exec_lo, s15
	s_cbranch_execz .LBB21_16
; %bb.15:
	v_lshl_add_u32 v33, v31, 2, v2
	ds_load_b32 v33, v33 offset:4
.LBB21_16:
	s_or_saveexec_b32 s14, s14
	v_mov_b32_e32 v34, v26
	s_xor_b32 exec_lo, exec_lo, s14
	s_cbranch_execz .LBB21_18
; %bb.17:
	s_waitcnt lgkmcnt(0)
	v_lshl_add_u32 v33, v32, 2, v2
	ds_load_b32 v34, v33 offset:4
	v_mov_b32_e32 v33, v25
.LBB21_18:
	s_or_b32 exec_lo, exec_lo, s14
	v_add_nc_u32_e32 v35, 1, v31
	v_add_nc_u32_e32 v36, 1, v32
	s_waitcnt lgkmcnt(0)
	v_cmp_lt_i32_e64 s15, v34, v33
                                        ; implicit-def: $vgpr37
	s_delay_alu instid0(VALU_DEP_3) | instskip(NEXT) | instid1(VALU_DEP_3)
	v_cndmask_b32_e64 v35, v35, v31, s13
	v_cndmask_b32_e64 v36, v32, v36, s13
	s_delay_alu instid0(VALU_DEP_2) | instskip(NEXT) | instid1(VALU_DEP_2)
	v_cmp_ge_i32_e64 s14, v35, v20
	v_cmp_lt_i32_e64 s16, v36, v19
	s_delay_alu instid0(VALU_DEP_2)
	s_or_b32 s14, s14, s15
	s_delay_alu instid0(VALU_DEP_1) | instid1(SALU_CYCLE_1)
	s_and_b32 s14, s16, s14
	s_delay_alu instid0(SALU_CYCLE_1) | instskip(NEXT) | instid1(SALU_CYCLE_1)
	s_xor_b32 s15, s14, -1
	s_and_saveexec_b32 s16, s15
	s_delay_alu instid0(SALU_CYCLE_1)
	s_xor_b32 s15, exec_lo, s16
	s_cbranch_execz .LBB21_20
; %bb.19:
	v_lshl_add_u32 v37, v35, 2, v2
	ds_load_b32 v37, v37 offset:4
.LBB21_20:
	s_or_saveexec_b32 s15, s15
	v_mov_b32_e32 v38, v34
	s_xor_b32 exec_lo, exec_lo, s15
	s_cbranch_execz .LBB21_22
; %bb.21:
	s_waitcnt lgkmcnt(0)
	v_lshl_add_u32 v37, v36, 2, v2
	ds_load_b32 v38, v37 offset:4
	v_mov_b32_e32 v37, v33
.LBB21_22:
	s_or_b32 exec_lo, exec_lo, s15
	v_add_nc_u32_e32 v39, 1, v35
	v_add_nc_u32_e32 v40, 1, v36
	s_waitcnt lgkmcnt(0)
	v_cmp_lt_i32_e64 s16, v38, v37
                                        ; implicit-def: $vgpr41
	s_delay_alu instid0(VALU_DEP_3) | instskip(NEXT) | instid1(VALU_DEP_3)
	v_cndmask_b32_e64 v39, v39, v35, s14
	v_cndmask_b32_e64 v40, v36, v40, s14
	s_delay_alu instid0(VALU_DEP_2) | instskip(NEXT) | instid1(VALU_DEP_2)
	v_cmp_ge_i32_e64 s15, v39, v20
	v_cmp_lt_i32_e64 s17, v40, v19
	s_delay_alu instid0(VALU_DEP_2)
	s_or_b32 s15, s15, s16
	s_delay_alu instid0(VALU_DEP_1) | instid1(SALU_CYCLE_1)
	s_and_b32 s15, s17, s15
	s_delay_alu instid0(SALU_CYCLE_1) | instskip(NEXT) | instid1(SALU_CYCLE_1)
	s_xor_b32 s16, s15, -1
	s_and_saveexec_b32 s17, s16
	s_delay_alu instid0(SALU_CYCLE_1)
	s_xor_b32 s16, exec_lo, s17
	s_cbranch_execz .LBB21_24
; %bb.23:
	v_lshl_add_u32 v41, v39, 2, v2
	ds_load_b32 v41, v41 offset:4
.LBB21_24:
	s_or_saveexec_b32 s16, s16
	v_mov_b32_e32 v42, v38
	s_xor_b32 exec_lo, exec_lo, s16
	s_cbranch_execz .LBB21_26
; %bb.25:
	s_waitcnt lgkmcnt(0)
	v_lshl_add_u32 v41, v40, 2, v2
	ds_load_b32 v42, v41 offset:4
	v_mov_b32_e32 v41, v37
.LBB21_26:
	s_or_b32 exec_lo, exec_lo, s16
	v_add_nc_u32_e32 v43, 1, v39
	v_add_nc_u32_e32 v44, 1, v40
	s_waitcnt lgkmcnt(0)
	v_cmp_lt_i32_e64 s17, v42, v41
                                        ; implicit-def: $vgpr46
	s_delay_alu instid0(VALU_DEP_3) | instskip(NEXT) | instid1(VALU_DEP_3)
	v_cndmask_b32_e64 v43, v43, v39, s15
	v_cndmask_b32_e64 v44, v40, v44, s15
	s_delay_alu instid0(VALU_DEP_2) | instskip(NEXT) | instid1(VALU_DEP_2)
	v_cmp_ge_i32_e64 s16, v43, v20
	v_cmp_lt_i32_e64 s18, v44, v19
	s_delay_alu instid0(VALU_DEP_2)
	s_or_b32 s16, s16, s17
	s_delay_alu instid0(VALU_DEP_1) | instid1(SALU_CYCLE_1)
	s_and_b32 s16, s18, s16
	s_delay_alu instid0(SALU_CYCLE_1) | instskip(NEXT) | instid1(SALU_CYCLE_1)
	s_xor_b32 s17, s16, -1
	s_and_saveexec_b32 s18, s17
	s_delay_alu instid0(SALU_CYCLE_1)
	s_xor_b32 s17, exec_lo, s18
	s_cbranch_execz .LBB21_28
; %bb.27:
	v_lshl_add_u32 v45, v43, 2, v2
	ds_load_b32 v46, v45 offset:4
.LBB21_28:
	s_or_saveexec_b32 s17, s17
	v_mov_b32_e32 v48, v42
	s_xor_b32 exec_lo, exec_lo, s17
	s_cbranch_execz .LBB21_30
; %bb.29:
	v_lshl_add_u32 v45, v44, 2, v2
	s_waitcnt lgkmcnt(0)
	v_mov_b32_e32 v46, v41
	ds_load_b32 v48, v45 offset:4
.LBB21_30:
	s_or_b32 exec_lo, exec_lo, s17
	v_add_nc_u32_e32 v45, 1, v43
	v_add_nc_u32_e32 v47, 1, v44
	s_waitcnt lgkmcnt(0)
	v_cmp_lt_i32_e64 s18, v48, v46
	s_delay_alu instid0(VALU_DEP_3) | instskip(NEXT) | instid1(VALU_DEP_3)
	v_cndmask_b32_e64 v49, v45, v43, s16
	v_cndmask_b32_e64 v50, v44, v47, s16
                                        ; implicit-def: $vgpr45
	s_delay_alu instid0(VALU_DEP_2) | instskip(NEXT) | instid1(VALU_DEP_2)
	v_cmp_ge_i32_e64 s17, v49, v20
	v_cmp_lt_i32_e64 s19, v50, v19
	s_delay_alu instid0(VALU_DEP_2)
	s_or_b32 s17, s17, s18
	s_delay_alu instid0(VALU_DEP_1) | instid1(SALU_CYCLE_1)
	s_and_b32 s17, s19, s17
	s_delay_alu instid0(SALU_CYCLE_1) | instskip(NEXT) | instid1(SALU_CYCLE_1)
	s_xor_b32 s18, s17, -1
	s_and_saveexec_b32 s19, s18
	s_delay_alu instid0(SALU_CYCLE_1)
	s_xor_b32 s18, exec_lo, s19
	s_cbranch_execz .LBB21_32
; %bb.31:
	v_lshl_add_u32 v45, v49, 2, v2
	ds_load_b32 v45, v45 offset:4
.LBB21_32:
	s_or_saveexec_b32 s18, s18
	v_mov_b32_e32 v47, v48
	s_xor_b32 exec_lo, exec_lo, s18
	s_cbranch_execz .LBB21_34
; %bb.33:
	s_waitcnt lgkmcnt(0)
	v_lshl_add_u32 v45, v50, 2, v2
	ds_load_b32 v47, v45 offset:4
	v_mov_b32_e32 v45, v46
.LBB21_34:
	s_or_b32 exec_lo, exec_lo, s18
	v_dual_cndmask_b32 v5, v5, v6 :: v_dual_add_nc_u32 v52, 1, v49
	v_cndmask_b32_e64 v6, v7, v8, s0
	v_cndmask_b32_e64 v37, v37, v38, s15
	;; [unrolled: 1-line block ×3, first 2 shown]
	v_add_nc_u32_e32 v51, 1, v50
	v_cndmask_b32_e64 v11, v11, v14, s4
	v_cndmask_b32_e64 v38, v6, v5, s1
	;; [unrolled: 1-line block ×10, first 2 shown]
	v_cmp_ge_i32_e32 vcc_lo, v49, v20
	v_cndmask_b32_e64 v28, v6, v5, s5
	v_cndmask_b32_e64 v5, v5, v6, s5
	;; [unrolled: 1-line block ×5, first 2 shown]
	s_waitcnt lgkmcnt(0)
	v_cmp_lt_i32_e64 s0, v47, v45
	v_cmp_lt_i32_e64 s1, v50, v19
	v_cndmask_b32_e64 v14, v29, v30, s12
	v_cndmask_b32_e64 v15, v9, v28, s8
	v_cndmask_b32_e64 v9, v28, v9, s8
	v_cndmask_b32_e64 v12, v12, v16, s10
	v_cndmask_b32_e64 v16, v11, v6, s9
	s_or_b32 s0, vcc_lo, s0
	v_cndmask_b32_e64 v6, v6, v11, s9
	v_cndmask_b32_e64 v31, v31, v32, s13
	;; [unrolled: 1-line block ×3, first 2 shown]
	s_and_b32 vcc_lo, s1, s0
	v_cndmask_b32_e64 v8, v39, v40, s15
	v_cndmask_b32_e32 v20, v45, v47, vcc_lo
	v_cndmask_b32_e64 v7, v43, v44, s16
	v_cndmask_b32_e32 v11, v49, v50, vcc_lo
	; wave barrier
	ds_store_2addr_b32 v0, v5, v9 offset1:1
	ds_store_2addr_b32 v0, v15, v6 offset0:2 offset1:3
	ds_store_2addr_b32 v0, v16, v13 offset0:4 offset1:5
	;; [unrolled: 1-line block ×3, first 2 shown]
	v_lshl_add_u32 v5, v27, 2, v2
	v_lshl_add_u32 v6, v14, 2, v2
	;; [unrolled: 1-line block ×5, first 2 shown]
	; wave barrier
	v_lshl_add_u32 v15, v7, 2, v2
	v_lshl_add_u32 v16, v48, 2, v2
	;; [unrolled: 1-line block ×3, first 2 shown]
	ds_load_b32 v5, v5
	ds_load_b32 v6, v6
	;; [unrolled: 1-line block ×8, first 2 shown]
	v_and_b32_e32 v19, 0x60, v4
	v_and_b32_e32 v17, 24, v4
	v_cndmask_b32_e64 v24, v24, v23, s12
	v_cndmask_b32_e64 v21, v21, v22, s11
	;; [unrolled: 1-line block ×3, first 2 shown]
	v_or_b32_e32 v14, 16, v19
	v_add_nc_u32_e32 v13, 32, v19
	v_cndmask_b32_e64 v18, v25, v26, s13
	v_cndmask_b32_e64 v41, v41, v42, s16
	s_mov_b32 s1, 0
	v_sub_nc_u32_e32 v16, v14, v19
	v_sub_nc_u32_e32 v27, v13, v14
	s_mov_b32 s0, exec_lo
	; wave barrier
	s_delay_alu instid0(VALU_DEP_2) | instskip(NEXT) | instid1(VALU_DEP_2)
	v_min_i32_e32 v16, v17, v16
	v_sub_nc_u32_e32 v15, v17, v27
	v_cmp_ge_i32_e32 vcc_lo, v17, v27
	ds_store_2addr_b32 v0, v21, v24 offset1:1
	ds_store_2addr_b32 v0, v18, v33 offset0:2 offset1:3
	ds_store_2addr_b32 v0, v37, v41 offset0:4 offset1:5
	;; [unrolled: 1-line block ×3, first 2 shown]
	; wave barrier
	v_cndmask_b32_e32 v23, 0, v15, vcc_lo
	v_lshl_add_u32 v15, v19, 2, v2
	s_delay_alu instid0(VALU_DEP_2)
	v_cmpx_lt_i32_e64 v23, v16
	s_cbranch_execz .LBB21_38
; %bb.35:
	v_lshlrev_b32_e32 v18, 2, v17
	s_delay_alu instid0(VALU_DEP_1)
	v_add3_u32 v18, v15, v18, 64
	.p2align	6
.LBB21_36:                              ; =>This Inner Loop Header: Depth=1
	v_sub_nc_u32_e32 v20, v16, v23
	s_delay_alu instid0(VALU_DEP_1) | instskip(NEXT) | instid1(VALU_DEP_1)
	v_lshrrev_b32_e32 v21, 31, v20
	v_add_nc_u32_e32 v20, v20, v21
	s_delay_alu instid0(VALU_DEP_1) | instskip(NEXT) | instid1(VALU_DEP_1)
	v_ashrrev_i32_e32 v20, 1, v20
	v_add_nc_u32_e32 v20, v20, v23
	s_delay_alu instid0(VALU_DEP_1) | instskip(SKIP_2) | instid1(VALU_DEP_3)
	v_not_b32_e32 v21, v20
	v_lshl_add_u32 v22, v20, 2, v15
	v_add_nc_u32_e32 v24, 1, v20
	v_lshl_add_u32 v21, v21, 2, v18
	ds_load_b32 v22, v22
	ds_load_b32 v21, v21
	s_waitcnt lgkmcnt(0)
	v_cmp_lt_i32_e32 vcc_lo, v21, v22
	v_cndmask_b32_e32 v16, v16, v20, vcc_lo
	v_cndmask_b32_e32 v23, v24, v23, vcc_lo
	s_delay_alu instid0(VALU_DEP_1) | instskip(SKIP_1) | instid1(SALU_CYCLE_1)
	v_cmp_ge_i32_e32 vcc_lo, v23, v16
	s_or_b32 s1, vcc_lo, s1
	s_and_not1_b32 exec_lo, exec_lo, s1
	s_cbranch_execnz .LBB21_36
; %bb.37:
	s_or_b32 exec_lo, exec_lo, s1
.LBB21_38:
	s_delay_alu instid0(SALU_CYCLE_1) | instskip(SKIP_4) | instid1(VALU_DEP_4)
	s_or_b32 exec_lo, exec_lo, s0
	v_add_nc_u32_e32 v16, v19, v17
	v_lshl_add_u32 v22, v23, 2, v15
	v_add_nc_u32_e32 v17, v14, v17
	v_cmp_lt_i32_e32 vcc_lo, 15, v23
                                        ; implicit-def: $vgpr18
	v_sub_nc_u32_e32 v16, v16, v23
	s_delay_alu instid0(VALU_DEP_3) | instskip(NEXT) | instid1(VALU_DEP_2)
	v_sub_nc_u32_e32 v20, v17, v23
                                        ; implicit-def: $vgpr17
	v_lshl_add_u32 v21, v16, 2, v2
	ds_load_b32 v15, v22
	ds_load_b32 v16, v21 offset:64
	v_cmp_gt_i32_e64 s1, v13, v20
	s_waitcnt lgkmcnt(0)
	v_cmp_lt_i32_e64 s0, v16, v15
	s_delay_alu instid0(VALU_DEP_1)
	s_or_b32 s0, vcc_lo, s0
	s_delay_alu instid0(VALU_DEP_2) | instid1(SALU_CYCLE_1)
	s_and_b32 vcc_lo, s1, s0
	s_delay_alu instid0(SALU_CYCLE_1) | instskip(NEXT) | instid1(SALU_CYCLE_1)
	s_xor_b32 s0, vcc_lo, -1
	s_and_saveexec_b32 s1, s0
	s_delay_alu instid0(SALU_CYCLE_1)
	s_xor_b32 s0, exec_lo, s1
	s_cbranch_execz .LBB21_40
; %bb.39:
	ds_load_b32 v18, v22 offset:4
	v_mov_b32_e32 v17, v16
                                        ; implicit-def: $vgpr21
.LBB21_40:
	s_and_not1_saveexec_b32 s0, s0
	s_cbranch_execz .LBB21_42
; %bb.41:
	ds_load_b32 v17, v21 offset:68
	s_waitcnt lgkmcnt(1)
	v_mov_b32_e32 v18, v15
.LBB21_42:
	s_or_b32 exec_lo, exec_lo, s0
	v_add_nc_u32_e32 v22, v23, v19
	v_add_nc_u32_e32 v21, 1, v20
	s_waitcnt lgkmcnt(0)
	v_cmp_lt_i32_e64 s1, v17, v18
	s_delay_alu instid0(VALU_DEP_2) | instskip(NEXT) | instid1(VALU_DEP_1)
	v_dual_cndmask_b32 v24, v20, v21 :: v_dual_add_nc_u32 v19, 1, v22
	v_cndmask_b32_e32 v23, v19, v22, vcc_lo
	s_delay_alu instid0(VALU_DEP_2) | instskip(NEXT) | instid1(VALU_DEP_2)
	v_cmp_lt_i32_e64 s2, v24, v13
                                        ; implicit-def: $vgpr19
	v_cmp_ge_i32_e64 s0, v23, v14
	s_delay_alu instid0(VALU_DEP_1)
	s_or_b32 s0, s0, s1
	s_delay_alu instid0(VALU_DEP_2) | instid1(SALU_CYCLE_1)
	s_and_b32 s0, s2, s0
	s_delay_alu instid0(SALU_CYCLE_1) | instskip(NEXT) | instid1(SALU_CYCLE_1)
	s_xor_b32 s1, s0, -1
	s_and_saveexec_b32 s2, s1
	s_delay_alu instid0(SALU_CYCLE_1)
	s_xor_b32 s1, exec_lo, s2
	s_cbranch_execz .LBB21_44
; %bb.43:
	v_lshl_add_u32 v19, v23, 2, v2
	ds_load_b32 v19, v19 offset:4
.LBB21_44:
	s_or_saveexec_b32 s1, s1
	v_mov_b32_e32 v21, v17
	s_xor_b32 exec_lo, exec_lo, s1
	s_cbranch_execz .LBB21_46
; %bb.45:
	s_waitcnt lgkmcnt(0)
	v_lshl_add_u32 v19, v24, 2, v2
	ds_load_b32 v21, v19 offset:4
	v_mov_b32_e32 v19, v18
.LBB21_46:
	s_or_b32 exec_lo, exec_lo, s1
	v_add_nc_u32_e32 v25, 1, v23
	v_add_nc_u32_e32 v26, 1, v24
	s_waitcnt lgkmcnt(0)
	v_cmp_lt_i32_e64 s2, v21, v19
                                        ; implicit-def: $vgpr27
	s_delay_alu instid0(VALU_DEP_3) | instskip(NEXT) | instid1(VALU_DEP_3)
	v_cndmask_b32_e64 v25, v25, v23, s0
	v_cndmask_b32_e64 v26, v24, v26, s0
	s_delay_alu instid0(VALU_DEP_2) | instskip(NEXT) | instid1(VALU_DEP_2)
	v_cmp_ge_i32_e64 s1, v25, v14
	v_cmp_lt_i32_e64 s3, v26, v13
	s_delay_alu instid0(VALU_DEP_2)
	s_or_b32 s1, s1, s2
	s_delay_alu instid0(VALU_DEP_1) | instid1(SALU_CYCLE_1)
	s_and_b32 s1, s3, s1
	s_delay_alu instid0(SALU_CYCLE_1) | instskip(NEXT) | instid1(SALU_CYCLE_1)
	s_xor_b32 s2, s1, -1
	s_and_saveexec_b32 s3, s2
	s_delay_alu instid0(SALU_CYCLE_1)
	s_xor_b32 s2, exec_lo, s3
	s_cbranch_execz .LBB21_48
; %bb.47:
	v_lshl_add_u32 v27, v25, 2, v2
	ds_load_b32 v27, v27 offset:4
.LBB21_48:
	s_or_saveexec_b32 s2, s2
	v_mov_b32_e32 v28, v21
	s_xor_b32 exec_lo, exec_lo, s2
	s_cbranch_execz .LBB21_50
; %bb.49:
	s_waitcnt lgkmcnt(0)
	v_lshl_add_u32 v27, v26, 2, v2
	ds_load_b32 v28, v27 offset:4
	v_mov_b32_e32 v27, v19
.LBB21_50:
	s_or_b32 exec_lo, exec_lo, s2
	v_add_nc_u32_e32 v29, 1, v25
	v_add_nc_u32_e32 v30, 1, v26
	s_waitcnt lgkmcnt(0)
	v_cmp_lt_i32_e64 s3, v28, v27
                                        ; implicit-def: $vgpr31
	s_delay_alu instid0(VALU_DEP_3) | instskip(NEXT) | instid1(VALU_DEP_3)
	v_cndmask_b32_e64 v29, v29, v25, s1
	v_cndmask_b32_e64 v30, v26, v30, s1
	s_delay_alu instid0(VALU_DEP_2) | instskip(NEXT) | instid1(VALU_DEP_2)
	v_cmp_ge_i32_e64 s2, v29, v14
	v_cmp_lt_i32_e64 s4, v30, v13
	s_delay_alu instid0(VALU_DEP_2)
	s_or_b32 s2, s2, s3
	s_delay_alu instid0(VALU_DEP_1) | instid1(SALU_CYCLE_1)
	s_and_b32 s2, s4, s2
	s_delay_alu instid0(SALU_CYCLE_1) | instskip(NEXT) | instid1(SALU_CYCLE_1)
	s_xor_b32 s3, s2, -1
	s_and_saveexec_b32 s4, s3
	s_delay_alu instid0(SALU_CYCLE_1)
	s_xor_b32 s3, exec_lo, s4
	s_cbranch_execz .LBB21_52
; %bb.51:
	v_lshl_add_u32 v31, v29, 2, v2
	ds_load_b32 v31, v31 offset:4
.LBB21_52:
	s_or_saveexec_b32 s3, s3
	v_mov_b32_e32 v32, v28
	s_xor_b32 exec_lo, exec_lo, s3
	s_cbranch_execz .LBB21_54
; %bb.53:
	s_waitcnt lgkmcnt(0)
	v_lshl_add_u32 v31, v30, 2, v2
	ds_load_b32 v32, v31 offset:4
	v_mov_b32_e32 v31, v27
.LBB21_54:
	s_or_b32 exec_lo, exec_lo, s3
	v_add_nc_u32_e32 v33, 1, v29
	v_add_nc_u32_e32 v34, 1, v30
	s_waitcnt lgkmcnt(0)
	v_cmp_lt_i32_e64 s4, v32, v31
                                        ; implicit-def: $vgpr35
	s_delay_alu instid0(VALU_DEP_3) | instskip(NEXT) | instid1(VALU_DEP_3)
	v_cndmask_b32_e64 v33, v33, v29, s2
	v_cndmask_b32_e64 v34, v30, v34, s2
	s_delay_alu instid0(VALU_DEP_2) | instskip(NEXT) | instid1(VALU_DEP_2)
	v_cmp_ge_i32_e64 s3, v33, v14
	v_cmp_lt_i32_e64 s5, v34, v13
	s_delay_alu instid0(VALU_DEP_2)
	s_or_b32 s3, s3, s4
	s_delay_alu instid0(VALU_DEP_1) | instid1(SALU_CYCLE_1)
	s_and_b32 s3, s5, s3
	s_delay_alu instid0(SALU_CYCLE_1) | instskip(NEXT) | instid1(SALU_CYCLE_1)
	s_xor_b32 s4, s3, -1
	s_and_saveexec_b32 s5, s4
	s_delay_alu instid0(SALU_CYCLE_1)
	s_xor_b32 s4, exec_lo, s5
	s_cbranch_execz .LBB21_56
; %bb.55:
	v_lshl_add_u32 v35, v33, 2, v2
	ds_load_b32 v35, v35 offset:4
.LBB21_56:
	s_or_saveexec_b32 s4, s4
	v_mov_b32_e32 v36, v32
	s_xor_b32 exec_lo, exec_lo, s4
	s_cbranch_execz .LBB21_58
; %bb.57:
	s_waitcnt lgkmcnt(0)
	v_lshl_add_u32 v35, v34, 2, v2
	ds_load_b32 v36, v35 offset:4
	v_mov_b32_e32 v35, v31
.LBB21_58:
	s_or_b32 exec_lo, exec_lo, s4
	v_add_nc_u32_e32 v37, 1, v33
	v_add_nc_u32_e32 v38, 1, v34
	s_waitcnt lgkmcnt(0)
	v_cmp_lt_i32_e64 s5, v36, v35
                                        ; implicit-def: $vgpr39
	s_delay_alu instid0(VALU_DEP_3) | instskip(NEXT) | instid1(VALU_DEP_3)
	v_cndmask_b32_e64 v37, v37, v33, s3
	v_cndmask_b32_e64 v38, v34, v38, s3
	s_delay_alu instid0(VALU_DEP_2) | instskip(NEXT) | instid1(VALU_DEP_2)
	v_cmp_ge_i32_e64 s4, v37, v14
	v_cmp_lt_i32_e64 s6, v38, v13
	s_delay_alu instid0(VALU_DEP_2)
	s_or_b32 s4, s4, s5
	s_delay_alu instid0(VALU_DEP_1) | instid1(SALU_CYCLE_1)
	s_and_b32 s4, s6, s4
	s_delay_alu instid0(SALU_CYCLE_1) | instskip(NEXT) | instid1(SALU_CYCLE_1)
	s_xor_b32 s5, s4, -1
	s_and_saveexec_b32 s6, s5
	s_delay_alu instid0(SALU_CYCLE_1)
	s_xor_b32 s5, exec_lo, s6
	s_cbranch_execz .LBB21_60
; %bb.59:
	v_lshl_add_u32 v39, v37, 2, v2
	ds_load_b32 v39, v39 offset:4
.LBB21_60:
	s_or_saveexec_b32 s5, s5
	v_mov_b32_e32 v40, v36
	s_xor_b32 exec_lo, exec_lo, s5
	s_cbranch_execz .LBB21_62
; %bb.61:
	s_waitcnt lgkmcnt(0)
	v_lshl_add_u32 v39, v38, 2, v2
	ds_load_b32 v40, v39 offset:4
	v_mov_b32_e32 v39, v35
.LBB21_62:
	s_or_b32 exec_lo, exec_lo, s5
	v_add_nc_u32_e32 v41, 1, v37
	v_add_nc_u32_e32 v43, 1, v38
	s_waitcnt lgkmcnt(0)
	v_cmp_lt_i32_e64 s6, v40, v39
	s_delay_alu instid0(VALU_DEP_3) | instskip(NEXT) | instid1(VALU_DEP_3)
	v_cndmask_b32_e64 v42, v41, v37, s4
	v_cndmask_b32_e64 v43, v38, v43, s4
                                        ; implicit-def: $vgpr41
	s_delay_alu instid0(VALU_DEP_2) | instskip(NEXT) | instid1(VALU_DEP_2)
	v_cmp_ge_i32_e64 s5, v42, v14
	v_cmp_lt_i32_e64 s7, v43, v13
	s_delay_alu instid0(VALU_DEP_2)
	s_or_b32 s5, s5, s6
	s_delay_alu instid0(VALU_DEP_1) | instid1(SALU_CYCLE_1)
	s_and_b32 s5, s7, s5
	s_delay_alu instid0(SALU_CYCLE_1) | instskip(NEXT) | instid1(SALU_CYCLE_1)
	s_xor_b32 s6, s5, -1
	s_and_saveexec_b32 s7, s6
	s_delay_alu instid0(SALU_CYCLE_1)
	s_xor_b32 s6, exec_lo, s7
	s_cbranch_execz .LBB21_64
; %bb.63:
	v_lshl_add_u32 v41, v42, 2, v2
	ds_load_b32 v41, v41 offset:4
.LBB21_64:
	s_or_saveexec_b32 s6, s6
	v_mov_b32_e32 v44, v40
	s_xor_b32 exec_lo, exec_lo, s6
	s_cbranch_execz .LBB21_66
; %bb.65:
	s_waitcnt lgkmcnt(0)
	v_lshl_add_u32 v41, v43, 2, v2
	ds_load_b32 v44, v41 offset:4
	v_mov_b32_e32 v41, v39
.LBB21_66:
	s_or_b32 exec_lo, exec_lo, s6
	v_dual_cndmask_b32 v15, v15, v16 :: v_dual_add_nc_u32 v46, 1, v42
	v_dual_cndmask_b32 v20, v22, v20 :: v_dual_add_nc_u32 v45, 1, v43
	v_cndmask_b32_e64 v39, v39, v40, s5
	v_cndmask_b32_e64 v40, v42, v43, s5
	s_delay_alu instid0(VALU_DEP_4) | instskip(NEXT) | instid1(VALU_DEP_4)
	v_cndmask_b32_e64 v42, v46, v42, s5
	v_cndmask_b32_e64 v43, v43, v45, s5
	;; [unrolled: 1-line block ×6, first 2 shown]
	v_cmp_ge_i32_e64 s3, v42, v14
	s_waitcnt lgkmcnt(0)
	v_cmp_lt_i32_e64 s4, v44, v41
	v_cndmask_b32_e64 v27, v27, v28, s2
	v_cndmask_b32_e64 v14, v29, v30, s2
	v_cmp_lt_i32_e64 s2, v43, v13
	v_cndmask_b32_e64 v23, v23, v24, s0
	s_or_b32 s3, s3, s4
	v_cndmask_b32_e64 v13, v25, v26, s1
	s_delay_alu instid0(VALU_DEP_3) | instskip(NEXT) | instid1(SALU_CYCLE_1)
	s_and_b32 s2, s2, s3
	; wave barrier
	v_cndmask_b32_e64 v22, v42, v43, s2
	ds_store_2addr_b32 v0, v5, v6 offset1:1
	ds_store_2addr_b32 v0, v7, v8 offset0:2 offset1:3
	ds_store_2addr_b32 v0, v9, v10 offset0:4 offset1:5
	;; [unrolled: 1-line block ×3, first 2 shown]
	v_lshl_add_u32 v5, v20, 2, v2
	v_lshl_add_u32 v6, v23, 2, v2
	;; [unrolled: 1-line block ×7, first 2 shown]
	; wave barrier
	v_and_b32_e32 v20, 64, v4
	v_lshl_add_u32 v14, v22, 2, v2
	v_and_b32_e32 v22, 56, v4
	ds_load_b32 v4, v5
	ds_load_b32 v5, v6
	;; [unrolled: 1-line block ×8, first 2 shown]
	v_cndmask_b32_e64 v18, v18, v17, s0
	v_or_b32_e32 v13, 32, v20
	v_add_nc_u32_e32 v12, 64, v20
	v_cndmask_b32_e64 v21, v19, v21, s1
	v_cndmask_b32_e64 v24, v41, v44, s2
	s_mov_b32 s1, 0
	v_sub_nc_u32_e32 v25, v13, v20
	v_sub_nc_u32_e32 v23, v12, v13
	; wave barrier
	ds_store_2addr_b32 v0, v15, v18 offset1:1
	ds_store_2addr_b32 v0, v21, v27 offset0:2 offset1:3
	ds_store_2addr_b32 v0, v31, v35 offset0:4 offset1:5
	;; [unrolled: 1-line block ×3, first 2 shown]
	v_min_i32_e32 v17, v22, v25
	v_sub_nc_u32_e32 v14, v22, v23
	v_cmp_ge_i32_e64 s0, v22, v23
	; wave barrier
	s_delay_alu instid0(VALU_DEP_1) | instskip(SKIP_2) | instid1(VALU_DEP_2)
	v_cndmask_b32_e64 v19, 0, v14, s0
	v_lshl_add_u32 v14, v20, 2, v2
	s_mov_b32 s0, exec_lo
	v_cmpx_lt_i32_e64 v19, v17
	s_cbranch_execz .LBB21_70
; %bb.67:
	v_lshlrev_b32_e32 v15, 2, v22
	s_delay_alu instid0(VALU_DEP_1)
	v_add3_u32 v15, v14, v15, 0x80
	.p2align	6
.LBB21_68:                              ; =>This Inner Loop Header: Depth=1
	v_sub_nc_u32_e32 v16, v17, v19
	s_delay_alu instid0(VALU_DEP_1) | instskip(NEXT) | instid1(VALU_DEP_1)
	v_lshrrev_b32_e32 v18, 31, v16
	v_add_nc_u32_e32 v16, v16, v18
	s_delay_alu instid0(VALU_DEP_1) | instskip(NEXT) | instid1(VALU_DEP_1)
	v_ashrrev_i32_e32 v16, 1, v16
	v_add_nc_u32_e32 v16, v16, v19
	s_delay_alu instid0(VALU_DEP_1) | instskip(SKIP_2) | instid1(VALU_DEP_3)
	v_not_b32_e32 v18, v16
	v_lshl_add_u32 v21, v16, 2, v14
	v_add_nc_u32_e32 v23, 1, v16
	v_lshl_add_u32 v18, v18, 2, v15
	ds_load_b32 v21, v21
	ds_load_b32 v18, v18
	s_waitcnt lgkmcnt(0)
	v_cmp_lt_i32_e32 vcc_lo, v18, v21
	v_cndmask_b32_e32 v19, v23, v19, vcc_lo
	v_cndmask_b32_e32 v17, v17, v16, vcc_lo
	s_delay_alu instid0(VALU_DEP_1) | instskip(SKIP_1) | instid1(SALU_CYCLE_1)
	v_cmp_ge_i32_e32 vcc_lo, v19, v17
	s_or_b32 s1, vcc_lo, s1
	s_and_not1_b32 exec_lo, exec_lo, s1
	s_cbranch_execnz .LBB21_68
; %bb.69:
	s_or_b32 exec_lo, exec_lo, s1
.LBB21_70:
	s_delay_alu instid0(SALU_CYCLE_1) | instskip(SKIP_4) | instid1(VALU_DEP_4)
	s_or_b32 exec_lo, exec_lo, s0
	v_add_nc_u32_e32 v15, v20, v22
	v_lshl_add_u32 v23, v19, 2, v14
	v_add_nc_u32_e32 v16, v13, v22
	v_cmp_lt_i32_e32 vcc_lo, 31, v19
                                        ; implicit-def: $vgpr17
	v_sub_nc_u32_e32 v15, v15, v19
	s_delay_alu instid0(VALU_DEP_3) | instskip(NEXT) | instid1(VALU_DEP_2)
	v_sub_nc_u32_e32 v18, v16, v19
                                        ; implicit-def: $vgpr16
	v_lshl_add_u32 v21, v15, 2, v2
	ds_load_b32 v14, v23
	ds_load_b32 v15, v21 offset:128
	v_cmp_gt_i32_e64 s1, v12, v18
	s_waitcnt lgkmcnt(0)
	v_cmp_lt_i32_e64 s0, v15, v14
	s_delay_alu instid0(VALU_DEP_1)
	s_or_b32 s0, vcc_lo, s0
	s_delay_alu instid0(VALU_DEP_2) | instid1(SALU_CYCLE_1)
	s_and_b32 vcc_lo, s1, s0
	s_delay_alu instid0(SALU_CYCLE_1) | instskip(NEXT) | instid1(SALU_CYCLE_1)
	s_xor_b32 s0, vcc_lo, -1
	s_and_saveexec_b32 s1, s0
	s_delay_alu instid0(SALU_CYCLE_1)
	s_xor_b32 s0, exec_lo, s1
	s_cbranch_execz .LBB21_72
; %bb.71:
	ds_load_b32 v17, v23 offset:4
	v_mov_b32_e32 v16, v15
                                        ; implicit-def: $vgpr21
.LBB21_72:
	s_and_not1_saveexec_b32 s0, s0
	s_cbranch_execz .LBB21_74
; %bb.73:
	ds_load_b32 v16, v21 offset:132
	s_waitcnt lgkmcnt(1)
	v_mov_b32_e32 v17, v14
.LBB21_74:
	s_or_b32 exec_lo, exec_lo, s0
	v_add_nc_u32_e32 v21, v19, v20
	v_add_nc_u32_e32 v20, 1, v18
	s_waitcnt lgkmcnt(0)
	v_cmp_lt_i32_e64 s1, v16, v17
	s_delay_alu instid0(VALU_DEP_3) | instskip(NEXT) | instid1(VALU_DEP_1)
	v_add_nc_u32_e32 v19, 1, v21
	v_dual_cndmask_b32 v23, v18, v20 :: v_dual_cndmask_b32 v22, v19, v21
                                        ; implicit-def: $vgpr19
	s_delay_alu instid0(VALU_DEP_1) | instskip(NEXT) | instid1(VALU_DEP_2)
	v_cmp_lt_i32_e64 s2, v23, v12
	v_cmp_ge_i32_e64 s0, v22, v13
	s_delay_alu instid0(VALU_DEP_1)
	s_or_b32 s0, s0, s1
	s_delay_alu instid0(VALU_DEP_2) | instid1(SALU_CYCLE_1)
	s_and_b32 s0, s2, s0
	s_delay_alu instid0(SALU_CYCLE_1) | instskip(NEXT) | instid1(SALU_CYCLE_1)
	s_xor_b32 s1, s0, -1
	s_and_saveexec_b32 s2, s1
	s_delay_alu instid0(SALU_CYCLE_1)
	s_xor_b32 s1, exec_lo, s2
	s_cbranch_execz .LBB21_76
; %bb.75:
	v_lshl_add_u32 v19, v22, 2, v2
	ds_load_b32 v19, v19 offset:4
.LBB21_76:
	s_or_saveexec_b32 s1, s1
	v_mov_b32_e32 v20, v16
	s_xor_b32 exec_lo, exec_lo, s1
	s_cbranch_execz .LBB21_78
; %bb.77:
	s_waitcnt lgkmcnt(0)
	v_lshl_add_u32 v19, v23, 2, v2
	ds_load_b32 v20, v19 offset:4
	v_mov_b32_e32 v19, v17
.LBB21_78:
	s_or_b32 exec_lo, exec_lo, s1
	v_add_nc_u32_e32 v24, 1, v22
	v_add_nc_u32_e32 v25, 1, v23
	s_waitcnt lgkmcnt(0)
	v_cmp_lt_i32_e64 s2, v20, v19
	s_delay_alu instid0(VALU_DEP_3) | instskip(NEXT) | instid1(VALU_DEP_3)
	v_cndmask_b32_e64 v26, v24, v22, s0
	v_cndmask_b32_e64 v27, v23, v25, s0
                                        ; implicit-def: $vgpr24
	s_delay_alu instid0(VALU_DEP_2) | instskip(NEXT) | instid1(VALU_DEP_2)
	v_cmp_ge_i32_e64 s1, v26, v13
	v_cmp_lt_i32_e64 s3, v27, v12
	s_delay_alu instid0(VALU_DEP_2)
	s_or_b32 s1, s1, s2
	s_delay_alu instid0(VALU_DEP_1) | instid1(SALU_CYCLE_1)
	s_and_b32 s1, s3, s1
	s_delay_alu instid0(SALU_CYCLE_1) | instskip(NEXT) | instid1(SALU_CYCLE_1)
	s_xor_b32 s2, s1, -1
	s_and_saveexec_b32 s3, s2
	s_delay_alu instid0(SALU_CYCLE_1)
	s_xor_b32 s2, exec_lo, s3
	s_cbranch_execz .LBB21_80
; %bb.79:
	v_lshl_add_u32 v24, v26, 2, v2
	ds_load_b32 v24, v24 offset:4
.LBB21_80:
	s_or_saveexec_b32 s2, s2
	v_mov_b32_e32 v25, v20
	s_xor_b32 exec_lo, exec_lo, s2
	s_cbranch_execz .LBB21_82
; %bb.81:
	s_waitcnt lgkmcnt(0)
	v_lshl_add_u32 v24, v27, 2, v2
	ds_load_b32 v25, v24 offset:4
	v_mov_b32_e32 v24, v19
.LBB21_82:
	s_or_b32 exec_lo, exec_lo, s2
	v_add_nc_u32_e32 v28, 1, v26
	v_add_nc_u32_e32 v29, 1, v27
	s_waitcnt lgkmcnt(0)
	v_cmp_lt_i32_e64 s3, v25, v24
	s_delay_alu instid0(VALU_DEP_3) | instskip(NEXT) | instid1(VALU_DEP_3)
	v_cndmask_b32_e64 v30, v28, v26, s1
	v_cndmask_b32_e64 v31, v27, v29, s1
                                        ; implicit-def: $vgpr28
	s_delay_alu instid0(VALU_DEP_2) | instskip(NEXT) | instid1(VALU_DEP_2)
	v_cmp_ge_i32_e64 s2, v30, v13
	v_cmp_lt_i32_e64 s4, v31, v12
	s_delay_alu instid0(VALU_DEP_2)
	s_or_b32 s2, s2, s3
	s_delay_alu instid0(VALU_DEP_1) | instid1(SALU_CYCLE_1)
	s_and_b32 s2, s4, s2
	s_delay_alu instid0(SALU_CYCLE_1) | instskip(NEXT) | instid1(SALU_CYCLE_1)
	s_xor_b32 s3, s2, -1
	s_and_saveexec_b32 s4, s3
	s_delay_alu instid0(SALU_CYCLE_1)
	s_xor_b32 s3, exec_lo, s4
	s_cbranch_execz .LBB21_84
; %bb.83:
	v_lshl_add_u32 v28, v30, 2, v2
	ds_load_b32 v28, v28 offset:4
.LBB21_84:
	s_or_saveexec_b32 s3, s3
	v_mov_b32_e32 v29, v25
	s_xor_b32 exec_lo, exec_lo, s3
	s_cbranch_execz .LBB21_86
; %bb.85:
	s_waitcnt lgkmcnt(0)
	v_lshl_add_u32 v28, v31, 2, v2
	ds_load_b32 v29, v28 offset:4
	v_mov_b32_e32 v28, v24
.LBB21_86:
	s_or_b32 exec_lo, exec_lo, s3
	v_add_nc_u32_e32 v32, 1, v30
	v_add_nc_u32_e32 v33, 1, v31
	s_waitcnt lgkmcnt(0)
	v_cmp_lt_i32_e64 s4, v29, v28
	s_delay_alu instid0(VALU_DEP_3) | instskip(NEXT) | instid1(VALU_DEP_3)
	v_cndmask_b32_e64 v34, v32, v30, s2
	v_cndmask_b32_e64 v35, v31, v33, s2
                                        ; implicit-def: $vgpr32
	s_delay_alu instid0(VALU_DEP_2) | instskip(NEXT) | instid1(VALU_DEP_2)
	v_cmp_ge_i32_e64 s3, v34, v13
	v_cmp_lt_i32_e64 s5, v35, v12
	s_delay_alu instid0(VALU_DEP_2)
	s_or_b32 s3, s3, s4
	s_delay_alu instid0(VALU_DEP_1) | instid1(SALU_CYCLE_1)
	s_and_b32 s3, s5, s3
	s_delay_alu instid0(SALU_CYCLE_1) | instskip(NEXT) | instid1(SALU_CYCLE_1)
	s_xor_b32 s4, s3, -1
	s_and_saveexec_b32 s5, s4
	s_delay_alu instid0(SALU_CYCLE_1)
	s_xor_b32 s4, exec_lo, s5
	s_cbranch_execz .LBB21_88
; %bb.87:
	v_lshl_add_u32 v32, v34, 2, v2
	ds_load_b32 v32, v32 offset:4
.LBB21_88:
	s_or_saveexec_b32 s4, s4
	v_mov_b32_e32 v33, v29
	s_xor_b32 exec_lo, exec_lo, s4
	s_cbranch_execz .LBB21_90
; %bb.89:
	s_waitcnt lgkmcnt(0)
	v_lshl_add_u32 v32, v35, 2, v2
	ds_load_b32 v33, v32 offset:4
	v_mov_b32_e32 v32, v28
.LBB21_90:
	s_or_b32 exec_lo, exec_lo, s4
	v_add_nc_u32_e32 v36, 1, v34
	v_add_nc_u32_e32 v37, 1, v35
	s_waitcnt lgkmcnt(0)
	v_cmp_lt_i32_e64 s5, v33, v32
	s_delay_alu instid0(VALU_DEP_3) | instskip(NEXT) | instid1(VALU_DEP_3)
	v_cndmask_b32_e64 v38, v36, v34, s3
	v_cndmask_b32_e64 v39, v35, v37, s3
                                        ; implicit-def: $vgpr36
	s_delay_alu instid0(VALU_DEP_2) | instskip(NEXT) | instid1(VALU_DEP_2)
	v_cmp_ge_i32_e64 s4, v38, v13
	v_cmp_lt_i32_e64 s6, v39, v12
	s_delay_alu instid0(VALU_DEP_2)
	s_or_b32 s4, s4, s5
	s_delay_alu instid0(VALU_DEP_1) | instid1(SALU_CYCLE_1)
	s_and_b32 s4, s6, s4
	s_delay_alu instid0(SALU_CYCLE_1) | instskip(NEXT) | instid1(SALU_CYCLE_1)
	s_xor_b32 s5, s4, -1
	s_and_saveexec_b32 s6, s5
	s_delay_alu instid0(SALU_CYCLE_1)
	s_xor_b32 s5, exec_lo, s6
	s_cbranch_execz .LBB21_92
; %bb.91:
	v_lshl_add_u32 v36, v38, 2, v2
	ds_load_b32 v36, v36 offset:4
.LBB21_92:
	s_or_saveexec_b32 s5, s5
	v_mov_b32_e32 v37, v33
	s_xor_b32 exec_lo, exec_lo, s5
	s_cbranch_execz .LBB21_94
; %bb.93:
	s_waitcnt lgkmcnt(0)
	v_lshl_add_u32 v36, v39, 2, v2
	ds_load_b32 v37, v36 offset:4
	v_mov_b32_e32 v36, v32
.LBB21_94:
	s_or_b32 exec_lo, exec_lo, s5
	v_add_nc_u32_e32 v40, 1, v38
	v_add_nc_u32_e32 v41, 1, v39
	s_waitcnt lgkmcnt(0)
	v_cmp_lt_i32_e64 s6, v37, v36
	s_delay_alu instid0(VALU_DEP_3) | instskip(NEXT) | instid1(VALU_DEP_3)
	v_cndmask_b32_e64 v42, v40, v38, s4
	v_cndmask_b32_e64 v41, v39, v41, s4
                                        ; implicit-def: $vgpr40
	s_delay_alu instid0(VALU_DEP_2) | instskip(NEXT) | instid1(VALU_DEP_2)
	v_cmp_ge_i32_e64 s5, v42, v13
	v_cmp_lt_i32_e64 s7, v41, v12
	s_delay_alu instid0(VALU_DEP_2)
	s_or_b32 s5, s5, s6
	s_delay_alu instid0(VALU_DEP_1) | instid1(SALU_CYCLE_1)
	s_and_b32 s5, s7, s5
	s_delay_alu instid0(SALU_CYCLE_1) | instskip(NEXT) | instid1(SALU_CYCLE_1)
	s_xor_b32 s6, s5, -1
	s_and_saveexec_b32 s7, s6
	s_delay_alu instid0(SALU_CYCLE_1)
	s_xor_b32 s6, exec_lo, s7
	s_cbranch_execz .LBB21_96
; %bb.95:
	v_lshl_add_u32 v40, v42, 2, v2
	ds_load_b32 v40, v40 offset:4
.LBB21_96:
	s_or_saveexec_b32 s6, s6
	v_mov_b32_e32 v43, v37
	s_xor_b32 exec_lo, exec_lo, s6
	s_cbranch_execz .LBB21_98
; %bb.97:
	s_waitcnt lgkmcnt(0)
	v_lshl_add_u32 v40, v41, 2, v2
	ds_load_b32 v43, v40 offset:4
	v_mov_b32_e32 v40, v36
.LBB21_98:
	s_or_b32 exec_lo, exec_lo, s6
	v_add_nc_u32_e32 v44, 1, v42
	v_add_nc_u32_e32 v45, 1, v41
	v_cndmask_b32_e64 v34, v34, v35, s3
	v_cndmask_b32_e64 v30, v30, v31, s2
	s_waitcnt lgkmcnt(0)
	v_cmp_lt_i32_e64 s6, v43, v40
	v_cndmask_b32_e64 v35, v44, v42, s5
	v_cndmask_b32_e64 v31, v41, v45, s5
	;; [unrolled: 1-line block ×5, first 2 shown]
	v_cmp_ge_i32_e64 s7, v35, v13
	v_cmp_lt_i32_e64 s8, v31, v12
	v_cndmask_b32_e32 v12, v21, v18, vcc_lo
	v_cndmask_b32_e64 v13, v22, v23, s0
	s_delay_alu instid0(VALU_DEP_4)
	s_or_b32 s6, s7, s6
	; wave barrier
	s_delay_alu instid0(VALU_DEP_3) | instid1(SALU_CYCLE_1)
	s_and_b32 s6, s8, s6
	ds_store_2addr_b32 v0, v4, v5 offset1:1
	ds_store_2addr_b32 v0, v6, v7 offset0:2 offset1:3
	ds_store_2addr_b32 v0, v8, v9 offset0:4 offset1:5
	;; [unrolled: 1-line block ×3, first 2 shown]
	v_cndmask_b32_e64 v21, v35, v31, s6
	v_lshl_add_u32 v4, v12, 2, v2
	v_lshl_add_u32 v5, v13, 2, v2
	;; [unrolled: 1-line block ×8, first 2 shown]
	; wave barrier
	ds_load_b32 v4, v4
	ds_load_b32 v5, v5
	;; [unrolled: 1-line block ×8, first 2 shown]
	v_cndmask_b32_e64 v16, v17, v16, s0
	v_sub_nc_u32_e64 v12, v3, 64 clamp
	v_min_i32_e32 v13, 64, v3
	v_cndmask_b32_e32 v14, v14, v15, vcc_lo
	v_cndmask_b32_e64 v24, v24, v25, s2
	v_cndmask_b32_e64 v15, v19, v20, s1
	;; [unrolled: 1-line block ×6, first 2 shown]
	s_mov_b32 s0, exec_lo
	; wave barrier
	ds_store_2addr_b32 v0, v14, v16 offset1:1
	ds_store_2addr_b32 v0, v15, v24 offset0:2 offset1:3
	ds_store_2addr_b32 v0, v23, v22 offset0:4 offset1:5
	;; [unrolled: 1-line block ×3, first 2 shown]
	; wave barrier
	v_cmpx_lt_u32_e64 v12, v13
	s_cbranch_execz .LBB21_102
; %bb.99:
	v_add_nc_u32_e32 v14, 0x100, v0
	s_mov_b32 s1, 0
	.p2align	6
.LBB21_100:                             ; =>This Inner Loop Header: Depth=1
	v_sub_nc_u32_e32 v15, v13, v12
	s_delay_alu instid0(VALU_DEP_1) | instskip(NEXT) | instid1(VALU_DEP_1)
	v_lshrrev_b32_e32 v16, 31, v15
	v_add_nc_u32_e32 v15, v15, v16
	s_delay_alu instid0(VALU_DEP_1) | instskip(NEXT) | instid1(VALU_DEP_1)
	v_ashrrev_i32_e32 v15, 1, v15
	v_add_nc_u32_e32 v15, v15, v12
	s_delay_alu instid0(VALU_DEP_1) | instskip(SKIP_2) | instid1(VALU_DEP_3)
	v_not_b32_e32 v16, v15
	v_lshl_add_u32 v17, v15, 2, v2
	v_add_nc_u32_e32 v18, 1, v15
	v_lshl_add_u32 v16, v16, 2, v14
	ds_load_b32 v17, v17
	ds_load_b32 v16, v16
	s_waitcnt lgkmcnt(0)
	v_cmp_lt_i32_e32 vcc_lo, v16, v17
	v_dual_cndmask_b32 v13, v13, v15 :: v_dual_cndmask_b32 v12, v18, v12
	s_delay_alu instid0(VALU_DEP_1) | instskip(SKIP_1) | instid1(SALU_CYCLE_1)
	v_cmp_ge_i32_e32 vcc_lo, v12, v13
	s_or_b32 s1, vcc_lo, s1
	s_and_not1_b32 exec_lo, exec_lo, s1
	s_cbranch_execnz .LBB21_100
; %bb.101:
	s_or_b32 exec_lo, exec_lo, s1
.LBB21_102:
	s_delay_alu instid0(SALU_CYCLE_1) | instskip(SKIP_3) | instid1(VALU_DEP_3)
	s_or_b32 exec_lo, exec_lo, s0
	v_sub_nc_u32_e32 v14, v3, v12
	v_lshl_add_u32 v18, v12, 2, v2
	v_cmp_lt_i32_e32 vcc_lo, 63, v12
                                        ; implicit-def: $vgpr15
	v_lshl_add_u32 v17, v14, 2, v2
	v_add_nc_u32_e32 v16, 64, v14
                                        ; implicit-def: $vgpr14
	ds_load_b32 v3, v18
	ds_load_b32 v13, v17 offset:256
	v_cmp_gt_i32_e64 s1, 0x80, v16
	s_waitcnt lgkmcnt(0)
	v_cmp_lt_i32_e64 s0, v13, v3
	s_delay_alu instid0(VALU_DEP_1)
	s_or_b32 s0, vcc_lo, s0
	s_delay_alu instid0(VALU_DEP_2) | instid1(SALU_CYCLE_1)
	s_and_b32 vcc_lo, s1, s0
	s_delay_alu instid0(SALU_CYCLE_1) | instskip(NEXT) | instid1(SALU_CYCLE_1)
	s_xor_b32 s0, vcc_lo, -1
	s_and_saveexec_b32 s1, s0
	s_delay_alu instid0(SALU_CYCLE_1)
	s_xor_b32 s0, exec_lo, s1
	s_cbranch_execz .LBB21_104
; %bb.103:
	ds_load_b32 v15, v18 offset:4
	v_mov_b32_e32 v14, v13
                                        ; implicit-def: $vgpr17
.LBB21_104:
	s_and_not1_saveexec_b32 s0, s0
	s_cbranch_execz .LBB21_106
; %bb.105:
	ds_load_b32 v14, v17 offset:260
	s_waitcnt lgkmcnt(1)
	v_mov_b32_e32 v15, v3
.LBB21_106:
	s_or_b32 exec_lo, exec_lo, s0
	v_add_nc_u32_e32 v18, 1, v16
	v_add_nc_u32_e32 v17, 1, v12
	s_waitcnt lgkmcnt(0)
	v_cmp_lt_i32_e64 s1, v14, v15
	s_delay_alu instid0(VALU_DEP_2) | instskip(NEXT) | instid1(VALU_DEP_1)
	v_dual_cndmask_b32 v20, v16, v18 :: v_dual_cndmask_b32 v19, v17, v12
                                        ; implicit-def: $vgpr17
	v_cmp_gt_i32_e64 s2, 0x80, v20
	s_delay_alu instid0(VALU_DEP_2) | instskip(NEXT) | instid1(VALU_DEP_1)
	v_cmp_lt_i32_e64 s0, 63, v19
	s_or_b32 s0, s0, s1
	s_delay_alu instid0(VALU_DEP_2) | instid1(SALU_CYCLE_1)
	s_and_b32 s0, s2, s0
	s_delay_alu instid0(SALU_CYCLE_1) | instskip(NEXT) | instid1(SALU_CYCLE_1)
	s_xor_b32 s1, s0, -1
	s_and_saveexec_b32 s2, s1
	s_delay_alu instid0(SALU_CYCLE_1)
	s_xor_b32 s1, exec_lo, s2
	s_cbranch_execz .LBB21_108
; %bb.107:
	v_lshl_add_u32 v17, v19, 2, v2
	ds_load_b32 v17, v17 offset:4
.LBB21_108:
	s_or_saveexec_b32 s1, s1
	v_mov_b32_e32 v18, v14
	s_xor_b32 exec_lo, exec_lo, s1
	s_cbranch_execz .LBB21_110
; %bb.109:
	s_waitcnt lgkmcnt(0)
	v_lshl_add_u32 v17, v20, 2, v2
	ds_load_b32 v18, v17 offset:4
	v_mov_b32_e32 v17, v15
.LBB21_110:
	s_or_b32 exec_lo, exec_lo, s1
	v_add_nc_u32_e32 v21, 1, v19
	v_add_nc_u32_e32 v22, 1, v20
	s_waitcnt lgkmcnt(0)
	v_cmp_lt_i32_e64 s2, v18, v17
	s_delay_alu instid0(VALU_DEP_3) | instskip(NEXT) | instid1(VALU_DEP_3)
	v_cndmask_b32_e64 v23, v21, v19, s0
	v_cndmask_b32_e64 v24, v20, v22, s0
                                        ; implicit-def: $vgpr21
	s_delay_alu instid0(VALU_DEP_2) | instskip(NEXT) | instid1(VALU_DEP_2)
	v_cmp_lt_i32_e64 s1, 63, v23
	v_cmp_gt_i32_e64 s3, 0x80, v24
	s_delay_alu instid0(VALU_DEP_2)
	s_or_b32 s1, s1, s2
	s_delay_alu instid0(VALU_DEP_1) | instid1(SALU_CYCLE_1)
	s_and_b32 s1, s3, s1
	s_delay_alu instid0(SALU_CYCLE_1) | instskip(NEXT) | instid1(SALU_CYCLE_1)
	s_xor_b32 s2, s1, -1
	s_and_saveexec_b32 s3, s2
	s_delay_alu instid0(SALU_CYCLE_1)
	s_xor_b32 s2, exec_lo, s3
	s_cbranch_execz .LBB21_112
; %bb.111:
	v_lshl_add_u32 v21, v23, 2, v2
	ds_load_b32 v21, v21 offset:4
.LBB21_112:
	s_or_saveexec_b32 s2, s2
	v_mov_b32_e32 v22, v18
	s_xor_b32 exec_lo, exec_lo, s2
	s_cbranch_execz .LBB21_114
; %bb.113:
	s_waitcnt lgkmcnt(0)
	v_lshl_add_u32 v21, v24, 2, v2
	ds_load_b32 v22, v21 offset:4
	v_mov_b32_e32 v21, v17
.LBB21_114:
	s_or_b32 exec_lo, exec_lo, s2
	v_add_nc_u32_e32 v25, 1, v23
	v_add_nc_u32_e32 v26, 1, v24
	s_waitcnt lgkmcnt(0)
	v_cmp_lt_i32_e64 s3, v22, v21
	s_delay_alu instid0(VALU_DEP_3) | instskip(NEXT) | instid1(VALU_DEP_3)
	v_cndmask_b32_e64 v27, v25, v23, s1
	v_cndmask_b32_e64 v28, v24, v26, s1
                                        ; implicit-def: $vgpr25
	s_delay_alu instid0(VALU_DEP_2) | instskip(NEXT) | instid1(VALU_DEP_2)
	v_cmp_lt_i32_e64 s2, 63, v27
	v_cmp_gt_i32_e64 s4, 0x80, v28
	s_delay_alu instid0(VALU_DEP_2)
	s_or_b32 s2, s2, s3
	s_delay_alu instid0(VALU_DEP_1) | instid1(SALU_CYCLE_1)
	s_and_b32 s2, s4, s2
	s_delay_alu instid0(SALU_CYCLE_1) | instskip(NEXT) | instid1(SALU_CYCLE_1)
	s_xor_b32 s3, s2, -1
	s_and_saveexec_b32 s4, s3
	s_delay_alu instid0(SALU_CYCLE_1)
	s_xor_b32 s3, exec_lo, s4
	s_cbranch_execz .LBB21_116
; %bb.115:
	v_lshl_add_u32 v25, v27, 2, v2
	ds_load_b32 v25, v25 offset:4
.LBB21_116:
	s_or_saveexec_b32 s3, s3
	v_mov_b32_e32 v26, v22
	s_xor_b32 exec_lo, exec_lo, s3
	s_cbranch_execz .LBB21_118
; %bb.117:
	s_waitcnt lgkmcnt(0)
	v_lshl_add_u32 v25, v28, 2, v2
	ds_load_b32 v26, v25 offset:4
	v_mov_b32_e32 v25, v21
.LBB21_118:
	s_or_b32 exec_lo, exec_lo, s3
	v_add_nc_u32_e32 v29, 1, v27
	v_add_nc_u32_e32 v30, 1, v28
	s_waitcnt lgkmcnt(0)
	v_cmp_lt_i32_e64 s4, v26, v25
	s_delay_alu instid0(VALU_DEP_3) | instskip(NEXT) | instid1(VALU_DEP_3)
	v_cndmask_b32_e64 v31, v29, v27, s2
	v_cndmask_b32_e64 v32, v28, v30, s2
                                        ; implicit-def: $vgpr29
	s_delay_alu instid0(VALU_DEP_2) | instskip(NEXT) | instid1(VALU_DEP_2)
	v_cmp_lt_i32_e64 s3, 63, v31
	v_cmp_gt_i32_e64 s5, 0x80, v32
	s_delay_alu instid0(VALU_DEP_2)
	s_or_b32 s3, s3, s4
	s_delay_alu instid0(VALU_DEP_1) | instid1(SALU_CYCLE_1)
	s_and_b32 s3, s5, s3
	s_delay_alu instid0(SALU_CYCLE_1) | instskip(NEXT) | instid1(SALU_CYCLE_1)
	s_xor_b32 s4, s3, -1
	s_and_saveexec_b32 s5, s4
	s_delay_alu instid0(SALU_CYCLE_1)
	s_xor_b32 s4, exec_lo, s5
	s_cbranch_execz .LBB21_120
; %bb.119:
	v_lshl_add_u32 v29, v31, 2, v2
	ds_load_b32 v29, v29 offset:4
.LBB21_120:
	s_or_saveexec_b32 s4, s4
	v_mov_b32_e32 v30, v26
	s_xor_b32 exec_lo, exec_lo, s4
	s_cbranch_execz .LBB21_122
; %bb.121:
	s_waitcnt lgkmcnt(0)
	v_lshl_add_u32 v29, v32, 2, v2
	ds_load_b32 v30, v29 offset:4
	v_mov_b32_e32 v29, v25
.LBB21_122:
	s_or_b32 exec_lo, exec_lo, s4
	v_add_nc_u32_e32 v33, 1, v31
	v_add_nc_u32_e32 v34, 1, v32
	s_waitcnt lgkmcnt(0)
	v_cmp_lt_i32_e64 s5, v30, v29
                                        ; implicit-def: $vgpr38
	s_delay_alu instid0(VALU_DEP_3) | instskip(NEXT) | instid1(VALU_DEP_3)
	v_cndmask_b32_e64 v33, v33, v31, s3
	v_cndmask_b32_e64 v34, v32, v34, s3
	s_delay_alu instid0(VALU_DEP_2) | instskip(NEXT) | instid1(VALU_DEP_2)
	v_cmp_lt_i32_e64 s4, 63, v33
	v_cmp_gt_i32_e64 s6, 0x80, v34
	s_delay_alu instid0(VALU_DEP_2)
	s_or_b32 s4, s4, s5
	s_delay_alu instid0(VALU_DEP_1) | instid1(SALU_CYCLE_1)
	s_and_b32 s4, s6, s4
	s_delay_alu instid0(SALU_CYCLE_1) | instskip(NEXT) | instid1(SALU_CYCLE_1)
	s_xor_b32 s5, s4, -1
	s_and_saveexec_b32 s6, s5
	s_delay_alu instid0(SALU_CYCLE_1)
	s_xor_b32 s5, exec_lo, s6
	s_cbranch_execz .LBB21_124
; %bb.123:
	v_lshl_add_u32 v35, v33, 2, v2
	ds_load_b32 v38, v35 offset:4
.LBB21_124:
	s_or_saveexec_b32 s5, s5
	v_mov_b32_e32 v35, v30
	s_xor_b32 exec_lo, exec_lo, s5
	s_cbranch_execz .LBB21_126
; %bb.125:
	v_lshl_add_u32 v35, v34, 2, v2
	s_waitcnt lgkmcnt(0)
	v_mov_b32_e32 v38, v29
	ds_load_b32 v35, v35 offset:4
.LBB21_126:
	s_or_b32 exec_lo, exec_lo, s5
	v_add_nc_u32_e32 v36, 1, v33
	v_add_nc_u32_e32 v37, 1, v34
	s_waitcnt lgkmcnt(0)
	v_cmp_ge_i32_e64 s6, v35, v38
                                        ; implicit-def: $vgpr40
                                        ; implicit-def: $vgpr39
	s_delay_alu instid0(VALU_DEP_3) | instskip(NEXT) | instid1(VALU_DEP_3)
	v_cndmask_b32_e64 v42, v36, v33, s4
	v_cndmask_b32_e64 v37, v34, v37, s4
	s_delay_alu instid0(VALU_DEP_2) | instskip(NEXT) | instid1(VALU_DEP_2)
	v_cmp_gt_i32_e64 s5, 64, v42
	v_cmp_lt_i32_e64 s7, 0x7f, v37
	s_delay_alu instid0(VALU_DEP_2)
	s_and_b32 s5, s5, s6
	s_delay_alu instid0(VALU_DEP_1) | instid1(SALU_CYCLE_1)
	s_or_b32 s5, s7, s5
	s_delay_alu instid0(SALU_CYCLE_1) | instskip(NEXT) | instid1(SALU_CYCLE_1)
	s_and_saveexec_b32 s6, s5
	s_xor_b32 s5, exec_lo, s6
	s_cbranch_execz .LBB21_128
; %bb.127:
	v_lshl_add_u32 v36, v42, 2, v2
	v_add_nc_u32_e32 v39, 1, v42
	ds_load_b32 v40, v36 offset:4
.LBB21_128:
	s_or_saveexec_b32 s5, s5
	v_mov_b32_e32 v36, v38
	v_mov_b32_e32 v41, v42
	s_xor_b32 exec_lo, exec_lo, s5
	s_cbranch_execz .LBB21_130
; %bb.129:
	v_lshl_add_u32 v36, v37, 2, v2
	s_waitcnt lgkmcnt(0)
	v_dual_mov_b32 v41, v37 :: v_dual_add_nc_u32 v40, 1, v37
	v_mov_b32_e32 v39, v42
	ds_load_b32 v43, v36 offset:4
	v_dual_mov_b32 v36, v35 :: v_dual_mov_b32 v37, v40
	s_waitcnt lgkmcnt(0)
	v_dual_mov_b32 v40, v38 :: v_dual_mov_b32 v35, v43
.LBB21_130:
	s_or_b32 exec_lo, exec_lo, s5
	v_cmp_lt_i32_e64 s5, 63, v39
	s_waitcnt lgkmcnt(0)
	s_delay_alu instid0(VALU_DEP_2)
	v_cmp_lt_i32_e64 s6, v35, v40
	v_cmp_gt_i32_e64 s7, 0x80, v37
	v_cndmask_b32_e32 v12, v12, v16, vcc_lo
	v_cndmask_b32_e64 v19, v19, v20, s0
	v_cndmask_b32_e64 v23, v23, v24, s1
	s_or_b32 s5, s5, s6
	v_cndmask_b32_e64 v27, v27, v28, s2
	s_and_b32 s5, s7, s5
	v_cndmask_b32_e64 v33, v33, v34, s4
	v_cndmask_b32_e64 v31, v31, v32, s3
	;; [unrolled: 1-line block ×3, first 2 shown]
	; wave barrier
	ds_store_2addr_b32 v0, v4, v5 offset1:1
	ds_store_2addr_b32 v0, v6, v7 offset0:2 offset1:3
	ds_store_2addr_b32 v0, v8, v9 offset0:4 offset1:5
	;; [unrolled: 1-line block ×3, first 2 shown]
	v_lshl_add_u32 v0, v12, 2, v2
	v_lshl_add_u32 v4, v19, 2, v2
	;; [unrolled: 1-line block ×7, first 2 shown]
	; wave barrier
	v_lshl_add_u32 v2, v20, 2, v2
	ds_load_b32 v0, v0
	ds_load_b32 v4, v4
	;; [unrolled: 1-line block ×8, first 2 shown]
	v_cndmask_b32_e32 v2, v3, v13, vcc_lo
	v_cndmask_b32_e64 v3, v15, v14, s0
	v_cndmask_b32_e64 v12, v17, v18, s1
	;; [unrolled: 1-line block ×6, first 2 shown]
	s_add_u32 s0, s22, s24
	s_addc_u32 s1, s23, s25
	s_waitcnt lgkmcnt(6)
	v_add_nc_u32_e32 v3, v4, v3
	v_add_nc_u32_e32 v2, v0, v2
	s_waitcnt lgkmcnt(5)
	v_add_nc_u32_e32 v4, v5, v12
	s_waitcnt lgkmcnt(4)
	v_add_nc_u32_e32 v5, v6, v13
	v_lshlrev_b32_e32 v0, 2, v1
	s_waitcnt lgkmcnt(3)
	v_add_nc_u32_e32 v6, v7, v14
	s_waitcnt lgkmcnt(2)
	v_add_nc_u32_e32 v7, v8, v11
	s_waitcnt lgkmcnt(1)
	v_add_nc_u32_e32 v8, v9, v36
	s_waitcnt lgkmcnt(0)
	v_add_nc_u32_e32 v9, v10, v16
	s_clause 0x1
	global_store_b128 v0, v[2:5], s[0:1]
	global_store_b128 v0, v[6:9], s[0:1] offset:16
	s_nop 0
	s_sendmsg sendmsg(MSG_DEALLOC_VGPRS)
	s_endpgm
	.section	.rodata,"a",@progbits
	.p2align	6, 0x0
	.amdhsa_kernel _Z10sort_pairsILj256ELj16ELj8EiN10test_utils4lessEEvPKT2_PS2_T3_
		.amdhsa_group_segment_fixed_size 8256
		.amdhsa_private_segment_fixed_size 0
		.amdhsa_kernarg_size 20
		.amdhsa_user_sgpr_count 15
		.amdhsa_user_sgpr_dispatch_ptr 0
		.amdhsa_user_sgpr_queue_ptr 0
		.amdhsa_user_sgpr_kernarg_segment_ptr 1
		.amdhsa_user_sgpr_dispatch_id 0
		.amdhsa_user_sgpr_private_segment_size 0
		.amdhsa_wavefront_size32 1
		.amdhsa_uses_dynamic_stack 0
		.amdhsa_enable_private_segment 0
		.amdhsa_system_sgpr_workgroup_id_x 1
		.amdhsa_system_sgpr_workgroup_id_y 0
		.amdhsa_system_sgpr_workgroup_id_z 0
		.amdhsa_system_sgpr_workgroup_info 0
		.amdhsa_system_vgpr_workitem_id 0
		.amdhsa_next_free_vgpr 53
		.amdhsa_next_free_sgpr 26
		.amdhsa_reserve_vcc 1
		.amdhsa_float_round_mode_32 0
		.amdhsa_float_round_mode_16_64 0
		.amdhsa_float_denorm_mode_32 3
		.amdhsa_float_denorm_mode_16_64 3
		.amdhsa_dx10_clamp 1
		.amdhsa_ieee_mode 1
		.amdhsa_fp16_overflow 0
		.amdhsa_workgroup_processor_mode 1
		.amdhsa_memory_ordered 1
		.amdhsa_forward_progress 0
		.amdhsa_shared_vgpr_count 0
		.amdhsa_exception_fp_ieee_invalid_op 0
		.amdhsa_exception_fp_denorm_src 0
		.amdhsa_exception_fp_ieee_div_zero 0
		.amdhsa_exception_fp_ieee_overflow 0
		.amdhsa_exception_fp_ieee_underflow 0
		.amdhsa_exception_fp_ieee_inexact 0
		.amdhsa_exception_int_div_zero 0
	.end_amdhsa_kernel
	.section	.text._Z10sort_pairsILj256ELj16ELj8EiN10test_utils4lessEEvPKT2_PS2_T3_,"axG",@progbits,_Z10sort_pairsILj256ELj16ELj8EiN10test_utils4lessEEvPKT2_PS2_T3_,comdat
.Lfunc_end21:
	.size	_Z10sort_pairsILj256ELj16ELj8EiN10test_utils4lessEEvPKT2_PS2_T3_, .Lfunc_end21-_Z10sort_pairsILj256ELj16ELj8EiN10test_utils4lessEEvPKT2_PS2_T3_
                                        ; -- End function
	.section	.AMDGPU.csdata,"",@progbits
; Kernel info:
; codeLenInByte = 8140
; NumSgprs: 28
; NumVgprs: 53
; ScratchSize: 0
; MemoryBound: 0
; FloatMode: 240
; IeeeMode: 1
; LDSByteSize: 8256 bytes/workgroup (compile time only)
; SGPRBlocks: 3
; VGPRBlocks: 6
; NumSGPRsForWavesPerEU: 28
; NumVGPRsForWavesPerEU: 53
; Occupancy: 16
; WaveLimiterHint : 0
; COMPUTE_PGM_RSRC2:SCRATCH_EN: 0
; COMPUTE_PGM_RSRC2:USER_SGPR: 15
; COMPUTE_PGM_RSRC2:TRAP_HANDLER: 0
; COMPUTE_PGM_RSRC2:TGID_X_EN: 1
; COMPUTE_PGM_RSRC2:TGID_Y_EN: 0
; COMPUTE_PGM_RSRC2:TGID_Z_EN: 0
; COMPUTE_PGM_RSRC2:TIDIG_COMP_CNT: 0
	.section	.text._Z19sort_keys_segmentedILj256ELj16ELj8EiN10test_utils4lessEEvPKT2_PS2_PKjT3_,"axG",@progbits,_Z19sort_keys_segmentedILj256ELj16ELj8EiN10test_utils4lessEEvPKT2_PS2_PKjT3_,comdat
	.protected	_Z19sort_keys_segmentedILj256ELj16ELj8EiN10test_utils4lessEEvPKT2_PS2_PKjT3_ ; -- Begin function _Z19sort_keys_segmentedILj256ELj16ELj8EiN10test_utils4lessEEvPKT2_PS2_PKjT3_
	.globl	_Z19sort_keys_segmentedILj256ELj16ELj8EiN10test_utils4lessEEvPKT2_PS2_PKjT3_
	.p2align	8
	.type	_Z19sort_keys_segmentedILj256ELj16ELj8EiN10test_utils4lessEEvPKT2_PS2_PKjT3_,@function
_Z19sort_keys_segmentedILj256ELj16ELj8EiN10test_utils4lessEEvPKT2_PS2_PKjT3_: ; @_Z19sort_keys_segmentedILj256ELj16ELj8EiN10test_utils4lessEEvPKT2_PS2_PKjT3_
; %bb.0:
	s_clause 0x1
	s_load_b64 s[2:3], s[0:1], 0x10
	s_load_b128 s[16:19], s[0:1], 0x0
	v_lshrrev_b32_e32 v18, 4, v0
	s_delay_alu instid0(VALU_DEP_1) | instskip(SKIP_1) | instid1(VALU_DEP_1)
	v_lshl_or_b32 v0, s15, 4, v18
	v_mov_b32_e32 v1, 0
	v_lshlrev_b64 v[2:3], 2, v[0:1]
	v_lshlrev_b32_e32 v0, 7, v0
	s_delay_alu instid0(VALU_DEP_1) | instskip(SKIP_1) | instid1(VALU_DEP_3)
	v_lshlrev_b64 v[8:9], 2, v[0:1]
	s_waitcnt lgkmcnt(0)
	v_add_co_u32 v2, vcc_lo, s2, v2
	s_delay_alu instid0(VALU_DEP_4) | instskip(NEXT) | instid1(VALU_DEP_3)
	v_add_co_ci_u32_e32 v3, vcc_lo, s3, v3, vcc_lo
	v_add_co_u32 v0, vcc_lo, s16, v8
	global_load_b32 v13, v[2:3], off
	v_mbcnt_lo_u32_b32 v2, -1, 0
	v_add_co_ci_u32_e32 v1, vcc_lo, s17, v9, vcc_lo
	s_delay_alu instid0(VALU_DEP_2) | instskip(NEXT) | instid1(VALU_DEP_1)
	v_lshlrev_b32_e32 v15, 3, v2
	v_and_b32_e32 v14, 0x78, v15
	s_delay_alu instid0(VALU_DEP_1) | instskip(NEXT) | instid1(VALU_DEP_1)
	v_lshlrev_b32_e32 v12, 2, v14
	v_add_co_u32 v10, vcc_lo, v0, v12
	v_add_co_ci_u32_e32 v11, vcc_lo, 0, v1, vcc_lo
                                        ; implicit-def: $vgpr0_vgpr1_vgpr2_vgpr3_vgpr4_vgpr5_vgpr6_vgpr7
	s_waitcnt vmcnt(0)
	v_cmp_lt_u32_e32 vcc_lo, v14, v13
	s_and_saveexec_b32 s0, vcc_lo
	s_cbranch_execz .LBB22_2
; %bb.1:
	global_load_b32 v0, v[10:11], off
.LBB22_2:
	s_or_b32 exec_lo, exec_lo, s0
	v_or_b32_e32 v16, 1, v14
	s_delay_alu instid0(VALU_DEP_1) | instskip(NEXT) | instid1(VALU_DEP_1)
	v_cmp_lt_u32_e64 s0, v16, v13
	s_and_saveexec_b32 s1, s0
	s_cbranch_execz .LBB22_4
; %bb.3:
	global_load_b32 v1, v[10:11], off offset:4
.LBB22_4:
	s_or_b32 exec_lo, exec_lo, s1
	v_or_b32_e32 v17, 2, v14
	s_delay_alu instid0(VALU_DEP_1) | instskip(NEXT) | instid1(VALU_DEP_1)
	v_cmp_lt_u32_e64 s1, v17, v13
	s_and_saveexec_b32 s2, s1
	s_cbranch_execz .LBB22_6
; %bb.5:
	global_load_b32 v2, v[10:11], off offset:8
.LBB22_6:
	;; [unrolled: 9-line block ×7, first 2 shown]
	s_or_b32 exec_lo, exec_lo, s7
	v_cmp_lt_i32_e64 s9, v22, v13
	v_cmp_lt_i32_e64 s10, v23, v13
	v_cmp_lt_i32_e64 s12, v21, v13
	v_cmp_lt_i32_e64 s13, v20, v13
	v_cmp_lt_i32_e64 s11, v19, v13
	v_cmp_lt_i32_e64 s8, v17, v13
	s_or_b32 s9, s10, s9
	v_cmp_lt_i32_e64 s7, v16, v13
	s_waitcnt vmcnt(0)
	v_cndmask_b32_e64 v6, 0x7fffffff, v6, s9
	s_or_b32 s9, s9, s12
	v_cndmask_b32_e64 v7, 0x7fffffff, v7, s10
	v_cndmask_b32_e64 v5, 0x7fffffff, v5, s9
	s_or_b32 s9, s9, s13
	s_mov_b32 s10, exec_lo
	v_cndmask_b32_e64 v4, 0x7fffffff, v4, s9
	s_or_b32 s9, s9, s11
	s_delay_alu instid0(SALU_CYCLE_1)
	s_or_b32 s8, s9, s8
	v_cndmask_b32_e64 v3, 0x7fffffff, v3, s9
	s_or_b32 s7, s8, s7
	v_cndmask_b32_e64 v2, 0x7fffffff, v2, s8
	v_cndmask_b32_e64 v1, 0x7fffffff, v1, s7
	v_cmpx_lt_i32_e64 v14, v13
	s_cbranch_execz .LBB22_18
; %bb.17:
	s_delay_alu instid0(VALU_DEP_2)
	v_cmp_lt_i32_e64 s7, v1, v0
	v_min_i32_e32 v11, v1, v0
	v_cmp_lt_i32_e64 s8, v3, v2
	v_max_i32_e32 v16, v1, v0
	v_max_i32_e32 v19, v3, v2
	v_cndmask_b32_e64 v10, v0, v1, s7
	v_cndmask_b32_e64 v0, v1, v0, s7
	v_cmp_lt_i32_e64 s7, v5, v4
	v_cndmask_b32_e64 v1, v3, v2, s8
	v_cndmask_b32_e64 v17, v2, v3, s8
	v_min_i32_e32 v2, v3, v2
	v_max_i32_e32 v21, v5, v4
	v_cndmask_b32_e64 v3, v5, v4, s7
	v_cndmask_b32_e64 v20, v4, v5, s7
	v_cmp_lt_i32_e64 s7, v7, v6
	v_min_i32_e32 v4, v5, v4
	v_cmp_lt_i32_e64 s8, v2, v16
	v_max_i32_e32 v23, v7, v6
	s_delay_alu instid0(VALU_DEP_4)
	v_cndmask_b32_e64 v5, v7, v6, s7
	v_cndmask_b32_e64 v22, v6, v7, s7
	v_min_i32_e32 v6, v7, v6
	v_cmp_lt_i32_e64 s7, v4, v19
	v_cndmask_b32_e64 v7, v17, v16, s8
	v_cndmask_b32_e64 v0, v0, v2, s8
	v_max_i32_e32 v17, v2, v16
	v_cmp_lt_i32_e64 s8, v6, v21
	v_cndmask_b32_e64 v1, v1, v4, s7
	v_max_i32_e32 v24, v4, v19
	v_min_i32_e32 v4, v4, v19
	v_min_i32_e32 v16, v2, v16
	v_cndmask_b32_e64 v20, v20, v19, s7
	v_cndmask_b32_e64 v19, v22, v21, s8
	;; [unrolled: 1-line block ×3, first 2 shown]
	v_cmp_lt_i32_e64 s7, v2, v11
	v_max_i32_e32 v2, v6, v21
	v_min_i32_e32 v6, v6, v21
	v_cmp_lt_i32_e64 s8, v4, v17
	s_delay_alu instid0(VALU_DEP_4)
	v_cndmask_b32_e64 v10, v10, v16, s7
	v_cndmask_b32_e64 v0, v0, v11, s7
	;; [unrolled: 1-line block ×6, first 2 shown]
	v_cmp_lt_i32_e64 s7, v6, v24
	v_max_i32_e32 v16, v4, v17
	v_min_i32_e32 v4, v4, v17
	v_cmp_gt_i32_e64 s8, v21, v23
	s_delay_alu instid0(VALU_DEP_4)
	v_cndmask_b32_e64 v3, v3, v24, s7
	v_cndmask_b32_e64 v17, v20, v6, s7
	v_max_i32_e32 v20, v6, v24
	v_min_i32_e32 v6, v6, v24
	v_cndmask_b32_e64 v5, v5, v2, s8
	v_cmp_lt_i32_e64 s7, v4, v11
	v_cndmask_b32_e64 v21, v23, v2, s8
	v_cndmask_b32_e64 v2, v2, v23, s8
	;; [unrolled: 1-line block ×3, first 2 shown]
	v_cmp_lt_i32_e64 s8, v6, v16
	v_cndmask_b32_e64 v7, v7, v11, s7
	v_cndmask_b32_e64 v0, v0, v4, s7
	v_max_i32_e32 v23, v4, v11
	v_min_i32_e32 v4, v4, v11
	v_cmp_lt_i32_e64 s7, v2, v20
	v_cndmask_b32_e64 v11, v17, v16, s8
	v_cndmask_b32_e64 v1, v1, v6, s8
	v_max_i32_e32 v17, v6, v16
	v_min_i32_e32 v6, v6, v16
	v_cndmask_b32_e64 v16, v19, v20, s7
	v_cmp_lt_i32_e64 s8, v4, v22
	v_cndmask_b32_e64 v3, v3, v2, s7
	v_max_i32_e32 v19, v2, v20
	v_min_i32_e32 v2, v2, v20
	v_cmp_lt_i32_e64 s7, v6, v23
	v_cndmask_b32_e64 v10, v10, v4, s8
	v_cndmask_b32_e64 v0, v0, v22, s8
	v_min_i32_e32 v20, v4, v22
	v_cmp_lt_i32_e64 s8, v2, v17
	v_max_i32_e32 v4, v4, v22
	v_cndmask_b32_e64 v1, v1, v23, s7
	v_cndmask_b32_e64 v7, v7, v6, s7
	v_max_i32_e32 v22, v6, v23
	v_min_i32_e32 v6, v6, v23
	v_cndmask_b32_e64 v11, v11, v2, s8
	v_cmp_lt_i32_e64 s7, v21, v19
	v_max_i32_e32 v23, v2, v17
	v_min_i32_e32 v2, v2, v17
	v_cndmask_b32_e64 v3, v3, v17, s8
	v_cmp_lt_i32_e64 s8, v6, v4
	v_cndmask_b32_e64 v5, v5, v19, s7
	v_cndmask_b32_e64 v16, v16, v21, s7
	v_max_i32_e32 v17, v21, v19
	v_min_i32_e32 v19, v21, v19
	v_cmp_lt_i32_e64 s7, v2, v22
	v_cndmask_b32_e64 v21, v0, v6, s8
	v_cndmask_b32_e64 v7, v7, v4, s8
	v_max_i32_e32 v24, v6, v4
	v_cmp_lt_i32_e64 s8, v19, v23
	v_cndmask_b32_e64 v1, v1, v2, s7
	v_max_i32_e32 v25, v2, v22
	v_min_i32_e32 v2, v2, v22
	v_min_i32_e32 v4, v6, v4
	v_cndmask_b32_e64 v11, v11, v22, s7
	v_cndmask_b32_e64 v16, v16, v23, s8
	;; [unrolled: 1-line block ×3, first 2 shown]
	v_cmp_lt_i32_e64 s7, v6, v20
	v_max_i32_e32 v6, v19, v23
	v_min_i32_e32 v19, v19, v23
	v_cmp_lt_i32_e64 s8, v2, v24
	v_max_i32_e32 v22, v2, v24
	v_cndmask_b32_e64 v0, v10, v4, s7
	v_cndmask_b32_e64 v10, v21, v20, s7
	;; [unrolled: 1-line block ×5, first 2 shown]
	v_cmp_lt_i32_e64 s7, v19, v25
	v_cmp_gt_i32_e64 s8, v23, v17
	v_min_i32_e32 v1, v2, v24
	s_delay_alu instid0(VALU_DEP_3)
	v_cndmask_b32_e64 v24, v3, v25, s7
	v_cndmask_b32_e64 v3, v11, v19, s7
	v_max_i32_e32 v11, v19, v25
	v_min_i32_e32 v19, v19, v25
	v_cndmask_b32_e64 v7, v5, v6, s8
	v_cndmask_b32_e64 v5, v6, v17, s8
	v_cmp_lt_i32_e64 s7, v1, v4
	v_cndmask_b32_e64 v6, v16, v17, s8
	v_cmp_lt_i32_e64 s8, v19, v22
	s_delay_alu instid0(VALU_DEP_4) | instskip(NEXT) | instid1(VALU_DEP_4)
	v_cmp_lt_i32_e64 s9, v5, v11
	v_cndmask_b32_e64 v2, v20, v4, s7
	v_cndmask_b32_e64 v1, v10, v1, s7
	s_delay_alu instid0(VALU_DEP_4)
	v_cndmask_b32_e64 v4, v3, v22, s8
	v_cndmask_b32_e64 v3, v21, v19, s8
	;; [unrolled: 1-line block ×4, first 2 shown]
.LBB22_18:
	s_or_b32 exec_lo, exec_lo, s10
	v_and_b32_e32 v10, 0x70, v15
	v_and_b32_e32 v11, 8, v15
	s_mov_b32 s9, 0
	s_mov_b32 s8, exec_lo
	s_delay_alu instid0(VALU_DEP_2) | instskip(NEXT) | instid1(VALU_DEP_2)
	v_min_i32_e32 v19, v13, v10
	v_min_i32_e32 v20, v13, v11
	; wave barrier
	s_delay_alu instid0(VALU_DEP_2) | instskip(SKIP_1) | instid1(VALU_DEP_2)
	v_add_nc_u32_e32 v10, 8, v19
	v_lshlrev_b32_e32 v24, 2, v19
	v_min_i32_e32 v16, v13, v10
	s_delay_alu instid0(VALU_DEP_1) | instskip(SKIP_1) | instid1(VALU_DEP_2)
	v_add_nc_u32_e32 v10, 8, v16
	v_sub_nc_u32_e32 v21, v16, v19
	v_min_i32_e32 v17, v13, v10
	v_mul_u32_u24_e32 v10, 0x204, v18
	s_delay_alu instid0(VALU_DEP_3) | instskip(NEXT) | instid1(VALU_DEP_3)
	v_min_i32_e32 v22, v20, v21
	v_sub_nc_u32_e32 v11, v17, v16
	s_delay_alu instid0(VALU_DEP_1)
	v_sub_nc_u32_e32 v23, v20, v11
	v_cmp_ge_i32_e64 s7, v20, v11
	v_mad_u32_u24 v11, 0x204, v18, v12
	v_mad_u32_u24 v18, 0x204, v18, v24
	ds_store_2addr_b32 v11, v0, v1 offset1:1
	ds_store_2addr_b32 v11, v2, v3 offset0:2 offset1:3
	ds_store_2addr_b32 v11, v4, v5 offset0:4 offset1:5
	;; [unrolled: 1-line block ×3, first 2 shown]
	v_cndmask_b32_e64 v21, 0, v23, s7
	; wave barrier
	s_delay_alu instid0(VALU_DEP_1)
	v_cmpx_lt_i32_e64 v21, v22
	s_cbranch_execz .LBB22_22
; %bb.19:
	v_lshlrev_b32_e32 v0, 2, v16
	v_lshlrev_b32_e32 v1, 2, v20
	s_delay_alu instid0(VALU_DEP_1)
	v_add3_u32 v0, v10, v0, v1
	.p2align	6
.LBB22_20:                              ; =>This Inner Loop Header: Depth=1
	v_sub_nc_u32_e32 v1, v22, v21
	s_delay_alu instid0(VALU_DEP_1) | instskip(NEXT) | instid1(VALU_DEP_1)
	v_lshrrev_b32_e32 v2, 31, v1
	v_add_nc_u32_e32 v1, v1, v2
	s_delay_alu instid0(VALU_DEP_1) | instskip(NEXT) | instid1(VALU_DEP_1)
	v_ashrrev_i32_e32 v1, 1, v1
	v_add_nc_u32_e32 v1, v1, v21
	s_delay_alu instid0(VALU_DEP_1) | instskip(SKIP_2) | instid1(VALU_DEP_3)
	v_not_b32_e32 v2, v1
	v_lshl_add_u32 v3, v1, 2, v18
	v_add_nc_u32_e32 v4, 1, v1
	v_lshl_add_u32 v2, v2, 2, v0
	ds_load_b32 v3, v3
	ds_load_b32 v2, v2
	s_waitcnt lgkmcnt(0)
	v_cmp_lt_i32_e64 s7, v2, v3
	s_delay_alu instid0(VALU_DEP_1) | instskip(SKIP_1) | instid1(VALU_DEP_1)
	v_cndmask_b32_e64 v22, v22, v1, s7
	v_cndmask_b32_e64 v21, v4, v21, s7
	v_cmp_ge_i32_e64 s7, v21, v22
	s_delay_alu instid0(VALU_DEP_1) | instskip(NEXT) | instid1(SALU_CYCLE_1)
	s_or_b32 s9, s7, s9
	s_and_not1_b32 exec_lo, exec_lo, s9
	s_cbranch_execnz .LBB22_20
; %bb.21:
	s_or_b32 exec_lo, exec_lo, s9
.LBB22_22:
	s_delay_alu instid0(SALU_CYCLE_1) | instskip(SKIP_3) | instid1(VALU_DEP_3)
	s_or_b32 exec_lo, exec_lo, s8
	v_add_nc_u32_e32 v0, v16, v20
	v_lshl_add_u32 v7, v21, 2, v18
	v_add_nc_u32_e32 v5, v21, v19
                                        ; implicit-def: $vgpr2
                                        ; implicit-def: $vgpr4
	v_sub_nc_u32_e32 v0, v0, v21
	s_delay_alu instid0(VALU_DEP_2) | instskip(NEXT) | instid1(VALU_DEP_2)
	v_cmp_le_i32_e64 s7, v16, v5
	v_lshl_add_u32 v6, v0, 2, v10
	v_cmp_gt_i32_e64 s9, v17, v0
	ds_load_b32 v1, v7
	ds_load_b32 v3, v6
	s_waitcnt lgkmcnt(0)
	v_cmp_lt_i32_e64 s8, v3, v1
	s_delay_alu instid0(VALU_DEP_1) | instskip(NEXT) | instid1(SALU_CYCLE_1)
	s_or_b32 s7, s7, s8
	s_and_b32 s7, s9, s7
	s_delay_alu instid0(SALU_CYCLE_1) | instskip(NEXT) | instid1(SALU_CYCLE_1)
	s_xor_b32 s8, s7, -1
	s_and_saveexec_b32 s9, s8
	s_delay_alu instid0(SALU_CYCLE_1)
	s_xor_b32 s8, exec_lo, s9
	s_cbranch_execz .LBB22_24
; %bb.23:
	ds_load_b32 v4, v7 offset:4
	v_mov_b32_e32 v2, v3
                                        ; implicit-def: $vgpr6
.LBB22_24:
	s_and_not1_saveexec_b32 s8, s8
	s_cbranch_execz .LBB22_26
; %bb.25:
	ds_load_b32 v2, v6 offset:4
	s_waitcnt lgkmcnt(1)
	v_mov_b32_e32 v4, v1
.LBB22_26:
	s_or_b32 exec_lo, exec_lo, s8
	v_add_nc_u32_e32 v6, 1, v5
	v_add_nc_u32_e32 v18, 1, v0
	s_waitcnt lgkmcnt(0)
	v_cmp_lt_i32_e64 s9, v2, v4
	s_delay_alu instid0(VALU_DEP_3) | instskip(NEXT) | instid1(VALU_DEP_3)
	v_cndmask_b32_e64 v7, v6, v5, s7
	v_cndmask_b32_e64 v0, v0, v18, s7
                                        ; implicit-def: $vgpr5
	s_delay_alu instid0(VALU_DEP_2) | instskip(NEXT) | instid1(VALU_DEP_2)
	v_cmp_ge_i32_e64 s8, v7, v16
	v_cmp_lt_i32_e64 s10, v0, v17
	s_delay_alu instid0(VALU_DEP_2)
	s_or_b32 s8, s8, s9
	s_delay_alu instid0(VALU_DEP_1) | instid1(SALU_CYCLE_1)
	s_and_b32 s8, s10, s8
	s_delay_alu instid0(SALU_CYCLE_1) | instskip(NEXT) | instid1(SALU_CYCLE_1)
	s_xor_b32 s9, s8, -1
	s_and_saveexec_b32 s10, s9
	s_delay_alu instid0(SALU_CYCLE_1)
	s_xor_b32 s9, exec_lo, s10
	s_cbranch_execz .LBB22_28
; %bb.27:
	v_lshl_add_u32 v5, v7, 2, v10
	ds_load_b32 v5, v5 offset:4
.LBB22_28:
	s_or_saveexec_b32 s9, s9
	v_mov_b32_e32 v6, v2
	s_xor_b32 exec_lo, exec_lo, s9
	s_cbranch_execz .LBB22_30
; %bb.29:
	s_waitcnt lgkmcnt(0)
	v_lshl_add_u32 v5, v0, 2, v10
	ds_load_b32 v6, v5 offset:4
	v_mov_b32_e32 v5, v4
.LBB22_30:
	s_or_b32 exec_lo, exec_lo, s9
	v_add_nc_u32_e32 v18, 1, v7
	v_add_nc_u32_e32 v20, 1, v0
	s_waitcnt lgkmcnt(0)
	v_cmp_lt_i32_e64 s10, v6, v5
	s_delay_alu instid0(VALU_DEP_3) | instskip(NEXT) | instid1(VALU_DEP_3)
	v_cndmask_b32_e64 v19, v18, v7, s8
	v_cndmask_b32_e64 v0, v0, v20, s8
                                        ; implicit-def: $vgpr7
	s_delay_alu instid0(VALU_DEP_2) | instskip(NEXT) | instid1(VALU_DEP_2)
	v_cmp_ge_i32_e64 s9, v19, v16
	v_cmp_lt_i32_e64 s11, v0, v17
	s_delay_alu instid0(VALU_DEP_2)
	s_or_b32 s9, s9, s10
	s_delay_alu instid0(VALU_DEP_1) | instid1(SALU_CYCLE_1)
	s_and_b32 s9, s11, s9
	s_delay_alu instid0(SALU_CYCLE_1) | instskip(NEXT) | instid1(SALU_CYCLE_1)
	s_xor_b32 s10, s9, -1
	s_and_saveexec_b32 s11, s10
	s_delay_alu instid0(SALU_CYCLE_1)
	s_xor_b32 s10, exec_lo, s11
	s_cbranch_execz .LBB22_32
; %bb.31:
	v_lshl_add_u32 v7, v19, 2, v10
	ds_load_b32 v7, v7 offset:4
.LBB22_32:
	s_or_saveexec_b32 s10, s10
	v_mov_b32_e32 v18, v6
	s_xor_b32 exec_lo, exec_lo, s10
	s_cbranch_execz .LBB22_34
; %bb.33:
	s_waitcnt lgkmcnt(0)
	v_lshl_add_u32 v7, v0, 2, v10
	ds_load_b32 v18, v7 offset:4
	v_mov_b32_e32 v7, v5
.LBB22_34:
	s_or_b32 exec_lo, exec_lo, s10
	v_add_nc_u32_e32 v20, 1, v19
	v_add_nc_u32_e32 v22, 1, v0
	s_waitcnt lgkmcnt(0)
	v_cmp_lt_i32_e64 s11, v18, v7
	s_delay_alu instid0(VALU_DEP_3) | instskip(NEXT) | instid1(VALU_DEP_3)
	v_cndmask_b32_e64 v21, v20, v19, s9
	v_cndmask_b32_e64 v0, v0, v22, s9
                                        ; implicit-def: $vgpr19
	s_delay_alu instid0(VALU_DEP_2) | instskip(NEXT) | instid1(VALU_DEP_2)
	v_cmp_ge_i32_e64 s10, v21, v16
	v_cmp_lt_i32_e64 s12, v0, v17
	s_delay_alu instid0(VALU_DEP_2)
	s_or_b32 s10, s10, s11
	s_delay_alu instid0(VALU_DEP_1) | instid1(SALU_CYCLE_1)
	s_and_b32 s10, s12, s10
	s_delay_alu instid0(SALU_CYCLE_1) | instskip(NEXT) | instid1(SALU_CYCLE_1)
	s_xor_b32 s11, s10, -1
	s_and_saveexec_b32 s12, s11
	s_delay_alu instid0(SALU_CYCLE_1)
	s_xor_b32 s11, exec_lo, s12
	s_cbranch_execz .LBB22_36
; %bb.35:
	v_lshl_add_u32 v19, v21, 2, v10
	ds_load_b32 v19, v19 offset:4
.LBB22_36:
	s_or_saveexec_b32 s11, s11
	v_mov_b32_e32 v20, v18
	s_xor_b32 exec_lo, exec_lo, s11
	s_cbranch_execz .LBB22_38
; %bb.37:
	s_waitcnt lgkmcnt(0)
	v_lshl_add_u32 v19, v0, 2, v10
	ds_load_b32 v20, v19 offset:4
	v_mov_b32_e32 v19, v7
.LBB22_38:
	s_or_b32 exec_lo, exec_lo, s11
	v_add_nc_u32_e32 v22, 1, v21
	v_add_nc_u32_e32 v24, 1, v0
	s_waitcnt lgkmcnt(0)
	v_cmp_lt_i32_e64 s12, v20, v19
	s_delay_alu instid0(VALU_DEP_3) | instskip(NEXT) | instid1(VALU_DEP_3)
	v_cndmask_b32_e64 v23, v22, v21, s10
	v_cndmask_b32_e64 v0, v0, v24, s10
                                        ; implicit-def: $vgpr21
	s_delay_alu instid0(VALU_DEP_2) | instskip(NEXT) | instid1(VALU_DEP_2)
	v_cmp_ge_i32_e64 s11, v23, v16
	v_cmp_lt_i32_e64 s13, v0, v17
	s_delay_alu instid0(VALU_DEP_2)
	s_or_b32 s11, s11, s12
	s_delay_alu instid0(VALU_DEP_1) | instid1(SALU_CYCLE_1)
	s_and_b32 s11, s13, s11
	s_delay_alu instid0(SALU_CYCLE_1) | instskip(NEXT) | instid1(SALU_CYCLE_1)
	s_xor_b32 s12, s11, -1
	s_and_saveexec_b32 s13, s12
	s_delay_alu instid0(SALU_CYCLE_1)
	s_xor_b32 s12, exec_lo, s13
	s_cbranch_execz .LBB22_40
; %bb.39:
	v_lshl_add_u32 v21, v23, 2, v10
	ds_load_b32 v21, v21 offset:4
.LBB22_40:
	s_or_saveexec_b32 s12, s12
	v_mov_b32_e32 v22, v20
	s_xor_b32 exec_lo, exec_lo, s12
	s_cbranch_execz .LBB22_42
; %bb.41:
	s_waitcnt lgkmcnt(0)
	v_lshl_add_u32 v21, v0, 2, v10
	ds_load_b32 v22, v21 offset:4
	v_mov_b32_e32 v21, v19
.LBB22_42:
	s_or_b32 exec_lo, exec_lo, s12
	v_add_nc_u32_e32 v24, 1, v23
	v_add_nc_u32_e32 v25, 1, v0
	s_waitcnt lgkmcnt(0)
	v_cmp_lt_i32_e64 s13, v22, v21
	s_delay_alu instid0(VALU_DEP_3) | instskip(NEXT) | instid1(VALU_DEP_3)
	v_cndmask_b32_e64 v24, v24, v23, s11
	v_cndmask_b32_e64 v23, v0, v25, s11
                                        ; implicit-def: $vgpr0
	s_delay_alu instid0(VALU_DEP_2) | instskip(NEXT) | instid1(VALU_DEP_2)
	v_cmp_ge_i32_e64 s12, v24, v16
	v_cmp_lt_i32_e64 s14, v23, v17
	s_delay_alu instid0(VALU_DEP_2)
	s_or_b32 s12, s12, s13
	s_delay_alu instid0(VALU_DEP_1) | instid1(SALU_CYCLE_1)
	s_and_b32 s12, s14, s12
	s_delay_alu instid0(SALU_CYCLE_1) | instskip(NEXT) | instid1(SALU_CYCLE_1)
	s_xor_b32 s13, s12, -1
	s_and_saveexec_b32 s14, s13
	s_delay_alu instid0(SALU_CYCLE_1)
	s_xor_b32 s13, exec_lo, s14
	s_cbranch_execz .LBB22_44
; %bb.43:
	v_lshl_add_u32 v0, v24, 2, v10
	ds_load_b32 v0, v0 offset:4
.LBB22_44:
	s_or_saveexec_b32 s13, s13
	v_mov_b32_e32 v27, v22
	s_xor_b32 exec_lo, exec_lo, s13
	s_cbranch_execz .LBB22_46
; %bb.45:
	s_waitcnt lgkmcnt(0)
	v_lshl_add_u32 v0, v23, 2, v10
	ds_load_b32 v27, v0 offset:4
	v_mov_b32_e32 v0, v21
.LBB22_46:
	s_or_b32 exec_lo, exec_lo, s13
	v_add_nc_u32_e32 v25, 1, v24
	v_add_nc_u32_e32 v28, 1, v23
	s_waitcnt lgkmcnt(0)
	v_cmp_lt_i32_e64 s14, v27, v0
	s_delay_alu instid0(VALU_DEP_3) | instskip(NEXT) | instid1(VALU_DEP_3)
	v_cndmask_b32_e64 v26, v25, v24, s12
	v_cndmask_b32_e64 v25, v23, v28, s12
                                        ; implicit-def: $vgpr24
	s_delay_alu instid0(VALU_DEP_2) | instskip(NEXT) | instid1(VALU_DEP_2)
	v_cmp_ge_i32_e64 s13, v26, v16
	v_cmp_lt_i32_e64 s15, v25, v17
	s_delay_alu instid0(VALU_DEP_2)
	s_or_b32 s13, s13, s14
	s_delay_alu instid0(VALU_DEP_1) | instid1(SALU_CYCLE_1)
	s_and_b32 s13, s15, s13
	s_delay_alu instid0(SALU_CYCLE_1) | instskip(NEXT) | instid1(SALU_CYCLE_1)
	s_xor_b32 s14, s13, -1
	s_and_saveexec_b32 s15, s14
	s_delay_alu instid0(SALU_CYCLE_1)
	s_xor_b32 s14, exec_lo, s15
	s_cbranch_execz .LBB22_48
; %bb.47:
	v_lshl_add_u32 v23, v26, 2, v10
	ds_load_b32 v24, v23 offset:4
.LBB22_48:
	s_or_saveexec_b32 s14, s14
	v_mov_b32_e32 v28, v27
	s_xor_b32 exec_lo, exec_lo, s14
	s_cbranch_execz .LBB22_50
; %bb.49:
	v_lshl_add_u32 v23, v25, 2, v10
	s_waitcnt lgkmcnt(0)
	v_mov_b32_e32 v24, v0
	ds_load_b32 v28, v23 offset:4
.LBB22_50:
	s_or_b32 exec_lo, exec_lo, s14
	v_and_b32_e32 v23, 0x60, v15
	v_cndmask_b32_e64 v27, v0, v27, s13
	v_cndmask_b32_e64 v19, v19, v20, s11
	v_add_nc_u32_e32 v30, 1, v26
	v_cndmask_b32_e64 v7, v7, v18, s10
	v_min_i32_e32 v23, v13, v23
	v_cndmask_b32_e64 v18, v4, v2, s8
	v_and_b32_e32 v4, 24, v15
	v_cndmask_b32_e64 v6, v5, v6, s9
	v_cndmask_b32_e64 v21, v21, v22, s12
	v_add_nc_u32_e32 v29, 16, v23
	; wave barrier
	s_delay_alu instid0(VALU_DEP_1) | instskip(SKIP_1) | instid1(VALU_DEP_2)
	v_min_i32_e32 v0, v13, v29
	v_add_nc_u32_e32 v29, 1, v25
	v_add_nc_u32_e32 v20, 16, v0
	s_delay_alu instid0(VALU_DEP_2) | instskip(SKIP_1) | instid1(VALU_DEP_3)
	v_cndmask_b32_e64 v5, v25, v29, s13
	v_sub_nc_u32_e32 v22, v0, v23
	v_min_i32_e32 v2, v13, v20
	v_cndmask_b32_e64 v20, v1, v3, s7
	v_min_i32_e32 v1, v13, v4
	v_cndmask_b32_e64 v4, v30, v26, s13
	s_waitcnt lgkmcnt(0)
	v_cmp_lt_i32_e64 s7, v28, v24
	v_sub_nc_u32_e32 v3, v2, v0
	v_cmp_lt_i32_e64 s9, v5, v17
	v_min_i32_e32 v5, v1, v22
	v_cmp_ge_i32_e64 s8, v4, v16
	s_delay_alu instid0(VALU_DEP_4) | instskip(SKIP_2) | instid1(VALU_DEP_4)
	v_sub_nc_u32_e32 v25, v1, v3
	v_cmp_ge_i32_e64 s10, v1, v3
	v_lshl_add_u32 v3, v23, 2, v10
	s_or_b32 s7, s8, s7
	s_mov_b32 s8, exec_lo
	s_and_b32 s7, s9, s7
	v_cndmask_b32_e64 v4, 0, v25, s10
	v_cndmask_b32_e64 v16, v24, v28, s7
	s_mov_b32 s9, 0
	ds_store_2addr_b32 v11, v20, v18 offset1:1
	ds_store_2addr_b32 v11, v6, v7 offset0:2 offset1:3
	ds_store_2addr_b32 v11, v19, v21 offset0:4 offset1:5
	;; [unrolled: 1-line block ×3, first 2 shown]
	; wave barrier
	v_cmpx_lt_i32_e64 v4, v5
	s_cbranch_execz .LBB22_54
; %bb.51:
	v_lshlrev_b32_e32 v6, 2, v0
	v_lshlrev_b32_e32 v7, 2, v1
	s_delay_alu instid0(VALU_DEP_1)
	v_add3_u32 v6, v10, v6, v7
	.p2align	6
.LBB22_52:                              ; =>This Inner Loop Header: Depth=1
	v_sub_nc_u32_e32 v7, v5, v4
	s_delay_alu instid0(VALU_DEP_1) | instskip(NEXT) | instid1(VALU_DEP_1)
	v_lshrrev_b32_e32 v16, 31, v7
	v_add_nc_u32_e32 v7, v7, v16
	s_delay_alu instid0(VALU_DEP_1) | instskip(NEXT) | instid1(VALU_DEP_1)
	v_ashrrev_i32_e32 v7, 1, v7
	v_add_nc_u32_e32 v7, v7, v4
	s_delay_alu instid0(VALU_DEP_1) | instskip(SKIP_2) | instid1(VALU_DEP_3)
	v_not_b32_e32 v16, v7
	v_lshl_add_u32 v17, v7, 2, v3
	v_add_nc_u32_e32 v18, 1, v7
	v_lshl_add_u32 v16, v16, 2, v6
	ds_load_b32 v17, v17
	ds_load_b32 v16, v16
	s_waitcnt lgkmcnt(0)
	v_cmp_lt_i32_e64 s7, v16, v17
	s_delay_alu instid0(VALU_DEP_1) | instskip(SKIP_1) | instid1(VALU_DEP_1)
	v_cndmask_b32_e64 v5, v5, v7, s7
	v_cndmask_b32_e64 v4, v18, v4, s7
	v_cmp_ge_i32_e64 s7, v4, v5
	s_delay_alu instid0(VALU_DEP_1) | instskip(NEXT) | instid1(SALU_CYCLE_1)
	s_or_b32 s9, s7, s9
	s_and_not1_b32 exec_lo, exec_lo, s9
	s_cbranch_execnz .LBB22_52
; %bb.53:
	s_or_b32 exec_lo, exec_lo, s9
.LBB22_54:
	s_delay_alu instid0(SALU_CYCLE_1) | instskip(SKIP_3) | instid1(VALU_DEP_3)
	s_or_b32 exec_lo, exec_lo, s8
	v_add_nc_u32_e32 v1, v0, v1
	v_lshl_add_u32 v17, v4, 2, v3
	v_add_nc_u32_e32 v7, v4, v23
                                        ; implicit-def: $vgpr6
	v_sub_nc_u32_e32 v1, v1, v4
                                        ; implicit-def: $vgpr4
	s_delay_alu instid0(VALU_DEP_2) | instskip(NEXT) | instid1(VALU_DEP_2)
	v_cmp_le_i32_e64 s7, v0, v7
	v_lshl_add_u32 v16, v1, 2, v10
	v_cmp_gt_i32_e64 s9, v2, v1
	ds_load_b32 v3, v17
	ds_load_b32 v5, v16
	s_waitcnt lgkmcnt(0)
	v_cmp_lt_i32_e64 s8, v5, v3
	s_delay_alu instid0(VALU_DEP_1) | instskip(NEXT) | instid1(SALU_CYCLE_1)
	s_or_b32 s7, s7, s8
	s_and_b32 s7, s9, s7
	s_delay_alu instid0(SALU_CYCLE_1) | instskip(NEXT) | instid1(SALU_CYCLE_1)
	s_xor_b32 s8, s7, -1
	s_and_saveexec_b32 s9, s8
	s_delay_alu instid0(SALU_CYCLE_1)
	s_xor_b32 s8, exec_lo, s9
	s_cbranch_execz .LBB22_56
; %bb.55:
	ds_load_b32 v6, v17 offset:4
	v_mov_b32_e32 v4, v5
                                        ; implicit-def: $vgpr16
.LBB22_56:
	s_and_not1_saveexec_b32 s8, s8
	s_cbranch_execz .LBB22_58
; %bb.57:
	ds_load_b32 v4, v16 offset:4
	s_waitcnt lgkmcnt(1)
	v_mov_b32_e32 v6, v3
.LBB22_58:
	s_or_b32 exec_lo, exec_lo, s8
	v_add_nc_u32_e32 v16, 1, v7
	v_add_nc_u32_e32 v18, 1, v1
	s_waitcnt lgkmcnt(0)
	v_cmp_lt_i32_e64 s9, v4, v6
	s_delay_alu instid0(VALU_DEP_3) | instskip(NEXT) | instid1(VALU_DEP_3)
	v_cndmask_b32_e64 v17, v16, v7, s7
	v_cndmask_b32_e64 v1, v1, v18, s7
                                        ; implicit-def: $vgpr7
	s_delay_alu instid0(VALU_DEP_2) | instskip(NEXT) | instid1(VALU_DEP_2)
	v_cmp_ge_i32_e64 s8, v17, v0
	v_cmp_lt_i32_e64 s10, v1, v2
	s_delay_alu instid0(VALU_DEP_2)
	s_or_b32 s8, s8, s9
	s_delay_alu instid0(VALU_DEP_1) | instid1(SALU_CYCLE_1)
	s_and_b32 s8, s10, s8
	s_delay_alu instid0(SALU_CYCLE_1) | instskip(NEXT) | instid1(SALU_CYCLE_1)
	s_xor_b32 s9, s8, -1
	s_and_saveexec_b32 s10, s9
	s_delay_alu instid0(SALU_CYCLE_1)
	s_xor_b32 s9, exec_lo, s10
	s_cbranch_execz .LBB22_60
; %bb.59:
	v_lshl_add_u32 v7, v17, 2, v10
	ds_load_b32 v7, v7 offset:4
.LBB22_60:
	s_or_saveexec_b32 s9, s9
	v_mov_b32_e32 v16, v4
	s_xor_b32 exec_lo, exec_lo, s9
	s_cbranch_execz .LBB22_62
; %bb.61:
	s_waitcnt lgkmcnt(0)
	v_lshl_add_u32 v7, v1, 2, v10
	ds_load_b32 v16, v7 offset:4
	v_mov_b32_e32 v7, v6
.LBB22_62:
	s_or_b32 exec_lo, exec_lo, s9
	v_add_nc_u32_e32 v18, 1, v17
	v_add_nc_u32_e32 v20, 1, v1
	s_waitcnt lgkmcnt(0)
	v_cmp_lt_i32_e64 s10, v16, v7
	s_delay_alu instid0(VALU_DEP_3) | instskip(NEXT) | instid1(VALU_DEP_3)
	v_cndmask_b32_e64 v19, v18, v17, s8
	v_cndmask_b32_e64 v1, v1, v20, s8
                                        ; implicit-def: $vgpr17
	s_delay_alu instid0(VALU_DEP_2) | instskip(NEXT) | instid1(VALU_DEP_2)
	v_cmp_ge_i32_e64 s9, v19, v0
	v_cmp_lt_i32_e64 s11, v1, v2
	s_delay_alu instid0(VALU_DEP_2)
	s_or_b32 s9, s9, s10
	s_delay_alu instid0(VALU_DEP_1) | instid1(SALU_CYCLE_1)
	s_and_b32 s9, s11, s9
	s_delay_alu instid0(SALU_CYCLE_1) | instskip(NEXT) | instid1(SALU_CYCLE_1)
	s_xor_b32 s10, s9, -1
	s_and_saveexec_b32 s11, s10
	s_delay_alu instid0(SALU_CYCLE_1)
	s_xor_b32 s10, exec_lo, s11
	s_cbranch_execz .LBB22_64
; %bb.63:
	v_lshl_add_u32 v17, v19, 2, v10
	ds_load_b32 v17, v17 offset:4
.LBB22_64:
	s_or_saveexec_b32 s10, s10
	v_mov_b32_e32 v18, v16
	s_xor_b32 exec_lo, exec_lo, s10
	s_cbranch_execz .LBB22_66
; %bb.65:
	s_waitcnt lgkmcnt(0)
	v_lshl_add_u32 v17, v1, 2, v10
	ds_load_b32 v18, v17 offset:4
	v_mov_b32_e32 v17, v7
.LBB22_66:
	s_or_b32 exec_lo, exec_lo, s10
	v_add_nc_u32_e32 v20, 1, v19
	v_add_nc_u32_e32 v22, 1, v1
	s_waitcnt lgkmcnt(0)
	v_cmp_lt_i32_e64 s11, v18, v17
	s_delay_alu instid0(VALU_DEP_3) | instskip(NEXT) | instid1(VALU_DEP_3)
	v_cndmask_b32_e64 v21, v20, v19, s9
	v_cndmask_b32_e64 v1, v1, v22, s9
                                        ; implicit-def: $vgpr19
	s_delay_alu instid0(VALU_DEP_2) | instskip(NEXT) | instid1(VALU_DEP_2)
	v_cmp_ge_i32_e64 s10, v21, v0
	v_cmp_lt_i32_e64 s12, v1, v2
	s_delay_alu instid0(VALU_DEP_2)
	s_or_b32 s10, s10, s11
	s_delay_alu instid0(VALU_DEP_1) | instid1(SALU_CYCLE_1)
	s_and_b32 s10, s12, s10
	s_delay_alu instid0(SALU_CYCLE_1) | instskip(NEXT) | instid1(SALU_CYCLE_1)
	s_xor_b32 s11, s10, -1
	s_and_saveexec_b32 s12, s11
	s_delay_alu instid0(SALU_CYCLE_1)
	s_xor_b32 s11, exec_lo, s12
	s_cbranch_execz .LBB22_68
; %bb.67:
	v_lshl_add_u32 v19, v21, 2, v10
	ds_load_b32 v19, v19 offset:4
.LBB22_68:
	s_or_saveexec_b32 s11, s11
	v_mov_b32_e32 v20, v18
	s_xor_b32 exec_lo, exec_lo, s11
	s_cbranch_execz .LBB22_70
; %bb.69:
	s_waitcnt lgkmcnt(0)
	v_lshl_add_u32 v19, v1, 2, v10
	ds_load_b32 v20, v19 offset:4
	v_mov_b32_e32 v19, v17
.LBB22_70:
	s_or_b32 exec_lo, exec_lo, s11
	v_add_nc_u32_e32 v22, 1, v21
	v_add_nc_u32_e32 v24, 1, v1
	s_waitcnt lgkmcnt(0)
	v_cmp_lt_i32_e64 s12, v20, v19
	s_delay_alu instid0(VALU_DEP_3) | instskip(NEXT) | instid1(VALU_DEP_3)
	v_cndmask_b32_e64 v23, v22, v21, s10
	v_cndmask_b32_e64 v1, v1, v24, s10
                                        ; implicit-def: $vgpr21
	s_delay_alu instid0(VALU_DEP_2) | instskip(NEXT) | instid1(VALU_DEP_2)
	v_cmp_ge_i32_e64 s11, v23, v0
	v_cmp_lt_i32_e64 s13, v1, v2
	s_delay_alu instid0(VALU_DEP_2)
	s_or_b32 s11, s11, s12
	s_delay_alu instid0(VALU_DEP_1) | instid1(SALU_CYCLE_1)
	s_and_b32 s11, s13, s11
	s_delay_alu instid0(SALU_CYCLE_1) | instskip(NEXT) | instid1(SALU_CYCLE_1)
	s_xor_b32 s12, s11, -1
	s_and_saveexec_b32 s13, s12
	s_delay_alu instid0(SALU_CYCLE_1)
	s_xor_b32 s12, exec_lo, s13
	s_cbranch_execz .LBB22_72
; %bb.71:
	v_lshl_add_u32 v21, v23, 2, v10
	ds_load_b32 v21, v21 offset:4
.LBB22_72:
	s_or_saveexec_b32 s12, s12
	v_mov_b32_e32 v22, v20
	s_xor_b32 exec_lo, exec_lo, s12
	s_cbranch_execz .LBB22_74
; %bb.73:
	s_waitcnt lgkmcnt(0)
	v_lshl_add_u32 v21, v1, 2, v10
	ds_load_b32 v22, v21 offset:4
	v_mov_b32_e32 v21, v19
.LBB22_74:
	s_or_b32 exec_lo, exec_lo, s12
	v_add_nc_u32_e32 v24, 1, v23
	v_add_nc_u32_e32 v25, 1, v1
	s_waitcnt lgkmcnt(0)
	v_cmp_lt_i32_e64 s13, v22, v21
	s_delay_alu instid0(VALU_DEP_3) | instskip(NEXT) | instid1(VALU_DEP_3)
	v_cndmask_b32_e64 v24, v24, v23, s11
	v_cndmask_b32_e64 v23, v1, v25, s11
                                        ; implicit-def: $vgpr1
	s_delay_alu instid0(VALU_DEP_2) | instskip(NEXT) | instid1(VALU_DEP_2)
	v_cmp_ge_i32_e64 s12, v24, v0
	v_cmp_lt_i32_e64 s14, v23, v2
	s_delay_alu instid0(VALU_DEP_2)
	s_or_b32 s12, s12, s13
	s_delay_alu instid0(VALU_DEP_1) | instid1(SALU_CYCLE_1)
	s_and_b32 s12, s14, s12
	s_delay_alu instid0(SALU_CYCLE_1) | instskip(NEXT) | instid1(SALU_CYCLE_1)
	s_xor_b32 s13, s12, -1
	s_and_saveexec_b32 s14, s13
	s_delay_alu instid0(SALU_CYCLE_1)
	s_xor_b32 s13, exec_lo, s14
	s_cbranch_execz .LBB22_76
; %bb.75:
	v_lshl_add_u32 v1, v24, 2, v10
	ds_load_b32 v1, v1 offset:4
.LBB22_76:
	s_or_saveexec_b32 s13, s13
	v_mov_b32_e32 v27, v22
	s_xor_b32 exec_lo, exec_lo, s13
	s_cbranch_execz .LBB22_78
; %bb.77:
	s_waitcnt lgkmcnt(0)
	v_lshl_add_u32 v1, v23, 2, v10
	ds_load_b32 v27, v1 offset:4
	v_mov_b32_e32 v1, v21
.LBB22_78:
	s_or_b32 exec_lo, exec_lo, s13
	v_add_nc_u32_e32 v25, 1, v24
	v_add_nc_u32_e32 v28, 1, v23
	s_waitcnt lgkmcnt(0)
	v_cmp_lt_i32_e64 s14, v27, v1
	s_delay_alu instid0(VALU_DEP_3) | instskip(NEXT) | instid1(VALU_DEP_3)
	v_cndmask_b32_e64 v26, v25, v24, s12
	v_cndmask_b32_e64 v25, v23, v28, s12
                                        ; implicit-def: $vgpr24
	s_delay_alu instid0(VALU_DEP_2) | instskip(NEXT) | instid1(VALU_DEP_2)
	v_cmp_ge_i32_e64 s13, v26, v0
	v_cmp_lt_i32_e64 s15, v25, v2
	s_delay_alu instid0(VALU_DEP_2)
	s_or_b32 s13, s13, s14
	s_delay_alu instid0(VALU_DEP_1) | instid1(SALU_CYCLE_1)
	s_and_b32 s13, s15, s13
	s_delay_alu instid0(SALU_CYCLE_1) | instskip(NEXT) | instid1(SALU_CYCLE_1)
	s_xor_b32 s14, s13, -1
	s_and_saveexec_b32 s15, s14
	s_delay_alu instid0(SALU_CYCLE_1)
	s_xor_b32 s14, exec_lo, s15
	s_cbranch_execz .LBB22_80
; %bb.79:
	v_lshl_add_u32 v23, v26, 2, v10
	ds_load_b32 v24, v23 offset:4
.LBB22_80:
	s_or_saveexec_b32 s14, s14
	v_mov_b32_e32 v28, v27
	s_xor_b32 exec_lo, exec_lo, s14
	s_cbranch_execz .LBB22_82
; %bb.81:
	v_lshl_add_u32 v23, v25, 2, v10
	s_waitcnt lgkmcnt(0)
	v_mov_b32_e32 v24, v1
	ds_load_b32 v28, v23 offset:4
.LBB22_82:
	s_or_b32 exec_lo, exec_lo, s14
	v_and_b32_e32 v23, 64, v15
	v_cndmask_b32_e64 v27, v1, v27, s13
	v_cndmask_b32_e64 v19, v19, v20, s11
	v_add_nc_u32_e32 v30, 1, v26
	v_cndmask_b32_e64 v6, v6, v4, s8
	v_min_i32_e32 v23, v13, v23
	v_and_b32_e32 v15, 56, v15
	v_cndmask_b32_e64 v7, v7, v16, s9
	v_cndmask_b32_e64 v16, v3, v5, s7
	v_cndmask_b32_e64 v5, v30, v26, s13
	v_add_nc_u32_e32 v29, 32, v23
	v_min_i32_e32 v3, v13, v15
	v_cndmask_b32_e64 v17, v17, v18, s10
	s_waitcnt lgkmcnt(0)
	v_cmp_lt_i32_e64 s7, v28, v24
	v_cmp_ge_i32_e64 s8, v5, v0
	v_min_i32_e32 v1, v13, v29
	v_add_nc_u32_e32 v29, 1, v25
	v_cndmask_b32_e64 v21, v21, v22, s12
	v_lshl_add_u32 v0, v23, 2, v10
	s_or_b32 s7, s8, s7
	v_add_nc_u32_e32 v20, 32, v1
	v_cndmask_b32_e64 v18, v25, v29, s13
	s_mov_b32 s8, exec_lo
	; wave barrier
	s_delay_alu instid0(VALU_DEP_2) | instskip(SKIP_1) | instid1(VALU_DEP_3)
	v_min_i32_e32 v4, v13, v20
	v_sub_nc_u32_e32 v20, v1, v23
	v_cmp_lt_i32_e64 s9, v18, v2
	s_delay_alu instid0(VALU_DEP_3) | instskip(NEXT) | instid1(VALU_DEP_3)
	v_sub_nc_u32_e32 v15, v4, v1
	v_min_i32_e32 v5, v3, v20
	s_delay_alu instid0(VALU_DEP_3) | instskip(SKIP_1) | instid1(VALU_DEP_2)
	s_and_b32 s7, s9, s7
	s_mov_b32 s9, 0
	v_sub_nc_u32_e32 v22, v3, v15
	v_cmp_ge_i32_e64 s10, v3, v15
	v_cndmask_b32_e64 v15, v24, v28, s7
	ds_store_2addr_b32 v11, v16, v6 offset1:1
	ds_store_2addr_b32 v11, v7, v17 offset0:2 offset1:3
	ds_store_2addr_b32 v11, v19, v21 offset0:4 offset1:5
	;; [unrolled: 1-line block ×3, first 2 shown]
	v_cndmask_b32_e64 v2, 0, v22, s10
	; wave barrier
	s_delay_alu instid0(VALU_DEP_1)
	v_cmpx_lt_i32_e64 v2, v5
	s_cbranch_execz .LBB22_86
; %bb.83:
	v_lshlrev_b32_e32 v6, 2, v1
	v_lshlrev_b32_e32 v7, 2, v3
	s_delay_alu instid0(VALU_DEP_1)
	v_add3_u32 v6, v10, v6, v7
	.p2align	6
.LBB22_84:                              ; =>This Inner Loop Header: Depth=1
	v_sub_nc_u32_e32 v7, v5, v2
	s_delay_alu instid0(VALU_DEP_1) | instskip(NEXT) | instid1(VALU_DEP_1)
	v_lshrrev_b32_e32 v15, 31, v7
	v_add_nc_u32_e32 v7, v7, v15
	s_delay_alu instid0(VALU_DEP_1) | instskip(NEXT) | instid1(VALU_DEP_1)
	v_ashrrev_i32_e32 v7, 1, v7
	v_add_nc_u32_e32 v7, v7, v2
	s_delay_alu instid0(VALU_DEP_1) | instskip(SKIP_2) | instid1(VALU_DEP_3)
	v_not_b32_e32 v15, v7
	v_lshl_add_u32 v16, v7, 2, v0
	v_add_nc_u32_e32 v17, 1, v7
	v_lshl_add_u32 v15, v15, 2, v6
	ds_load_b32 v16, v16
	ds_load_b32 v15, v15
	s_waitcnt lgkmcnt(0)
	v_cmp_lt_i32_e64 s7, v15, v16
	s_delay_alu instid0(VALU_DEP_1) | instskip(SKIP_1) | instid1(VALU_DEP_1)
	v_cndmask_b32_e64 v5, v5, v7, s7
	v_cndmask_b32_e64 v2, v17, v2, s7
	v_cmp_ge_i32_e64 s7, v2, v5
	s_delay_alu instid0(VALU_DEP_1) | instskip(NEXT) | instid1(SALU_CYCLE_1)
	s_or_b32 s9, s7, s9
	s_and_not1_b32 exec_lo, exec_lo, s9
	s_cbranch_execnz .LBB22_84
; %bb.85:
	s_or_b32 exec_lo, exec_lo, s9
.LBB22_86:
	s_delay_alu instid0(SALU_CYCLE_1) | instskip(SKIP_2) | instid1(VALU_DEP_2)
	s_or_b32 exec_lo, exec_lo, s8
	v_add_nc_u32_e32 v3, v1, v3
	v_lshl_add_u32 v16, v2, 2, v0
                                        ; implicit-def: $vgpr6
	v_sub_nc_u32_e32 v7, v3, v2
	v_add_nc_u32_e32 v2, v2, v23
                                        ; implicit-def: $vgpr3
	s_delay_alu instid0(VALU_DEP_2) | instskip(NEXT) | instid1(VALU_DEP_2)
	v_lshl_add_u32 v15, v7, 2, v10
	v_cmp_le_i32_e64 s7, v1, v2
	v_cmp_gt_i32_e64 s9, v4, v7
	ds_load_b32 v0, v16
	ds_load_b32 v5, v15
	s_waitcnt lgkmcnt(0)
	v_cmp_lt_i32_e64 s8, v5, v0
	s_delay_alu instid0(VALU_DEP_1) | instskip(NEXT) | instid1(SALU_CYCLE_1)
	s_or_b32 s7, s7, s8
	s_and_b32 s7, s9, s7
	s_delay_alu instid0(SALU_CYCLE_1) | instskip(NEXT) | instid1(SALU_CYCLE_1)
	s_xor_b32 s8, s7, -1
	s_and_saveexec_b32 s9, s8
	s_delay_alu instid0(SALU_CYCLE_1)
	s_xor_b32 s8, exec_lo, s9
	s_cbranch_execz .LBB22_88
; %bb.87:
	ds_load_b32 v6, v16 offset:4
	v_mov_b32_e32 v3, v5
                                        ; implicit-def: $vgpr15
.LBB22_88:
	s_and_not1_saveexec_b32 s8, s8
	s_cbranch_execz .LBB22_90
; %bb.89:
	ds_load_b32 v3, v15 offset:4
	s_waitcnt lgkmcnt(1)
	v_mov_b32_e32 v6, v0
.LBB22_90:
	s_or_b32 exec_lo, exec_lo, s8
	v_add_nc_u32_e32 v15, 1, v2
	v_add_nc_u32_e32 v17, 1, v7
	s_waitcnt lgkmcnt(0)
	v_cmp_lt_i32_e64 s9, v3, v6
	s_delay_alu instid0(VALU_DEP_3) | instskip(NEXT) | instid1(VALU_DEP_3)
	v_cndmask_b32_e64 v16, v15, v2, s7
	v_cndmask_b32_e64 v2, v7, v17, s7
                                        ; implicit-def: $vgpr7
	s_delay_alu instid0(VALU_DEP_2) | instskip(NEXT) | instid1(VALU_DEP_2)
	v_cmp_ge_i32_e64 s8, v16, v1
	v_cmp_lt_i32_e64 s10, v2, v4
	s_delay_alu instid0(VALU_DEP_2)
	s_or_b32 s8, s8, s9
	s_delay_alu instid0(VALU_DEP_1) | instid1(SALU_CYCLE_1)
	s_and_b32 s8, s10, s8
	s_delay_alu instid0(SALU_CYCLE_1) | instskip(NEXT) | instid1(SALU_CYCLE_1)
	s_xor_b32 s9, s8, -1
	s_and_saveexec_b32 s10, s9
	s_delay_alu instid0(SALU_CYCLE_1)
	s_xor_b32 s9, exec_lo, s10
	s_cbranch_execz .LBB22_92
; %bb.91:
	v_lshl_add_u32 v7, v16, 2, v10
	ds_load_b32 v7, v7 offset:4
.LBB22_92:
	s_or_saveexec_b32 s9, s9
	v_mov_b32_e32 v15, v3
	s_xor_b32 exec_lo, exec_lo, s9
	s_cbranch_execz .LBB22_94
; %bb.93:
	s_waitcnt lgkmcnt(0)
	v_lshl_add_u32 v7, v2, 2, v10
	ds_load_b32 v15, v7 offset:4
	v_mov_b32_e32 v7, v6
.LBB22_94:
	s_or_b32 exec_lo, exec_lo, s9
	v_add_nc_u32_e32 v17, 1, v16
	v_add_nc_u32_e32 v19, 1, v2
	s_waitcnt lgkmcnt(0)
	v_cmp_lt_i32_e64 s10, v15, v7
	s_delay_alu instid0(VALU_DEP_3) | instskip(NEXT) | instid1(VALU_DEP_3)
	v_cndmask_b32_e64 v18, v17, v16, s8
	v_cndmask_b32_e64 v2, v2, v19, s8
                                        ; implicit-def: $vgpr16
	s_delay_alu instid0(VALU_DEP_2) | instskip(NEXT) | instid1(VALU_DEP_2)
	v_cmp_ge_i32_e64 s9, v18, v1
	v_cmp_lt_i32_e64 s11, v2, v4
	s_delay_alu instid0(VALU_DEP_2)
	s_or_b32 s9, s9, s10
	s_delay_alu instid0(VALU_DEP_1) | instid1(SALU_CYCLE_1)
	s_and_b32 s9, s11, s9
	s_delay_alu instid0(SALU_CYCLE_1) | instskip(NEXT) | instid1(SALU_CYCLE_1)
	s_xor_b32 s10, s9, -1
	s_and_saveexec_b32 s11, s10
	s_delay_alu instid0(SALU_CYCLE_1)
	s_xor_b32 s10, exec_lo, s11
	s_cbranch_execz .LBB22_96
; %bb.95:
	v_lshl_add_u32 v16, v18, 2, v10
	ds_load_b32 v16, v16 offset:4
.LBB22_96:
	s_or_saveexec_b32 s10, s10
	v_mov_b32_e32 v17, v15
	s_xor_b32 exec_lo, exec_lo, s10
	s_cbranch_execz .LBB22_98
; %bb.97:
	s_waitcnt lgkmcnt(0)
	v_lshl_add_u32 v16, v2, 2, v10
	ds_load_b32 v17, v16 offset:4
	v_mov_b32_e32 v16, v7
.LBB22_98:
	s_or_b32 exec_lo, exec_lo, s10
	v_add_nc_u32_e32 v19, 1, v18
	v_add_nc_u32_e32 v21, 1, v2
	s_waitcnt lgkmcnt(0)
	v_cmp_lt_i32_e64 s11, v17, v16
	s_delay_alu instid0(VALU_DEP_3) | instskip(NEXT) | instid1(VALU_DEP_3)
	v_cndmask_b32_e64 v20, v19, v18, s9
	v_cndmask_b32_e64 v2, v2, v21, s9
                                        ; implicit-def: $vgpr18
	s_delay_alu instid0(VALU_DEP_2) | instskip(NEXT) | instid1(VALU_DEP_2)
	v_cmp_ge_i32_e64 s10, v20, v1
	v_cmp_lt_i32_e64 s12, v2, v4
	s_delay_alu instid0(VALU_DEP_2)
	s_or_b32 s10, s10, s11
	s_delay_alu instid0(VALU_DEP_1) | instid1(SALU_CYCLE_1)
	s_and_b32 s10, s12, s10
	s_delay_alu instid0(SALU_CYCLE_1) | instskip(NEXT) | instid1(SALU_CYCLE_1)
	s_xor_b32 s11, s10, -1
	s_and_saveexec_b32 s12, s11
	s_delay_alu instid0(SALU_CYCLE_1)
	s_xor_b32 s11, exec_lo, s12
	s_cbranch_execz .LBB22_100
; %bb.99:
	v_lshl_add_u32 v18, v20, 2, v10
	ds_load_b32 v18, v18 offset:4
.LBB22_100:
	s_or_saveexec_b32 s11, s11
	v_mov_b32_e32 v19, v17
	s_xor_b32 exec_lo, exec_lo, s11
	s_cbranch_execz .LBB22_102
; %bb.101:
	s_waitcnt lgkmcnt(0)
	v_lshl_add_u32 v18, v2, 2, v10
	ds_load_b32 v19, v18 offset:4
	v_mov_b32_e32 v18, v16
.LBB22_102:
	s_or_b32 exec_lo, exec_lo, s11
	v_add_nc_u32_e32 v21, 1, v20
	v_add_nc_u32_e32 v23, 1, v2
	s_waitcnt lgkmcnt(0)
	v_cmp_lt_i32_e64 s12, v19, v18
	s_delay_alu instid0(VALU_DEP_3) | instskip(NEXT) | instid1(VALU_DEP_3)
	v_cndmask_b32_e64 v22, v21, v20, s10
	v_cndmask_b32_e64 v2, v2, v23, s10
                                        ; implicit-def: $vgpr20
	s_delay_alu instid0(VALU_DEP_2) | instskip(NEXT) | instid1(VALU_DEP_2)
	v_cmp_ge_i32_e64 s11, v22, v1
	v_cmp_lt_i32_e64 s13, v2, v4
	s_delay_alu instid0(VALU_DEP_2)
	s_or_b32 s11, s11, s12
	s_delay_alu instid0(VALU_DEP_1) | instid1(SALU_CYCLE_1)
	s_and_b32 s11, s13, s11
	s_delay_alu instid0(SALU_CYCLE_1) | instskip(NEXT) | instid1(SALU_CYCLE_1)
	s_xor_b32 s12, s11, -1
	s_and_saveexec_b32 s13, s12
	s_delay_alu instid0(SALU_CYCLE_1)
	s_xor_b32 s12, exec_lo, s13
	s_cbranch_execz .LBB22_104
; %bb.103:
	v_lshl_add_u32 v20, v22, 2, v10
	ds_load_b32 v20, v20 offset:4
.LBB22_104:
	s_or_saveexec_b32 s12, s12
	v_mov_b32_e32 v21, v19
	s_xor_b32 exec_lo, exec_lo, s12
	s_cbranch_execz .LBB22_106
; %bb.105:
	s_waitcnt lgkmcnt(0)
	v_lshl_add_u32 v20, v2, 2, v10
	ds_load_b32 v21, v20 offset:4
	v_mov_b32_e32 v20, v18
.LBB22_106:
	s_or_b32 exec_lo, exec_lo, s12
	v_add_nc_u32_e32 v23, 1, v22
	v_add_nc_u32_e32 v24, 1, v2
	s_waitcnt lgkmcnt(0)
	v_cmp_lt_i32_e64 s13, v21, v20
	s_delay_alu instid0(VALU_DEP_3) | instskip(NEXT) | instid1(VALU_DEP_3)
	v_cndmask_b32_e64 v22, v23, v22, s11
	v_cndmask_b32_e64 v2, v2, v24, s11
                                        ; implicit-def: $vgpr23
	s_delay_alu instid0(VALU_DEP_2) | instskip(NEXT) | instid1(VALU_DEP_2)
	v_cmp_ge_i32_e64 s12, v22, v1
	v_cmp_lt_i32_e64 s14, v2, v4
	s_delay_alu instid0(VALU_DEP_2)
	s_or_b32 s12, s12, s13
	s_delay_alu instid0(VALU_DEP_1) | instid1(SALU_CYCLE_1)
	s_and_b32 s12, s14, s12
	s_delay_alu instid0(SALU_CYCLE_1) | instskip(NEXT) | instid1(SALU_CYCLE_1)
	s_xor_b32 s13, s12, -1
	s_and_saveexec_b32 s14, s13
	s_delay_alu instid0(SALU_CYCLE_1)
	s_xor_b32 s13, exec_lo, s14
	s_cbranch_execz .LBB22_108
; %bb.107:
	v_lshl_add_u32 v23, v22, 2, v10
	ds_load_b32 v23, v23 offset:4
.LBB22_108:
	s_or_saveexec_b32 s13, s13
	v_mov_b32_e32 v27, v21
	s_xor_b32 exec_lo, exec_lo, s13
	s_cbranch_execz .LBB22_110
; %bb.109:
	s_waitcnt lgkmcnt(0)
	v_lshl_add_u32 v23, v2, 2, v10
	ds_load_b32 v27, v23 offset:4
	v_mov_b32_e32 v23, v20
.LBB22_110:
	s_or_b32 exec_lo, exec_lo, s13
	v_add_nc_u32_e32 v24, 1, v22
	v_add_nc_u32_e32 v25, 1, v2
	s_waitcnt lgkmcnt(0)
	v_cmp_lt_i32_e64 s14, v27, v23
	s_delay_alu instid0(VALU_DEP_3) | instskip(NEXT) | instid1(VALU_DEP_3)
	v_cndmask_b32_e64 v26, v24, v22, s12
	v_cndmask_b32_e64 v25, v2, v25, s12
                                        ; implicit-def: $vgpr24
	s_delay_alu instid0(VALU_DEP_2) | instskip(NEXT) | instid1(VALU_DEP_2)
	v_cmp_ge_i32_e64 s13, v26, v1
	v_cmp_lt_i32_e64 s15, v25, v4
	s_delay_alu instid0(VALU_DEP_2)
	s_or_b32 s13, s13, s14
	s_delay_alu instid0(VALU_DEP_1) | instid1(SALU_CYCLE_1)
	s_and_b32 s13, s15, s13
	s_delay_alu instid0(SALU_CYCLE_1) | instskip(NEXT) | instid1(SALU_CYCLE_1)
	s_xor_b32 s14, s13, -1
	s_and_saveexec_b32 s15, s14
	s_delay_alu instid0(SALU_CYCLE_1)
	s_xor_b32 s14, exec_lo, s15
	s_cbranch_execz .LBB22_112
; %bb.111:
	v_lshl_add_u32 v2, v26, 2, v10
	ds_load_b32 v24, v2 offset:4
.LBB22_112:
	s_or_saveexec_b32 s14, s14
	v_mov_b32_e32 v28, v27
	s_xor_b32 exec_lo, exec_lo, s14
	s_cbranch_execz .LBB22_114
; %bb.113:
	v_lshl_add_u32 v2, v25, 2, v10
	s_waitcnt lgkmcnt(0)
	v_mov_b32_e32 v24, v23
	ds_load_b32 v28, v2 offset:4
.LBB22_114:
	s_or_b32 exec_lo, exec_lo, s14
	v_min_i32_e32 v22, 0, v13
	v_cndmask_b32_e64 v20, v20, v21, s12
	v_add_nc_u32_e32 v29, 1, v26
	v_cndmask_b32_e64 v6, v6, v3, s8
	v_cndmask_b32_e64 v23, v23, v27, s13
	v_add_nc_u32_e32 v2, 64, v22
	v_add_nc_u32_e32 v27, 1, v25
	v_cndmask_b32_e64 v7, v7, v15, s9
	v_cndmask_b32_e64 v15, v0, v5, s7
	;; [unrolled: 1-line block ×3, first 2 shown]
	v_min_i32_e32 v2, v13, v2
	v_min_i32_e32 v0, v13, v14
	v_cndmask_b32_e64 v14, v25, v27, s13
	s_waitcnt lgkmcnt(0)
	v_cmp_lt_i32_e64 s7, v28, v24
	v_cmp_ge_i32_e64 s8, v5, v1
	v_add_nc_u32_e32 v21, 64, v2
	v_cndmask_b32_e64 v18, v18, v19, s11
	v_cndmask_b32_e64 v16, v16, v17, s10
	v_sub_nc_u32_e32 v17, v2, v22
	v_cmp_lt_i32_e64 s9, v14, v4
	v_min_i32_e32 v3, v13, v21
	s_or_b32 s7, s8, s7
	v_lshl_add_u32 v4, v22, 2, v10
	v_min_i32_e32 v5, v0, v17
	s_and_b32 s7, s9, s7
	v_sub_nc_u32_e32 v13, v3, v2
	s_mov_b32 s9, 0
	s_mov_b32 s8, exec_lo
	; wave barrier
	s_delay_alu instid0(VALU_DEP_1)
	v_sub_nc_u32_e32 v19, v0, v13
	v_cmp_ge_i32_e64 s10, v0, v13
	v_cndmask_b32_e64 v13, v24, v28, s7
	ds_store_2addr_b32 v11, v15, v6 offset1:1
	ds_store_2addr_b32 v11, v7, v16 offset0:2 offset1:3
	ds_store_2addr_b32 v11, v18, v20 offset0:4 offset1:5
	;; [unrolled: 1-line block ×3, first 2 shown]
	v_cndmask_b32_e64 v1, 0, v19, s10
	; wave barrier
	s_delay_alu instid0(VALU_DEP_1)
	v_cmpx_lt_i32_e64 v1, v5
	s_cbranch_execz .LBB22_118
; %bb.115:
	v_lshlrev_b32_e32 v6, 2, v2
	v_lshlrev_b32_e32 v7, 2, v0
	s_delay_alu instid0(VALU_DEP_1)
	v_add3_u32 v6, v10, v6, v7
	.p2align	6
.LBB22_116:                             ; =>This Inner Loop Header: Depth=1
	v_sub_nc_u32_e32 v7, v5, v1
	s_delay_alu instid0(VALU_DEP_1) | instskip(NEXT) | instid1(VALU_DEP_1)
	v_lshrrev_b32_e32 v11, 31, v7
	v_add_nc_u32_e32 v7, v7, v11
	s_delay_alu instid0(VALU_DEP_1) | instskip(NEXT) | instid1(VALU_DEP_1)
	v_ashrrev_i32_e32 v7, 1, v7
	v_add_nc_u32_e32 v7, v7, v1
	s_delay_alu instid0(VALU_DEP_1) | instskip(SKIP_2) | instid1(VALU_DEP_3)
	v_not_b32_e32 v11, v7
	v_lshl_add_u32 v13, v7, 2, v4
	v_add_nc_u32_e32 v14, 1, v7
	v_lshl_add_u32 v11, v11, 2, v6
	ds_load_b32 v13, v13
	ds_load_b32 v11, v11
	s_waitcnt lgkmcnt(0)
	v_cmp_lt_i32_e64 s7, v11, v13
	s_delay_alu instid0(VALU_DEP_1) | instskip(SKIP_1) | instid1(VALU_DEP_1)
	v_cndmask_b32_e64 v5, v5, v7, s7
	v_cndmask_b32_e64 v1, v14, v1, s7
	v_cmp_ge_i32_e64 s7, v1, v5
	s_delay_alu instid0(VALU_DEP_1) | instskip(NEXT) | instid1(SALU_CYCLE_1)
	s_or_b32 s9, s7, s9
	s_and_not1_b32 exec_lo, exec_lo, s9
	s_cbranch_execnz .LBB22_116
; %bb.117:
	s_or_b32 exec_lo, exec_lo, s9
.LBB22_118:
	s_delay_alu instid0(SALU_CYCLE_1) | instskip(SKIP_2) | instid1(VALU_DEP_2)
	s_or_b32 exec_lo, exec_lo, s8
	v_add_nc_u32_e32 v0, v2, v0
	v_lshl_add_u32 v13, v1, 2, v4
                                        ; implicit-def: $vgpr6
                                        ; implicit-def: $vgpr7
	v_sub_nc_u32_e32 v0, v0, v1
	v_add_nc_u32_e32 v1, v1, v22
	s_delay_alu instid0(VALU_DEP_2) | instskip(NEXT) | instid1(VALU_DEP_2)
	v_lshl_add_u32 v11, v0, 2, v10
	v_cmp_le_i32_e64 s7, v2, v1
	v_cmp_gt_i32_e64 s9, v3, v0
	ds_load_b32 v4, v13
	ds_load_b32 v5, v11
	s_waitcnt lgkmcnt(0)
	v_cmp_lt_i32_e64 s8, v5, v4
	s_delay_alu instid0(VALU_DEP_1) | instskip(NEXT) | instid1(SALU_CYCLE_1)
	s_or_b32 s7, s7, s8
	s_and_b32 s7, s9, s7
	s_delay_alu instid0(SALU_CYCLE_1) | instskip(NEXT) | instid1(SALU_CYCLE_1)
	s_xor_b32 s8, s7, -1
	s_and_saveexec_b32 s9, s8
	s_delay_alu instid0(SALU_CYCLE_1)
	s_xor_b32 s8, exec_lo, s9
	s_cbranch_execz .LBB22_120
; %bb.119:
	ds_load_b32 v7, v13 offset:4
	v_mov_b32_e32 v6, v5
                                        ; implicit-def: $vgpr11
.LBB22_120:
	s_and_not1_saveexec_b32 s8, s8
	s_cbranch_execz .LBB22_122
; %bb.121:
	ds_load_b32 v6, v11 offset:4
	s_waitcnt lgkmcnt(1)
	v_mov_b32_e32 v7, v4
.LBB22_122:
	s_or_b32 exec_lo, exec_lo, s8
	v_add_nc_u32_e32 v11, 1, v1
	v_add_nc_u32_e32 v13, 1, v0
	s_waitcnt lgkmcnt(0)
	v_cmp_lt_i32_e64 s9, v6, v7
	s_delay_alu instid0(VALU_DEP_3) | instskip(NEXT) | instid1(VALU_DEP_3)
	v_cndmask_b32_e64 v1, v11, v1, s7
	v_cndmask_b32_e64 v0, v0, v13, s7
                                        ; implicit-def: $vgpr11
	s_delay_alu instid0(VALU_DEP_2) | instskip(NEXT) | instid1(VALU_DEP_2)
	v_cmp_ge_i32_e64 s8, v1, v2
	v_cmp_lt_i32_e64 s10, v0, v3
	s_delay_alu instid0(VALU_DEP_2)
	s_or_b32 s8, s8, s9
	s_delay_alu instid0(VALU_DEP_1) | instid1(SALU_CYCLE_1)
	s_and_b32 s8, s10, s8
	s_delay_alu instid0(SALU_CYCLE_1) | instskip(NEXT) | instid1(SALU_CYCLE_1)
	s_xor_b32 s9, s8, -1
	s_and_saveexec_b32 s10, s9
	s_delay_alu instid0(SALU_CYCLE_1)
	s_xor_b32 s9, exec_lo, s10
	s_cbranch_execz .LBB22_124
; %bb.123:
	v_lshl_add_u32 v11, v1, 2, v10
	ds_load_b32 v11, v11 offset:4
.LBB22_124:
	s_or_saveexec_b32 s9, s9
	v_mov_b32_e32 v13, v6
	s_xor_b32 exec_lo, exec_lo, s9
	s_cbranch_execz .LBB22_126
; %bb.125:
	s_waitcnt lgkmcnt(0)
	v_lshl_add_u32 v11, v0, 2, v10
	ds_load_b32 v13, v11 offset:4
	v_mov_b32_e32 v11, v7
.LBB22_126:
	s_or_b32 exec_lo, exec_lo, s9
	v_add_nc_u32_e32 v14, 1, v1
	v_add_nc_u32_e32 v15, 1, v0
	s_waitcnt lgkmcnt(0)
	v_cmp_lt_i32_e64 s10, v13, v11
	s_delay_alu instid0(VALU_DEP_3) | instskip(NEXT) | instid1(VALU_DEP_3)
	v_cndmask_b32_e64 v1, v14, v1, s8
	v_cndmask_b32_e64 v0, v0, v15, s8
                                        ; implicit-def: $vgpr14
	s_delay_alu instid0(VALU_DEP_2) | instskip(NEXT) | instid1(VALU_DEP_2)
	v_cmp_ge_i32_e64 s9, v1, v2
	v_cmp_lt_i32_e64 s11, v0, v3
	s_delay_alu instid0(VALU_DEP_2)
	s_or_b32 s9, s9, s10
	s_delay_alu instid0(VALU_DEP_1) | instid1(SALU_CYCLE_1)
	s_and_b32 s9, s11, s9
	s_delay_alu instid0(SALU_CYCLE_1) | instskip(NEXT) | instid1(SALU_CYCLE_1)
	s_xor_b32 s10, s9, -1
	s_and_saveexec_b32 s11, s10
	s_delay_alu instid0(SALU_CYCLE_1)
	s_xor_b32 s10, exec_lo, s11
	s_cbranch_execz .LBB22_128
; %bb.127:
	v_lshl_add_u32 v14, v1, 2, v10
	ds_load_b32 v14, v14 offset:4
.LBB22_128:
	s_or_saveexec_b32 s10, s10
	v_mov_b32_e32 v15, v13
	s_xor_b32 exec_lo, exec_lo, s10
	s_cbranch_execz .LBB22_130
; %bb.129:
	s_waitcnt lgkmcnt(0)
	v_lshl_add_u32 v14, v0, 2, v10
	ds_load_b32 v15, v14 offset:4
	v_mov_b32_e32 v14, v11
.LBB22_130:
	s_or_b32 exec_lo, exec_lo, s10
	v_add_nc_u32_e32 v16, 1, v1
	v_add_nc_u32_e32 v17, 1, v0
	s_waitcnt lgkmcnt(0)
	v_cmp_lt_i32_e64 s11, v15, v14
	s_delay_alu instid0(VALU_DEP_3) | instskip(NEXT) | instid1(VALU_DEP_3)
	v_cndmask_b32_e64 v1, v16, v1, s9
	v_cndmask_b32_e64 v0, v0, v17, s9
                                        ; implicit-def: $vgpr16
	s_delay_alu instid0(VALU_DEP_2) | instskip(NEXT) | instid1(VALU_DEP_2)
	v_cmp_ge_i32_e64 s10, v1, v2
	v_cmp_lt_i32_e64 s12, v0, v3
	s_delay_alu instid0(VALU_DEP_2)
	s_or_b32 s10, s10, s11
	s_delay_alu instid0(VALU_DEP_1) | instid1(SALU_CYCLE_1)
	s_and_b32 s10, s12, s10
	s_delay_alu instid0(SALU_CYCLE_1) | instskip(NEXT) | instid1(SALU_CYCLE_1)
	s_xor_b32 s11, s10, -1
	s_and_saveexec_b32 s12, s11
	s_delay_alu instid0(SALU_CYCLE_1)
	s_xor_b32 s11, exec_lo, s12
	s_cbranch_execz .LBB22_132
; %bb.131:
	v_lshl_add_u32 v16, v1, 2, v10
	ds_load_b32 v16, v16 offset:4
.LBB22_132:
	s_or_saveexec_b32 s11, s11
	v_mov_b32_e32 v17, v15
	s_xor_b32 exec_lo, exec_lo, s11
	s_cbranch_execz .LBB22_134
; %bb.133:
	s_waitcnt lgkmcnt(0)
	v_lshl_add_u32 v16, v0, 2, v10
	ds_load_b32 v17, v16 offset:4
	v_mov_b32_e32 v16, v14
.LBB22_134:
	s_or_b32 exec_lo, exec_lo, s11
	v_add_nc_u32_e32 v18, 1, v1
	v_add_nc_u32_e32 v19, 1, v0
	s_waitcnt lgkmcnt(0)
	v_cmp_lt_i32_e64 s12, v17, v16
	s_delay_alu instid0(VALU_DEP_3) | instskip(NEXT) | instid1(VALU_DEP_3)
	v_cndmask_b32_e64 v1, v18, v1, s10
	v_cndmask_b32_e64 v0, v0, v19, s10
                                        ; implicit-def: $vgpr18
	s_delay_alu instid0(VALU_DEP_2) | instskip(NEXT) | instid1(VALU_DEP_2)
	v_cmp_ge_i32_e64 s11, v1, v2
	v_cmp_lt_i32_e64 s13, v0, v3
	s_delay_alu instid0(VALU_DEP_2)
	s_or_b32 s11, s11, s12
	s_delay_alu instid0(VALU_DEP_1) | instid1(SALU_CYCLE_1)
	s_and_b32 s11, s13, s11
	s_delay_alu instid0(SALU_CYCLE_1) | instskip(NEXT) | instid1(SALU_CYCLE_1)
	s_xor_b32 s12, s11, -1
	s_and_saveexec_b32 s13, s12
	s_delay_alu instid0(SALU_CYCLE_1)
	s_xor_b32 s12, exec_lo, s13
	s_cbranch_execz .LBB22_136
; %bb.135:
	v_lshl_add_u32 v18, v1, 2, v10
	ds_load_b32 v18, v18 offset:4
.LBB22_136:
	s_or_saveexec_b32 s12, s12
	v_mov_b32_e32 v19, v17
	s_xor_b32 exec_lo, exec_lo, s12
	s_cbranch_execz .LBB22_138
; %bb.137:
	s_waitcnt lgkmcnt(0)
	v_lshl_add_u32 v18, v0, 2, v10
	ds_load_b32 v19, v18 offset:4
	v_mov_b32_e32 v18, v16
.LBB22_138:
	s_or_b32 exec_lo, exec_lo, s12
	v_add_nc_u32_e32 v20, 1, v1
	v_add_nc_u32_e32 v21, 1, v0
	s_waitcnt lgkmcnt(0)
	v_cmp_lt_i32_e64 s13, v19, v18
	s_delay_alu instid0(VALU_DEP_3) | instskip(NEXT) | instid1(VALU_DEP_3)
	v_cndmask_b32_e64 v22, v20, v1, s11
	v_cndmask_b32_e64 v1, v0, v21, s11
                                        ; implicit-def: $vgpr20
	s_delay_alu instid0(VALU_DEP_2) | instskip(NEXT) | instid1(VALU_DEP_2)
	v_cmp_ge_i32_e64 s12, v22, v2
	v_cmp_lt_i32_e64 s14, v1, v3
	s_delay_alu instid0(VALU_DEP_2)
	s_or_b32 s12, s12, s13
	s_delay_alu instid0(VALU_DEP_1) | instid1(SALU_CYCLE_1)
	s_and_b32 s12, s14, s12
	s_delay_alu instid0(SALU_CYCLE_1) | instskip(NEXT) | instid1(SALU_CYCLE_1)
	s_xor_b32 s13, s12, -1
	s_and_saveexec_b32 s14, s13
	s_delay_alu instid0(SALU_CYCLE_1)
	s_xor_b32 s13, exec_lo, s14
	s_cbranch_execz .LBB22_140
; %bb.139:
	v_lshl_add_u32 v0, v22, 2, v10
	ds_load_b32 v20, v0 offset:4
.LBB22_140:
	s_or_saveexec_b32 s13, s13
	v_mov_b32_e32 v21, v19
	s_xor_b32 exec_lo, exec_lo, s13
	s_cbranch_execz .LBB22_142
; %bb.141:
	v_lshl_add_u32 v0, v1, 2, v10
	s_waitcnt lgkmcnt(0)
	v_mov_b32_e32 v20, v18
	ds_load_b32 v21, v0 offset:4
.LBB22_142:
	s_or_b32 exec_lo, exec_lo, s13
	v_add_nc_u32_e32 v0, 1, v22
	v_add_nc_u32_e32 v23, 1, v1
	s_waitcnt lgkmcnt(0)
	v_cmp_lt_i32_e64 s14, v21, v20
                                        ; implicit-def: $vgpr24
	s_delay_alu instid0(VALU_DEP_3) | instskip(NEXT) | instid1(VALU_DEP_3)
	v_cndmask_b32_e64 v0, v0, v22, s12
	v_cndmask_b32_e64 v22, v1, v23, s12
                                        ; implicit-def: $vgpr23
	s_delay_alu instid0(VALU_DEP_2) | instskip(NEXT) | instid1(VALU_DEP_2)
	v_cmp_ge_i32_e64 s13, v0, v2
	v_cmp_lt_i32_e64 s15, v22, v3
	s_delay_alu instid0(VALU_DEP_2)
	s_or_b32 s13, s13, s14
	s_delay_alu instid0(VALU_DEP_1) | instid1(SALU_CYCLE_1)
	s_and_b32 s13, s15, s13
	s_delay_alu instid0(SALU_CYCLE_1) | instskip(NEXT) | instid1(SALU_CYCLE_1)
	s_xor_b32 s14, s13, -1
	s_and_saveexec_b32 s15, s14
	s_delay_alu instid0(SALU_CYCLE_1)
	s_xor_b32 s14, exec_lo, s15
	s_cbranch_execz .LBB22_144
; %bb.143:
	v_lshl_add_u32 v1, v0, 2, v10
	v_add_nc_u32_e32 v24, 1, v0
                                        ; implicit-def: $vgpr0
                                        ; implicit-def: $vgpr10
	ds_load_b32 v23, v1 offset:4
.LBB22_144:
	s_or_saveexec_b32 s14, s14
	v_mov_b32_e32 v25, v21
	s_xor_b32 exec_lo, exec_lo, s14
	s_cbranch_execz .LBB22_146
; %bb.145:
	v_lshl_add_u32 v1, v22, 2, v10
	s_waitcnt lgkmcnt(0)
	v_dual_mov_b32 v23, v20 :: v_dual_add_nc_u32 v22, 1, v22
	v_mov_b32_e32 v24, v0
	ds_load_b32 v25, v1 offset:4
.LBB22_146:
	s_or_b32 exec_lo, exec_lo, s14
	v_add_co_u32 v0, s14, s18, v8
	s_delay_alu instid0(VALU_DEP_1) | instskip(NEXT) | instid1(VALU_DEP_2)
	v_add_co_ci_u32_e64 v1, s14, s19, v9, s14
	v_add_co_u32 v0, s14, v0, v12
	s_delay_alu instid0(VALU_DEP_1)
	v_add_co_ci_u32_e64 v1, s14, 0, v1, s14
	s_and_saveexec_b32 s14, vcc_lo
	s_cbranch_execnz .LBB22_155
; %bb.147:
	s_or_b32 exec_lo, exec_lo, s14
	s_and_saveexec_b32 s7, s0
	s_cbranch_execnz .LBB22_156
.LBB22_148:
	s_or_b32 exec_lo, exec_lo, s7
	s_and_saveexec_b32 s0, s1
	s_cbranch_execnz .LBB22_157
.LBB22_149:
	s_or_b32 exec_lo, exec_lo, s0
	s_and_saveexec_b32 s0, s2
	s_cbranch_execnz .LBB22_158
.LBB22_150:
	s_or_b32 exec_lo, exec_lo, s0
	s_and_saveexec_b32 s0, s3
	s_cbranch_execnz .LBB22_159
.LBB22_151:
	s_or_b32 exec_lo, exec_lo, s0
	s_and_saveexec_b32 s0, s4
	s_cbranch_execnz .LBB22_160
.LBB22_152:
	s_or_b32 exec_lo, exec_lo, s0
	s_and_saveexec_b32 s0, s5
	s_cbranch_execnz .LBB22_161
.LBB22_153:
	s_or_b32 exec_lo, exec_lo, s0
	s_and_saveexec_b32 s0, s6
	s_cbranch_execnz .LBB22_162
.LBB22_154:
	s_nop 0
	s_sendmsg sendmsg(MSG_DEALLOC_VGPRS)
	s_endpgm
.LBB22_155:
	v_cndmask_b32_e64 v4, v4, v5, s7
	global_store_b32 v[0:1], v4, off
	s_or_b32 exec_lo, exec_lo, s14
	s_and_saveexec_b32 s7, s0
	s_cbranch_execz .LBB22_148
.LBB22_156:
	v_cndmask_b32_e64 v4, v7, v6, s8
	global_store_b32 v[0:1], v4, off offset:4
	s_or_b32 exec_lo, exec_lo, s7
	s_and_saveexec_b32 s0, s1
	s_cbranch_execz .LBB22_149
.LBB22_157:
	v_cndmask_b32_e64 v4, v11, v13, s9
	global_store_b32 v[0:1], v4, off offset:8
	s_or_b32 exec_lo, exec_lo, s0
	s_and_saveexec_b32 s0, s2
	s_cbranch_execz .LBB22_150
.LBB22_158:
	v_cndmask_b32_e64 v4, v14, v15, s10
	global_store_b32 v[0:1], v4, off offset:12
	s_or_b32 exec_lo, exec_lo, s0
	s_and_saveexec_b32 s0, s3
	s_cbranch_execz .LBB22_151
.LBB22_159:
	v_cndmask_b32_e64 v4, v16, v17, s11
	global_store_b32 v[0:1], v4, off offset:16
	s_or_b32 exec_lo, exec_lo, s0
	s_and_saveexec_b32 s0, s4
	s_cbranch_execz .LBB22_152
.LBB22_160:
	v_cndmask_b32_e64 v4, v18, v19, s12
	global_store_b32 v[0:1], v4, off offset:20
	s_or_b32 exec_lo, exec_lo, s0
	s_and_saveexec_b32 s0, s5
	s_cbranch_execz .LBB22_153
.LBB22_161:
	v_cndmask_b32_e64 v4, v20, v21, s13
	global_store_b32 v[0:1], v4, off offset:24
	s_or_b32 exec_lo, exec_lo, s0
	s_and_saveexec_b32 s0, s6
	s_cbranch_execz .LBB22_154
.LBB22_162:
	v_cmp_ge_i32_e32 vcc_lo, v24, v2
	s_waitcnt lgkmcnt(0)
	v_cmp_lt_i32_e64 s0, v25, v23
	v_cmp_lt_i32_e64 s1, v22, v3
	s_delay_alu instid0(VALU_DEP_2)
	s_or_b32 s0, vcc_lo, s0
	s_delay_alu instid0(VALU_DEP_1) | instid1(SALU_CYCLE_1)
	s_and_b32 vcc_lo, s1, s0
	v_cndmask_b32_e32 v2, v23, v25, vcc_lo
	global_store_b32 v[0:1], v2, off offset:28
	s_nop 0
	s_sendmsg sendmsg(MSG_DEALLOC_VGPRS)
	s_endpgm
	.section	.rodata,"a",@progbits
	.p2align	6, 0x0
	.amdhsa_kernel _Z19sort_keys_segmentedILj256ELj16ELj8EiN10test_utils4lessEEvPKT2_PS2_PKjT3_
		.amdhsa_group_segment_fixed_size 8256
		.amdhsa_private_segment_fixed_size 0
		.amdhsa_kernarg_size 28
		.amdhsa_user_sgpr_count 15
		.amdhsa_user_sgpr_dispatch_ptr 0
		.amdhsa_user_sgpr_queue_ptr 0
		.amdhsa_user_sgpr_kernarg_segment_ptr 1
		.amdhsa_user_sgpr_dispatch_id 0
		.amdhsa_user_sgpr_private_segment_size 0
		.amdhsa_wavefront_size32 1
		.amdhsa_uses_dynamic_stack 0
		.amdhsa_enable_private_segment 0
		.amdhsa_system_sgpr_workgroup_id_x 1
		.amdhsa_system_sgpr_workgroup_id_y 0
		.amdhsa_system_sgpr_workgroup_id_z 0
		.amdhsa_system_sgpr_workgroup_info 0
		.amdhsa_system_vgpr_workitem_id 0
		.amdhsa_next_free_vgpr 31
		.amdhsa_next_free_sgpr 20
		.amdhsa_reserve_vcc 1
		.amdhsa_float_round_mode_32 0
		.amdhsa_float_round_mode_16_64 0
		.amdhsa_float_denorm_mode_32 3
		.amdhsa_float_denorm_mode_16_64 3
		.amdhsa_dx10_clamp 1
		.amdhsa_ieee_mode 1
		.amdhsa_fp16_overflow 0
		.amdhsa_workgroup_processor_mode 1
		.amdhsa_memory_ordered 1
		.amdhsa_forward_progress 0
		.amdhsa_shared_vgpr_count 0
		.amdhsa_exception_fp_ieee_invalid_op 0
		.amdhsa_exception_fp_denorm_src 0
		.amdhsa_exception_fp_ieee_div_zero 0
		.amdhsa_exception_fp_ieee_overflow 0
		.amdhsa_exception_fp_ieee_underflow 0
		.amdhsa_exception_fp_ieee_inexact 0
		.amdhsa_exception_int_div_zero 0
	.end_amdhsa_kernel
	.section	.text._Z19sort_keys_segmentedILj256ELj16ELj8EiN10test_utils4lessEEvPKT2_PS2_PKjT3_,"axG",@progbits,_Z19sort_keys_segmentedILj256ELj16ELj8EiN10test_utils4lessEEvPKT2_PS2_PKjT3_,comdat
.Lfunc_end22:
	.size	_Z19sort_keys_segmentedILj256ELj16ELj8EiN10test_utils4lessEEvPKT2_PS2_PKjT3_, .Lfunc_end22-_Z19sort_keys_segmentedILj256ELj16ELj8EiN10test_utils4lessEEvPKT2_PS2_PKjT3_
                                        ; -- End function
	.section	.AMDGPU.csdata,"",@progbits
; Kernel info:
; codeLenInByte = 7996
; NumSgprs: 22
; NumVgprs: 31
; ScratchSize: 0
; MemoryBound: 0
; FloatMode: 240
; IeeeMode: 1
; LDSByteSize: 8256 bytes/workgroup (compile time only)
; SGPRBlocks: 2
; VGPRBlocks: 3
; NumSGPRsForWavesPerEU: 22
; NumVGPRsForWavesPerEU: 31
; Occupancy: 16
; WaveLimiterHint : 0
; COMPUTE_PGM_RSRC2:SCRATCH_EN: 0
; COMPUTE_PGM_RSRC2:USER_SGPR: 15
; COMPUTE_PGM_RSRC2:TRAP_HANDLER: 0
; COMPUTE_PGM_RSRC2:TGID_X_EN: 1
; COMPUTE_PGM_RSRC2:TGID_Y_EN: 0
; COMPUTE_PGM_RSRC2:TGID_Z_EN: 0
; COMPUTE_PGM_RSRC2:TIDIG_COMP_CNT: 0
	.section	.text._Z20sort_pairs_segmentedILj256ELj16ELj8EiN10test_utils4lessEEvPKT2_PS2_PKjT3_,"axG",@progbits,_Z20sort_pairs_segmentedILj256ELj16ELj8EiN10test_utils4lessEEvPKT2_PS2_PKjT3_,comdat
	.protected	_Z20sort_pairs_segmentedILj256ELj16ELj8EiN10test_utils4lessEEvPKT2_PS2_PKjT3_ ; -- Begin function _Z20sort_pairs_segmentedILj256ELj16ELj8EiN10test_utils4lessEEvPKT2_PS2_PKjT3_
	.globl	_Z20sort_pairs_segmentedILj256ELj16ELj8EiN10test_utils4lessEEvPKT2_PS2_PKjT3_
	.p2align	8
	.type	_Z20sort_pairs_segmentedILj256ELj16ELj8EiN10test_utils4lessEEvPKT2_PS2_PKjT3_,@function
_Z20sort_pairs_segmentedILj256ELj16ELj8EiN10test_utils4lessEEvPKT2_PS2_PKjT3_: ; @_Z20sort_pairs_segmentedILj256ELj16ELj8EiN10test_utils4lessEEvPKT2_PS2_PKjT3_
; %bb.0:
	s_clause 0x1
	s_load_b64 s[2:3], s[0:1], 0x10
	s_load_b128 s[16:19], s[0:1], 0x0
	v_lshrrev_b32_e32 v22, 4, v0
	s_delay_alu instid0(VALU_DEP_1) | instskip(SKIP_1) | instid1(VALU_DEP_1)
	v_lshl_or_b32 v0, s15, 4, v22
	v_mov_b32_e32 v1, 0
	v_lshlrev_b64 v[2:3], 2, v[0:1]
	v_lshlrev_b32_e32 v0, 7, v0
	s_delay_alu instid0(VALU_DEP_1) | instskip(SKIP_1) | instid1(VALU_DEP_3)
	v_lshlrev_b64 v[8:9], 2, v[0:1]
	s_waitcnt lgkmcnt(0)
	v_add_co_u32 v2, vcc_lo, s2, v2
	s_delay_alu instid0(VALU_DEP_4) | instskip(NEXT) | instid1(VALU_DEP_3)
	v_add_co_ci_u32_e32 v3, vcc_lo, s3, v3, vcc_lo
	v_add_co_u32 v0, vcc_lo, s16, v8
	global_load_b32 v13, v[2:3], off
	v_mbcnt_lo_u32_b32 v2, -1, 0
	v_add_co_ci_u32_e32 v1, vcc_lo, s17, v9, vcc_lo
	s_delay_alu instid0(VALU_DEP_2) | instskip(NEXT) | instid1(VALU_DEP_1)
	v_lshlrev_b32_e32 v15, 3, v2
	v_and_b32_e32 v14, 0x78, v15
	s_delay_alu instid0(VALU_DEP_1) | instskip(NEXT) | instid1(VALU_DEP_1)
	v_lshlrev_b32_e32 v12, 2, v14
	v_add_co_u32 v10, vcc_lo, v0, v12
	v_add_co_ci_u32_e32 v11, vcc_lo, 0, v1, vcc_lo
                                        ; implicit-def: $vgpr0_vgpr1_vgpr2_vgpr3_vgpr4_vgpr5_vgpr6_vgpr7
	s_waitcnt vmcnt(0)
	v_cmp_lt_u32_e32 vcc_lo, v14, v13
	s_and_saveexec_b32 s0, vcc_lo
	s_cbranch_execz .LBB23_2
; %bb.1:
	global_load_b32 v0, v[10:11], off
.LBB23_2:
	s_or_b32 exec_lo, exec_lo, s0
	v_or_b32_e32 v23, 1, v14
	s_delay_alu instid0(VALU_DEP_1) | instskip(NEXT) | instid1(VALU_DEP_1)
	v_cmp_lt_u32_e64 s0, v23, v13
	s_and_saveexec_b32 s1, s0
	s_cbranch_execz .LBB23_4
; %bb.3:
	global_load_b32 v1, v[10:11], off offset:4
.LBB23_4:
	s_or_b32 exec_lo, exec_lo, s1
	v_or_b32_e32 v24, 2, v14
	s_delay_alu instid0(VALU_DEP_1) | instskip(NEXT) | instid1(VALU_DEP_1)
	v_cmp_lt_u32_e64 s1, v24, v13
	s_and_saveexec_b32 s2, s1
	s_cbranch_execz .LBB23_6
; %bb.5:
	global_load_b32 v2, v[10:11], off offset:8
.LBB23_6:
	;; [unrolled: 9-line block ×7, first 2 shown]
	s_or_b32 exec_lo, exec_lo, s7
	v_cmp_lt_i32_e64 s9, v28, v13
	v_cmp_lt_i32_e64 s10, v29, v13
	;; [unrolled: 1-line block ×5, first 2 shown]
	s_waitcnt vmcnt(0)
	v_add_nc_u32_e32 v10, 1, v6
	s_or_b32 s9, s10, s9
	v_cmp_lt_i32_e64 s8, v24, v13
	v_cndmask_b32_e64 v6, 0x7fffffff, v6, s9
	s_or_b32 s9, s9, s12
	v_add_nc_u32_e32 v11, 1, v5
	v_cndmask_b32_e64 v5, 0x7fffffff, v5, s9
	s_or_b32 s9, s9, s13
	v_cmp_lt_i32_e64 s7, v23, v13
	v_cndmask_b32_e64 v23, 0x7fffffff, v4, s9
	s_or_b32 s9, s9, s11
	v_add_nc_u32_e32 v20, 1, v0
	s_or_b32 s8, s9, s8
	v_add_nc_u32_e32 v21, 1, v1
	;; [unrolled: 2-line block ×3, first 2 shown]
	v_add_nc_u32_e32 v19, 1, v3
	v_add_nc_u32_e32 v17, 1, v4
	;; [unrolled: 1-line block ×3, first 2 shown]
	v_cndmask_b32_e64 v7, 0x7fffffff, v7, s10
	v_cndmask_b32_e64 v25, 0x7fffffff, v3, s9
	;; [unrolled: 1-line block ×4, first 2 shown]
	s_mov_b32 s12, exec_lo
	v_cmpx_lt_i32_e64 v14, v13
	s_cbranch_execz .LBB23_20
; %bb.17:
	s_delay_alu instid0(VALU_DEP_2) | instskip(SKIP_2) | instid1(VALU_DEP_2)
	v_cmp_lt_i32_e64 s7, v26, v0
	v_cmp_lt_i32_e64 s8, v25, v24
	s_mov_b32 s13, exec_lo
	v_cndmask_b32_e64 v1, v21, v20, s7
	v_cndmask_b32_e64 v2, v20, v21, s7
	;; [unrolled: 1-line block ×5, first 2 shown]
	v_cmp_lt_i32_e64 s7, v5, v23
	v_cndmask_b32_e64 v18, v18, v19, s8
	v_cndmask_b32_e64 v19, v25, v24, s8
	;; [unrolled: 1-line block ×3, first 2 shown]
	v_cmp_lt_i32_e64 s8, v7, v6
	v_cndmask_b32_e64 v21, v11, v17, s7
	v_cndmask_b32_e64 v11, v17, v11, s7
	;; [unrolled: 1-line block ×5, first 2 shown]
	v_cmp_lt_i32_e64 s7, v20, v0
	v_cndmask_b32_e64 v10, v10, v16, s8
	v_cndmask_b32_e64 v16, v7, v6, s8
	;; [unrolled: 1-line block ×3, first 2 shown]
	v_cmp_lt_i32_e64 s8, v5, v19
	v_cndmask_b32_e64 v7, v18, v1, s7
	v_cndmask_b32_e64 v1, v1, v18, s7
	;; [unrolled: 1-line block ×4, first 2 shown]
	v_cmp_lt_i32_e64 s7, v6, v17
	v_cndmask_b32_e64 v20, v11, v4, s8
	v_cndmask_b32_e64 v4, v4, v11, s8
	;; [unrolled: 1-line block ×6, first 2 shown]
	v_cmp_lt_i32_e64 s8, v0, v3
	v_cndmask_b32_e64 v21, v6, v17, s7
	v_cndmask_b32_e64 v6, v17, v6, s7
	v_cmp_lt_i32_e64 s7, v5, v18
	s_delay_alu instid0(VALU_DEP_4)
	v_cndmask_b32_e64 v17, v1, v2, s8
	v_cndmask_b32_e64 v1, v2, v1, s8
	;; [unrolled: 1-line block ×4, first 2 shown]
	v_cmp_lt_i32_e64 s8, v6, v11
	v_cndmask_b32_e64 v3, v4, v7, s7
	v_cndmask_b32_e64 v4, v7, v4, s7
	;; [unrolled: 1-line block ×5, first 2 shown]
	v_cmp_lt_i32_e64 s7, v16, v21
	v_cndmask_b32_e64 v10, v20, v10, s8
	v_cndmask_b32_e64 v20, v6, v11, s8
	;; [unrolled: 1-line block ×3, first 2 shown]
	v_cmp_lt_i32_e64 s8, v5, v0
	v_cndmask_b32_e64 v11, v23, v19, s7
	v_cndmask_b32_e64 v19, v19, v23, s7
	v_cndmask_b32_e64 v23, v16, v21, s7
	v_cndmask_b32_e64 v16, v21, v16, s7
	v_cmp_lt_i32_e64 s7, v6, v7
	v_cndmask_b32_e64 v21, v4, v17, s8
	v_cndmask_b32_e64 v4, v17, v4, s8
	;; [unrolled: 1-line block ×6, first 2 shown]
	v_cmp_lt_i32_e64 s8, v16, v20
	v_cndmask_b32_e64 v10, v6, v7, s7
	v_cndmask_b32_e64 v6, v7, v6, s7
	v_cmp_lt_i32_e64 s7, v0, v2
	s_delay_alu instid0(VALU_DEP_4)
	v_cndmask_b32_e64 v7, v19, v18, s8
	v_cndmask_b32_e64 v18, v18, v19, s8
	;; [unrolled: 1-line block ×4, first 2 shown]
	v_cmp_lt_i32_e64 s8, v6, v17
	v_cndmask_b32_e64 v20, v4, v1, s7
	v_cndmask_b32_e64 v1, v1, v4, s7
	;; [unrolled: 1-line block ×5, first 2 shown]
	v_cmp_lt_i32_e64 s7, v16, v10
	v_cndmask_b32_e64 v3, v21, v3, s8
	v_cndmask_b32_e64 v21, v6, v17, s8
	;; [unrolled: 1-line block ×3, first 2 shown]
	v_cmp_lt_i32_e64 s8, v23, v19
	v_cndmask_b32_e64 v17, v18, v5, s7
	v_cndmask_b32_e64 v5, v5, v18, s7
	;; [unrolled: 1-line block ×6, first 2 shown]
	v_cmp_lt_i32_e64 s7, v6, v0
	v_cndmask_b32_e64 v7, v7, v11, s8
	v_cndmask_b32_e64 v11, v23, v19, s8
	v_cmp_lt_i32_e64 s8, v10, v21
	v_cmp_lt_i32_e64 s9, v16, v18
	v_cndmask_b32_e64 v23, v3, v20, s7
	v_cndmask_b32_e64 v3, v20, v3, s7
	;; [unrolled: 1-line block ×12, first 2 shown]
	v_cmp_lt_i32_e64 s7, v6, v24
	v_cmp_lt_i32_e64 s8, v10, v20
	;; [unrolled: 1-line block ×3, first 2 shown]
	s_delay_alu instid0(VALU_DEP_3) | instskip(NEXT) | instid1(VALU_DEP_3)
	v_cndmask_b32_e64 v29, v6, v24, s7
	v_cndmask_b32_e64 v30, v10, v20, s8
	;; [unrolled: 1-line block ×3, first 2 shown]
	s_delay_alu instid0(VALU_DEP_4)
	v_cndmask_b32_e64 v16, v7, v25, s9
	v_cndmask_b32_e64 v27, v25, v7, s9
	;; [unrolled: 1-line block ×5, first 2 shown]
	v_cmp_lt_i32_e64 s8, v11, v28
	v_cndmask_b32_e64 v5, v18, v26, s9
	v_cmp_lt_i32_e64 s9, v20, v29
	v_cmp_lt_i32_e64 s10, v25, v30
	v_cndmask_b32_e64 v17, v3, v1, s7
	v_cndmask_b32_e64 v0, v24, v6, s7
	;; [unrolled: 1-line block ×9, first 2 shown]
	v_mov_b32_e32 v11, v16
	v_cmpx_lt_i32_e64 v6, v5
; %bb.18:
	v_mov_b32_e32 v18, v6
	v_swap_b32 v6, v5
	v_dual_mov_b32 v11, v10 :: v_dual_mov_b32 v10, v16
; %bb.19:
	s_or_b32 exec_lo, exec_lo, s13
	v_cndmask_b32_e64 v20, v1, v3, s7
	v_cndmask_b32_e64 v16, v2, v4, s8
	;; [unrolled: 1-line block ×6, first 2 shown]
.LBB23_20:
	s_or_b32 exec_lo, exec_lo, s12
	v_and_b32_e32 v1, 0x70, v15
	v_and_b32_e32 v2, 8, v15
	s_mov_b32 s9, 0
	s_mov_b32 s8, exec_lo
	s_delay_alu instid0(VALU_DEP_2) | instskip(NEXT) | instid1(VALU_DEP_2)
	v_min_i32_e32 v27, v13, v1
	v_min_i32_e32 v28, v13, v2
	; wave barrier
	s_delay_alu instid0(VALU_DEP_2) | instskip(SKIP_1) | instid1(VALU_DEP_2)
	v_add_nc_u32_e32 v1, 8, v27
	v_lshlrev_b32_e32 v32, 2, v27
	v_min_i32_e32 v4, v13, v1
	s_delay_alu instid0(VALU_DEP_1) | instskip(SKIP_1) | instid1(VALU_DEP_2)
	v_add_nc_u32_e32 v1, 8, v4
	v_sub_nc_u32_e32 v29, v4, v27
	v_min_i32_e32 v3, v13, v1
	v_mul_u32_u24_e32 v1, 0x204, v22
	s_delay_alu instid0(VALU_DEP_3) | instskip(NEXT) | instid1(VALU_DEP_3)
	v_min_i32_e32 v30, v28, v29
	v_sub_nc_u32_e32 v2, v3, v4
	s_delay_alu instid0(VALU_DEP_1)
	v_sub_nc_u32_e32 v31, v28, v2
	v_cmp_ge_i32_e64 s7, v28, v2
	v_mad_u32_u24 v2, 0x204, v22, v12
	v_mad_u32_u24 v22, 0x204, v22, v32
	ds_store_2addr_b32 v2, v0, v26 offset1:1
	ds_store_2addr_b32 v2, v24, v25 offset0:2 offset1:3
	ds_store_2addr_b32 v2, v23, v5 offset0:4 offset1:5
	;; [unrolled: 1-line block ×3, first 2 shown]
	v_cndmask_b32_e64 v29, 0, v31, s7
	; wave barrier
	s_delay_alu instid0(VALU_DEP_1)
	v_cmpx_lt_i32_e64 v29, v30
	s_cbranch_execz .LBB23_24
; %bb.21:
	v_lshlrev_b32_e32 v0, 2, v4
	v_lshlrev_b32_e32 v5, 2, v28
	s_delay_alu instid0(VALU_DEP_1)
	v_add3_u32 v0, v1, v0, v5
	.p2align	6
.LBB23_22:                              ; =>This Inner Loop Header: Depth=1
	v_sub_nc_u32_e32 v5, v30, v29
	s_delay_alu instid0(VALU_DEP_1) | instskip(NEXT) | instid1(VALU_DEP_1)
	v_lshrrev_b32_e32 v6, 31, v5
	v_add_nc_u32_e32 v5, v5, v6
	s_delay_alu instid0(VALU_DEP_1) | instskip(NEXT) | instid1(VALU_DEP_1)
	v_ashrrev_i32_e32 v5, 1, v5
	v_add_nc_u32_e32 v5, v5, v29
	s_delay_alu instid0(VALU_DEP_1) | instskip(SKIP_2) | instid1(VALU_DEP_3)
	v_not_b32_e32 v6, v5
	v_lshl_add_u32 v7, v5, 2, v22
	v_add_nc_u32_e32 v23, 1, v5
	v_lshl_add_u32 v6, v6, 2, v0
	ds_load_b32 v7, v7
	ds_load_b32 v6, v6
	s_waitcnt lgkmcnt(0)
	v_cmp_lt_i32_e64 s7, v6, v7
	s_delay_alu instid0(VALU_DEP_1) | instskip(SKIP_1) | instid1(VALU_DEP_1)
	v_cndmask_b32_e64 v30, v30, v5, s7
	v_cndmask_b32_e64 v29, v23, v29, s7
	v_cmp_ge_i32_e64 s7, v29, v30
	s_delay_alu instid0(VALU_DEP_1) | instskip(NEXT) | instid1(SALU_CYCLE_1)
	s_or_b32 s9, s7, s9
	s_and_not1_b32 exec_lo, exec_lo, s9
	s_cbranch_execnz .LBB23_22
; %bb.23:
	s_or_b32 exec_lo, exec_lo, s9
.LBB23_24:
	s_delay_alu instid0(SALU_CYCLE_1) | instskip(SKIP_3) | instid1(VALU_DEP_3)
	s_or_b32 exec_lo, exec_lo, s8
	v_add_nc_u32_e32 v0, v4, v28
	v_lshl_add_u32 v7, v29, 2, v22
	v_add_nc_u32_e32 v5, v29, v27
                                        ; implicit-def: $vgpr24
                                        ; implicit-def: $vgpr25
	v_sub_nc_u32_e32 v0, v0, v29
	s_delay_alu instid0(VALU_DEP_2) | instskip(NEXT) | instid1(VALU_DEP_2)
	v_cmp_le_i32_e64 s7, v4, v5
	v_lshl_add_u32 v6, v0, 2, v1
	v_cmp_gt_i32_e64 s9, v3, v0
	ds_load_b32 v22, v7
	ds_load_b32 v23, v6
	s_waitcnt lgkmcnt(0)
	v_cmp_lt_i32_e64 s8, v23, v22
	s_delay_alu instid0(VALU_DEP_1) | instskip(NEXT) | instid1(SALU_CYCLE_1)
	s_or_b32 s7, s7, s8
	s_and_b32 s7, s9, s7
	s_delay_alu instid0(SALU_CYCLE_1) | instskip(NEXT) | instid1(SALU_CYCLE_1)
	s_xor_b32 s8, s7, -1
	s_and_saveexec_b32 s9, s8
	s_delay_alu instid0(SALU_CYCLE_1)
	s_xor_b32 s8, exec_lo, s9
	s_cbranch_execz .LBB23_26
; %bb.25:
	ds_load_b32 v25, v7 offset:4
	v_mov_b32_e32 v24, v23
                                        ; implicit-def: $vgpr6
.LBB23_26:
	s_and_not1_saveexec_b32 s8, s8
	s_cbranch_execz .LBB23_28
; %bb.27:
	ds_load_b32 v24, v6 offset:4
	s_waitcnt lgkmcnt(1)
	v_mov_b32_e32 v25, v22
.LBB23_28:
	s_or_b32 exec_lo, exec_lo, s8
	v_add_nc_u32_e32 v6, 1, v5
	v_add_nc_u32_e32 v7, 1, v0
	s_waitcnt lgkmcnt(0)
	v_cmp_lt_i32_e64 s9, v24, v25
                                        ; implicit-def: $vgpr26
	s_delay_alu instid0(VALU_DEP_3) | instskip(NEXT) | instid1(VALU_DEP_3)
	v_cndmask_b32_e64 v6, v6, v5, s7
	v_cndmask_b32_e64 v7, v0, v7, s7
	s_delay_alu instid0(VALU_DEP_2) | instskip(NEXT) | instid1(VALU_DEP_2)
	v_cmp_ge_i32_e64 s8, v6, v4
	v_cmp_lt_i32_e64 s10, v7, v3
	s_delay_alu instid0(VALU_DEP_2)
	s_or_b32 s8, s8, s9
	s_delay_alu instid0(VALU_DEP_1) | instid1(SALU_CYCLE_1)
	s_and_b32 s8, s10, s8
	s_delay_alu instid0(SALU_CYCLE_1) | instskip(NEXT) | instid1(SALU_CYCLE_1)
	s_xor_b32 s9, s8, -1
	s_and_saveexec_b32 s10, s9
	s_delay_alu instid0(SALU_CYCLE_1)
	s_xor_b32 s9, exec_lo, s10
	s_cbranch_execz .LBB23_30
; %bb.29:
	v_lshl_add_u32 v26, v6, 2, v1
	ds_load_b32 v26, v26 offset:4
.LBB23_30:
	s_or_saveexec_b32 s9, s9
	v_mov_b32_e32 v27, v24
	s_xor_b32 exec_lo, exec_lo, s9
	s_cbranch_execz .LBB23_32
; %bb.31:
	s_waitcnt lgkmcnt(0)
	v_lshl_add_u32 v26, v7, 2, v1
	ds_load_b32 v27, v26 offset:4
	v_mov_b32_e32 v26, v25
.LBB23_32:
	s_or_b32 exec_lo, exec_lo, s9
	v_add_nc_u32_e32 v28, 1, v6
	v_add_nc_u32_e32 v29, 1, v7
	s_waitcnt lgkmcnt(0)
	v_cmp_lt_i32_e64 s10, v27, v26
                                        ; implicit-def: $vgpr30
	s_delay_alu instid0(VALU_DEP_3) | instskip(NEXT) | instid1(VALU_DEP_3)
	v_cndmask_b32_e64 v28, v28, v6, s8
	v_cndmask_b32_e64 v29, v7, v29, s8
	s_delay_alu instid0(VALU_DEP_2) | instskip(NEXT) | instid1(VALU_DEP_2)
	v_cmp_ge_i32_e64 s9, v28, v4
	v_cmp_lt_i32_e64 s11, v29, v3
	s_delay_alu instid0(VALU_DEP_2)
	s_or_b32 s9, s9, s10
	s_delay_alu instid0(VALU_DEP_1) | instid1(SALU_CYCLE_1)
	s_and_b32 s9, s11, s9
	s_delay_alu instid0(SALU_CYCLE_1) | instskip(NEXT) | instid1(SALU_CYCLE_1)
	s_xor_b32 s10, s9, -1
	s_and_saveexec_b32 s11, s10
	s_delay_alu instid0(SALU_CYCLE_1)
	s_xor_b32 s10, exec_lo, s11
	s_cbranch_execz .LBB23_34
; %bb.33:
	v_lshl_add_u32 v30, v28, 2, v1
	ds_load_b32 v30, v30 offset:4
.LBB23_34:
	s_or_saveexec_b32 s10, s10
	v_mov_b32_e32 v31, v27
	s_xor_b32 exec_lo, exec_lo, s10
	s_cbranch_execz .LBB23_36
; %bb.35:
	s_waitcnt lgkmcnt(0)
	v_lshl_add_u32 v30, v29, 2, v1
	ds_load_b32 v31, v30 offset:4
	v_mov_b32_e32 v30, v26
.LBB23_36:
	s_or_b32 exec_lo, exec_lo, s10
	v_add_nc_u32_e32 v32, 1, v28
	v_add_nc_u32_e32 v33, 1, v29
	s_waitcnt lgkmcnt(0)
	v_cmp_lt_i32_e64 s11, v31, v30
                                        ; implicit-def: $vgpr34
	s_delay_alu instid0(VALU_DEP_3) | instskip(NEXT) | instid1(VALU_DEP_3)
	v_cndmask_b32_e64 v32, v32, v28, s9
	v_cndmask_b32_e64 v33, v29, v33, s9
	s_delay_alu instid0(VALU_DEP_2) | instskip(NEXT) | instid1(VALU_DEP_2)
	v_cmp_ge_i32_e64 s10, v32, v4
	v_cmp_lt_i32_e64 s12, v33, v3
	s_delay_alu instid0(VALU_DEP_2)
	s_or_b32 s10, s10, s11
	s_delay_alu instid0(VALU_DEP_1) | instid1(SALU_CYCLE_1)
	s_and_b32 s10, s12, s10
	s_delay_alu instid0(SALU_CYCLE_1) | instskip(NEXT) | instid1(SALU_CYCLE_1)
	s_xor_b32 s11, s10, -1
	s_and_saveexec_b32 s12, s11
	s_delay_alu instid0(SALU_CYCLE_1)
	s_xor_b32 s11, exec_lo, s12
	s_cbranch_execz .LBB23_38
; %bb.37:
	v_lshl_add_u32 v34, v32, 2, v1
	ds_load_b32 v34, v34 offset:4
.LBB23_38:
	s_or_saveexec_b32 s11, s11
	v_mov_b32_e32 v35, v31
	s_xor_b32 exec_lo, exec_lo, s11
	s_cbranch_execz .LBB23_40
; %bb.39:
	s_waitcnt lgkmcnt(0)
	v_lshl_add_u32 v34, v33, 2, v1
	ds_load_b32 v35, v34 offset:4
	v_mov_b32_e32 v34, v30
.LBB23_40:
	s_or_b32 exec_lo, exec_lo, s11
	v_add_nc_u32_e32 v36, 1, v32
	v_add_nc_u32_e32 v37, 1, v33
	s_waitcnt lgkmcnt(0)
	v_cmp_lt_i32_e64 s12, v35, v34
                                        ; implicit-def: $vgpr38
	s_delay_alu instid0(VALU_DEP_3) | instskip(NEXT) | instid1(VALU_DEP_3)
	v_cndmask_b32_e64 v36, v36, v32, s10
	v_cndmask_b32_e64 v37, v33, v37, s10
	s_delay_alu instid0(VALU_DEP_2) | instskip(NEXT) | instid1(VALU_DEP_2)
	v_cmp_ge_i32_e64 s11, v36, v4
	v_cmp_lt_i32_e64 s13, v37, v3
	s_delay_alu instid0(VALU_DEP_2)
	s_or_b32 s11, s11, s12
	s_delay_alu instid0(VALU_DEP_1) | instid1(SALU_CYCLE_1)
	s_and_b32 s11, s13, s11
	s_delay_alu instid0(SALU_CYCLE_1) | instskip(NEXT) | instid1(SALU_CYCLE_1)
	s_xor_b32 s12, s11, -1
	s_and_saveexec_b32 s13, s12
	s_delay_alu instid0(SALU_CYCLE_1)
	s_xor_b32 s12, exec_lo, s13
	s_cbranch_execz .LBB23_42
; %bb.41:
	v_lshl_add_u32 v38, v36, 2, v1
	ds_load_b32 v38, v38 offset:4
.LBB23_42:
	s_or_saveexec_b32 s12, s12
	v_mov_b32_e32 v39, v35
	s_xor_b32 exec_lo, exec_lo, s12
	s_cbranch_execz .LBB23_44
; %bb.43:
	s_waitcnt lgkmcnt(0)
	v_lshl_add_u32 v38, v37, 2, v1
	ds_load_b32 v39, v38 offset:4
	v_mov_b32_e32 v38, v34
.LBB23_44:
	s_or_b32 exec_lo, exec_lo, s12
	v_add_nc_u32_e32 v40, 1, v36
	v_add_nc_u32_e32 v42, 1, v37
	s_waitcnt lgkmcnt(0)
	v_cmp_lt_i32_e64 s13, v39, v38
                                        ; implicit-def: $vgpr44
	s_delay_alu instid0(VALU_DEP_3) | instskip(NEXT) | instid1(VALU_DEP_3)
	v_cndmask_b32_e64 v41, v40, v36, s11
	v_cndmask_b32_e64 v42, v37, v42, s11
	s_delay_alu instid0(VALU_DEP_2) | instskip(NEXT) | instid1(VALU_DEP_2)
	v_cmp_ge_i32_e64 s12, v41, v4
	v_cmp_lt_i32_e64 s14, v42, v3
	s_delay_alu instid0(VALU_DEP_2)
	s_or_b32 s12, s12, s13
	s_delay_alu instid0(VALU_DEP_1) | instid1(SALU_CYCLE_1)
	s_and_b32 s12, s14, s12
	s_delay_alu instid0(SALU_CYCLE_1) | instskip(NEXT) | instid1(SALU_CYCLE_1)
	s_xor_b32 s13, s12, -1
	s_and_saveexec_b32 s14, s13
	s_delay_alu instid0(SALU_CYCLE_1)
	s_xor_b32 s13, exec_lo, s14
	s_cbranch_execz .LBB23_46
; %bb.45:
	v_lshl_add_u32 v40, v41, 2, v1
	ds_load_b32 v44, v40 offset:4
.LBB23_46:
	s_or_saveexec_b32 s13, s13
	v_mov_b32_e32 v45, v39
	s_xor_b32 exec_lo, exec_lo, s13
	s_cbranch_execz .LBB23_48
; %bb.47:
	v_lshl_add_u32 v40, v42, 2, v1
	s_waitcnt lgkmcnt(0)
	v_mov_b32_e32 v44, v38
	ds_load_b32 v45, v40 offset:4
.LBB23_48:
	s_or_b32 exec_lo, exec_lo, s13
	v_add_nc_u32_e32 v40, 1, v41
	v_add_nc_u32_e32 v43, 1, v42
	s_waitcnt lgkmcnt(0)
	v_cmp_lt_i32_e64 s14, v45, v44
	s_delay_alu instid0(VALU_DEP_3) | instskip(NEXT) | instid1(VALU_DEP_3)
	v_cndmask_b32_e64 v46, v40, v41, s12
	v_cndmask_b32_e64 v47, v42, v43, s12
                                        ; implicit-def: $vgpr40
	s_delay_alu instid0(VALU_DEP_2) | instskip(NEXT) | instid1(VALU_DEP_2)
	v_cmp_ge_i32_e64 s13, v46, v4
	v_cmp_lt_i32_e64 s15, v47, v3
	s_delay_alu instid0(VALU_DEP_2)
	s_or_b32 s13, s13, s14
	s_delay_alu instid0(VALU_DEP_1) | instid1(SALU_CYCLE_1)
	s_and_b32 s13, s15, s13
	s_delay_alu instid0(SALU_CYCLE_1) | instskip(NEXT) | instid1(SALU_CYCLE_1)
	s_xor_b32 s14, s13, -1
	s_and_saveexec_b32 s15, s14
	s_delay_alu instid0(SALU_CYCLE_1)
	s_xor_b32 s14, exec_lo, s15
	s_cbranch_execz .LBB23_50
; %bb.49:
	v_lshl_add_u32 v40, v46, 2, v1
	ds_load_b32 v40, v40 offset:4
.LBB23_50:
	s_or_saveexec_b32 s14, s14
	v_mov_b32_e32 v43, v45
	s_xor_b32 exec_lo, exec_lo, s14
	s_cbranch_execz .LBB23_52
; %bb.51:
	s_waitcnt lgkmcnt(0)
	v_lshl_add_u32 v40, v47, 2, v1
	ds_load_b32 v43, v40 offset:4
	v_mov_b32_e32 v40, v44
.LBB23_52:
	s_or_b32 exec_lo, exec_lo, s14
	v_add_nc_u32_e32 v49, 1, v46
	v_cndmask_b32_e64 v44, v44, v45, s13
	v_cndmask_b32_e64 v45, v46, v47, s13
	;; [unrolled: 1-line block ×5, first 2 shown]
	v_add_nc_u32_e32 v48, 1, v47
	v_cndmask_b32_e64 v29, v28, v29, s9
	v_cndmask_b32_e64 v0, v5, v0, s7
	;; [unrolled: 1-line block ×3, first 2 shown]
	v_cmp_ge_i32_e64 s10, v46, v4
	v_and_b32_e32 v4, 0x60, v15
	v_cndmask_b32_e64 v47, v47, v48, s13
	v_cndmask_b32_e64 v35, v36, v37, s11
	s_waitcnt lgkmcnt(0)
	v_cmp_lt_i32_e64 s11, v43, v40
	v_cndmask_b32_e64 v38, v38, v39, s12
	v_min_i32_e32 v28, v13, v4
	v_cndmask_b32_e64 v39, v41, v42, s12
	v_cmp_lt_i32_e64 s12, v47, v3
	; wave barrier
	s_delay_alu instid0(VALU_DEP_3)
	v_add_nc_u32_e32 v5, 16, v28
	ds_store_2addr_b32 v2, v20, v21 offset1:1
	ds_store_2addr_b32 v2, v18, v19 offset0:2 offset1:3
	ds_store_2addr_b32 v2, v17, v11 offset0:4 offset1:5
	ds_store_2addr_b32 v2, v10, v16 offset0:6 offset1:7
	v_cndmask_b32_e64 v3, v6, v7, s8
	s_or_b32 s10, s10, s11
	v_lshl_add_u32 v0, v0, 2, v1
	v_min_i32_e32 v17, v13, v5
	s_and_b32 s10, s12, s10
	v_and_b32_e32 v11, 24, v15
	v_cndmask_b32_e64 v4, v46, v47, s10
	v_lshl_add_u32 v3, v3, 2, v1
	v_add_nc_u32_e32 v5, 16, v17
	v_lshl_add_u32 v6, v29, 2, v1
	v_lshl_add_u32 v7, v31, 2, v1
	;; [unrolled: 1-line block ×3, first 2 shown]
	; wave barrier
	s_delay_alu instid0(VALU_DEP_4)
	v_min_i32_e32 v16, v13, v5
	v_lshl_add_u32 v19, v39, 2, v1
	v_lshl_add_u32 v20, v45, 2, v1
	;; [unrolled: 1-line block ×3, first 2 shown]
	v_min_i32_e32 v18, v13, v11
	ds_load_b32 v0, v0
	ds_load_b32 v3, v3
	;; [unrolled: 1-line block ×8, first 2 shown]
	v_sub_nc_u32_e32 v29, v16, v17
	v_sub_nc_u32_e32 v21, v17, v28
	v_cndmask_b32_e64 v24, v25, v24, s8
	v_cndmask_b32_e64 v22, v22, v23, s7
	;; [unrolled: 1-line block ×3, first 2 shown]
	v_sub_nc_u32_e32 v19, v18, v29
	v_cmp_ge_i32_e64 s8, v18, v29
	v_min_i32_e32 v21, v18, v21
	v_cndmask_b32_e64 v32, v40, v43, s10
	s_mov_b32 s9, 0
	s_delay_alu instid0(VALU_DEP_3)
	v_cndmask_b32_e64 v20, 0, v19, s8
	v_lshl_add_u32 v19, v28, 2, v1
	s_mov_b32 s8, exec_lo
	; wave barrier
	ds_store_2addr_b32 v2, v22, v24 offset1:1
	ds_store_2addr_b32 v2, v26, v30 offset0:2 offset1:3
	ds_store_2addr_b32 v2, v34, v38 offset0:4 offset1:5
	;; [unrolled: 1-line block ×3, first 2 shown]
	; wave barrier
	v_cmpx_lt_i32_e64 v20, v21
	s_cbranch_execz .LBB23_56
; %bb.53:
	v_lshlrev_b32_e32 v22, 2, v17
	v_lshlrev_b32_e32 v23, 2, v18
	s_delay_alu instid0(VALU_DEP_1)
	v_add3_u32 v22, v1, v22, v23
	.p2align	6
.LBB23_54:                              ; =>This Inner Loop Header: Depth=1
	v_sub_nc_u32_e32 v23, v21, v20
	s_delay_alu instid0(VALU_DEP_1) | instskip(NEXT) | instid1(VALU_DEP_1)
	v_lshrrev_b32_e32 v24, 31, v23
	v_add_nc_u32_e32 v23, v23, v24
	s_delay_alu instid0(VALU_DEP_1) | instskip(NEXT) | instid1(VALU_DEP_1)
	v_ashrrev_i32_e32 v23, 1, v23
	v_add_nc_u32_e32 v23, v23, v20
	s_delay_alu instid0(VALU_DEP_1) | instskip(SKIP_2) | instid1(VALU_DEP_3)
	v_not_b32_e32 v24, v23
	v_lshl_add_u32 v25, v23, 2, v19
	v_add_nc_u32_e32 v26, 1, v23
	v_lshl_add_u32 v24, v24, 2, v22
	ds_load_b32 v25, v25
	ds_load_b32 v24, v24
	s_waitcnt lgkmcnt(0)
	v_cmp_lt_i32_e64 s7, v24, v25
	s_delay_alu instid0(VALU_DEP_1) | instskip(SKIP_1) | instid1(VALU_DEP_1)
	v_cndmask_b32_e64 v21, v21, v23, s7
	v_cndmask_b32_e64 v20, v26, v20, s7
	v_cmp_ge_i32_e64 s7, v20, v21
	s_delay_alu instid0(VALU_DEP_1) | instskip(NEXT) | instid1(SALU_CYCLE_1)
	s_or_b32 s9, s7, s9
	s_and_not1_b32 exec_lo, exec_lo, s9
	s_cbranch_execnz .LBB23_54
; %bb.55:
	s_or_b32 exec_lo, exec_lo, s9
.LBB23_56:
	s_delay_alu instid0(SALU_CYCLE_1) | instskip(SKIP_3) | instid1(VALU_DEP_3)
	s_or_b32 exec_lo, exec_lo, s8
	v_add_nc_u32_e32 v18, v17, v18
	v_lshl_add_u32 v25, v20, 2, v19
	v_add_nc_u32_e32 v23, v20, v28
                                        ; implicit-def: $vgpr21
	v_sub_nc_u32_e32 v22, v18, v20
                                        ; implicit-def: $vgpr20
	s_delay_alu instid0(VALU_DEP_2) | instskip(NEXT) | instid1(VALU_DEP_2)
	v_cmp_le_i32_e64 s7, v17, v23
	v_lshl_add_u32 v24, v22, 2, v1
	v_cmp_gt_i32_e64 s9, v16, v22
	ds_load_b32 v18, v25
	ds_load_b32 v19, v24
	s_waitcnt lgkmcnt(0)
	v_cmp_lt_i32_e64 s8, v19, v18
	s_delay_alu instid0(VALU_DEP_1) | instskip(NEXT) | instid1(SALU_CYCLE_1)
	s_or_b32 s7, s7, s8
	s_and_b32 s7, s9, s7
	s_delay_alu instid0(SALU_CYCLE_1) | instskip(NEXT) | instid1(SALU_CYCLE_1)
	s_xor_b32 s8, s7, -1
	s_and_saveexec_b32 s9, s8
	s_delay_alu instid0(SALU_CYCLE_1)
	s_xor_b32 s8, exec_lo, s9
	s_cbranch_execz .LBB23_58
; %bb.57:
	ds_load_b32 v21, v25 offset:4
	v_mov_b32_e32 v20, v19
                                        ; implicit-def: $vgpr24
.LBB23_58:
	s_and_not1_saveexec_b32 s8, s8
	s_cbranch_execz .LBB23_60
; %bb.59:
	ds_load_b32 v20, v24 offset:4
	s_waitcnt lgkmcnt(1)
	v_mov_b32_e32 v21, v18
.LBB23_60:
	s_or_b32 exec_lo, exec_lo, s8
	v_add_nc_u32_e32 v24, 1, v23
	v_add_nc_u32_e32 v25, 1, v22
	s_waitcnt lgkmcnt(0)
	v_cmp_lt_i32_e64 s9, v20, v21
	s_delay_alu instid0(VALU_DEP_3) | instskip(NEXT) | instid1(VALU_DEP_3)
	v_cndmask_b32_e64 v26, v24, v23, s7
	v_cndmask_b32_e64 v27, v22, v25, s7
                                        ; implicit-def: $vgpr24
	s_delay_alu instid0(VALU_DEP_2) | instskip(NEXT) | instid1(VALU_DEP_2)
	v_cmp_ge_i32_e64 s8, v26, v17
	v_cmp_lt_i32_e64 s10, v27, v16
	s_delay_alu instid0(VALU_DEP_2)
	s_or_b32 s8, s8, s9
	s_delay_alu instid0(VALU_DEP_1) | instid1(SALU_CYCLE_1)
	s_and_b32 s8, s10, s8
	s_delay_alu instid0(SALU_CYCLE_1) | instskip(NEXT) | instid1(SALU_CYCLE_1)
	s_xor_b32 s9, s8, -1
	s_and_saveexec_b32 s10, s9
	s_delay_alu instid0(SALU_CYCLE_1)
	s_xor_b32 s9, exec_lo, s10
	s_cbranch_execz .LBB23_62
; %bb.61:
	v_lshl_add_u32 v24, v26, 2, v1
	ds_load_b32 v24, v24 offset:4
.LBB23_62:
	s_or_saveexec_b32 s9, s9
	v_mov_b32_e32 v25, v20
	s_xor_b32 exec_lo, exec_lo, s9
	s_cbranch_execz .LBB23_64
; %bb.63:
	s_waitcnt lgkmcnt(0)
	v_lshl_add_u32 v24, v27, 2, v1
	ds_load_b32 v25, v24 offset:4
	v_mov_b32_e32 v24, v21
.LBB23_64:
	s_or_b32 exec_lo, exec_lo, s9
	v_add_nc_u32_e32 v28, 1, v26
	v_add_nc_u32_e32 v29, 1, v27
	s_waitcnt lgkmcnt(0)
	v_cmp_lt_i32_e64 s10, v25, v24
                                        ; implicit-def: $vgpr30
	s_delay_alu instid0(VALU_DEP_3) | instskip(NEXT) | instid1(VALU_DEP_3)
	v_cndmask_b32_e64 v28, v28, v26, s8
	v_cndmask_b32_e64 v29, v27, v29, s8
	s_delay_alu instid0(VALU_DEP_2) | instskip(NEXT) | instid1(VALU_DEP_2)
	v_cmp_ge_i32_e64 s9, v28, v17
	v_cmp_lt_i32_e64 s11, v29, v16
	s_delay_alu instid0(VALU_DEP_2)
	s_or_b32 s9, s9, s10
	s_delay_alu instid0(VALU_DEP_1) | instid1(SALU_CYCLE_1)
	s_and_b32 s9, s11, s9
	s_delay_alu instid0(SALU_CYCLE_1) | instskip(NEXT) | instid1(SALU_CYCLE_1)
	s_xor_b32 s10, s9, -1
	s_and_saveexec_b32 s11, s10
	s_delay_alu instid0(SALU_CYCLE_1)
	s_xor_b32 s10, exec_lo, s11
	s_cbranch_execz .LBB23_66
; %bb.65:
	v_lshl_add_u32 v30, v28, 2, v1
	ds_load_b32 v30, v30 offset:4
.LBB23_66:
	s_or_saveexec_b32 s10, s10
	v_mov_b32_e32 v31, v25
	s_xor_b32 exec_lo, exec_lo, s10
	s_cbranch_execz .LBB23_68
; %bb.67:
	s_waitcnt lgkmcnt(0)
	v_lshl_add_u32 v30, v29, 2, v1
	ds_load_b32 v31, v30 offset:4
	v_mov_b32_e32 v30, v24
.LBB23_68:
	s_or_b32 exec_lo, exec_lo, s10
	v_add_nc_u32_e32 v32, 1, v28
	v_add_nc_u32_e32 v33, 1, v29
	s_waitcnt lgkmcnt(0)
	v_cmp_lt_i32_e64 s11, v31, v30
                                        ; implicit-def: $vgpr34
	s_delay_alu instid0(VALU_DEP_3) | instskip(NEXT) | instid1(VALU_DEP_3)
	v_cndmask_b32_e64 v32, v32, v28, s9
	v_cndmask_b32_e64 v33, v29, v33, s9
	s_delay_alu instid0(VALU_DEP_2) | instskip(NEXT) | instid1(VALU_DEP_2)
	v_cmp_ge_i32_e64 s10, v32, v17
	v_cmp_lt_i32_e64 s12, v33, v16
	s_delay_alu instid0(VALU_DEP_2)
	s_or_b32 s10, s10, s11
	s_delay_alu instid0(VALU_DEP_1) | instid1(SALU_CYCLE_1)
	s_and_b32 s10, s12, s10
	s_delay_alu instid0(SALU_CYCLE_1) | instskip(NEXT) | instid1(SALU_CYCLE_1)
	s_xor_b32 s11, s10, -1
	s_and_saveexec_b32 s12, s11
	s_delay_alu instid0(SALU_CYCLE_1)
	s_xor_b32 s11, exec_lo, s12
	s_cbranch_execz .LBB23_70
; %bb.69:
	v_lshl_add_u32 v34, v32, 2, v1
	ds_load_b32 v34, v34 offset:4
.LBB23_70:
	s_or_saveexec_b32 s11, s11
	v_mov_b32_e32 v35, v31
	s_xor_b32 exec_lo, exec_lo, s11
	s_cbranch_execz .LBB23_72
; %bb.71:
	s_waitcnt lgkmcnt(0)
	v_lshl_add_u32 v34, v33, 2, v1
	ds_load_b32 v35, v34 offset:4
	v_mov_b32_e32 v34, v30
.LBB23_72:
	s_or_b32 exec_lo, exec_lo, s11
	v_add_nc_u32_e32 v36, 1, v32
	v_add_nc_u32_e32 v37, 1, v33
	s_waitcnt lgkmcnt(0)
	v_cmp_lt_i32_e64 s12, v35, v34
                                        ; implicit-def: $vgpr38
	s_delay_alu instid0(VALU_DEP_3) | instskip(NEXT) | instid1(VALU_DEP_3)
	v_cndmask_b32_e64 v36, v36, v32, s10
	v_cndmask_b32_e64 v37, v33, v37, s10
	s_delay_alu instid0(VALU_DEP_2) | instskip(NEXT) | instid1(VALU_DEP_2)
	v_cmp_ge_i32_e64 s11, v36, v17
	v_cmp_lt_i32_e64 s13, v37, v16
	s_delay_alu instid0(VALU_DEP_2)
	s_or_b32 s11, s11, s12
	s_delay_alu instid0(VALU_DEP_1) | instid1(SALU_CYCLE_1)
	s_and_b32 s11, s13, s11
	s_delay_alu instid0(SALU_CYCLE_1) | instskip(NEXT) | instid1(SALU_CYCLE_1)
	s_xor_b32 s12, s11, -1
	s_and_saveexec_b32 s13, s12
	s_delay_alu instid0(SALU_CYCLE_1)
	s_xor_b32 s12, exec_lo, s13
	s_cbranch_execz .LBB23_74
; %bb.73:
	v_lshl_add_u32 v38, v36, 2, v1
	ds_load_b32 v38, v38 offset:4
.LBB23_74:
	s_or_saveexec_b32 s12, s12
	v_mov_b32_e32 v39, v35
	s_xor_b32 exec_lo, exec_lo, s12
	s_cbranch_execz .LBB23_76
; %bb.75:
	s_waitcnt lgkmcnt(0)
	v_lshl_add_u32 v38, v37, 2, v1
	ds_load_b32 v39, v38 offset:4
	v_mov_b32_e32 v38, v34
.LBB23_76:
	s_or_b32 exec_lo, exec_lo, s12
	v_add_nc_u32_e32 v40, 1, v36
	v_add_nc_u32_e32 v42, 1, v37
	s_waitcnt lgkmcnt(0)
	v_cmp_lt_i32_e64 s13, v39, v38
                                        ; implicit-def: $vgpr44
	s_delay_alu instid0(VALU_DEP_3) | instskip(NEXT) | instid1(VALU_DEP_3)
	v_cndmask_b32_e64 v41, v40, v36, s11
	v_cndmask_b32_e64 v42, v37, v42, s11
	s_delay_alu instid0(VALU_DEP_2) | instskip(NEXT) | instid1(VALU_DEP_2)
	v_cmp_ge_i32_e64 s12, v41, v17
	v_cmp_lt_i32_e64 s14, v42, v16
	s_delay_alu instid0(VALU_DEP_2)
	s_or_b32 s12, s12, s13
	s_delay_alu instid0(VALU_DEP_1) | instid1(SALU_CYCLE_1)
	s_and_b32 s12, s14, s12
	s_delay_alu instid0(SALU_CYCLE_1) | instskip(NEXT) | instid1(SALU_CYCLE_1)
	s_xor_b32 s13, s12, -1
	s_and_saveexec_b32 s14, s13
	s_delay_alu instid0(SALU_CYCLE_1)
	s_xor_b32 s13, exec_lo, s14
	s_cbranch_execz .LBB23_78
; %bb.77:
	v_lshl_add_u32 v40, v41, 2, v1
	ds_load_b32 v44, v40 offset:4
.LBB23_78:
	s_or_saveexec_b32 s13, s13
	v_mov_b32_e32 v45, v39
	s_xor_b32 exec_lo, exec_lo, s13
	s_cbranch_execz .LBB23_80
; %bb.79:
	v_lshl_add_u32 v40, v42, 2, v1
	s_waitcnt lgkmcnt(0)
	v_mov_b32_e32 v44, v38
	ds_load_b32 v45, v40 offset:4
.LBB23_80:
	s_or_b32 exec_lo, exec_lo, s13
	v_add_nc_u32_e32 v40, 1, v41
	v_add_nc_u32_e32 v43, 1, v42
	s_waitcnt lgkmcnt(0)
	v_cmp_lt_i32_e64 s14, v45, v44
	s_delay_alu instid0(VALU_DEP_3) | instskip(NEXT) | instid1(VALU_DEP_3)
	v_cndmask_b32_e64 v46, v40, v41, s12
	v_cndmask_b32_e64 v47, v42, v43, s12
                                        ; implicit-def: $vgpr40
	s_delay_alu instid0(VALU_DEP_2) | instskip(NEXT) | instid1(VALU_DEP_2)
	v_cmp_ge_i32_e64 s13, v46, v17
	v_cmp_lt_i32_e64 s15, v47, v16
	s_delay_alu instid0(VALU_DEP_2)
	s_or_b32 s13, s13, s14
	s_delay_alu instid0(VALU_DEP_1) | instid1(SALU_CYCLE_1)
	s_and_b32 s13, s15, s13
	s_delay_alu instid0(SALU_CYCLE_1) | instskip(NEXT) | instid1(SALU_CYCLE_1)
	s_xor_b32 s14, s13, -1
	s_and_saveexec_b32 s15, s14
	s_delay_alu instid0(SALU_CYCLE_1)
	s_xor_b32 s14, exec_lo, s15
	s_cbranch_execz .LBB23_82
; %bb.81:
	v_lshl_add_u32 v40, v46, 2, v1
	ds_load_b32 v40, v40 offset:4
.LBB23_82:
	s_or_saveexec_b32 s14, s14
	v_mov_b32_e32 v43, v45
	s_xor_b32 exec_lo, exec_lo, s14
	s_cbranch_execz .LBB23_84
; %bb.83:
	s_waitcnt lgkmcnt(0)
	v_lshl_add_u32 v40, v47, 2, v1
	ds_load_b32 v43, v40 offset:4
	v_mov_b32_e32 v40, v44
.LBB23_84:
	s_or_b32 exec_lo, exec_lo, s14
	v_add_nc_u32_e32 v49, 1, v46
	v_cndmask_b32_e64 v44, v44, v45, s13
	v_cndmask_b32_e64 v45, v46, v47, s13
	v_add_nc_u32_e32 v48, 1, v47
	v_cndmask_b32_e64 v30, v30, v31, s10
	v_cndmask_b32_e64 v46, v49, v46, s13
	;; [unrolled: 1-line block ×6, first 2 shown]
	v_cmp_ge_i32_e64 s10, v46, v17
	v_and_b32_e32 v17, 64, v15
	v_cndmask_b32_e64 v39, v41, v42, s12
	v_cmp_lt_i32_e64 s12, v47, v16
	v_cndmask_b32_e64 v34, v34, v35, s11
	v_cndmask_b32_e64 v35, v36, v37, s11
	v_min_i32_e32 v22, v13, v17
	s_waitcnt lgkmcnt(0)
	v_cmp_lt_i32_e64 s11, v43, v40
	v_cndmask_b32_e64 v26, v26, v27, s8
	v_cndmask_b32_e64 v28, v28, v29, s9
	v_add_nc_u32_e32 v16, 32, v22
	s_delay_alu instid0(VALU_DEP_4) | instskip(NEXT) | instid1(SALU_CYCLE_1)
	s_or_b32 s10, s10, s11
	; wave barrier
	s_and_b32 s10, s12, s10
	ds_store_2addr_b32 v2, v0, v3 offset1:1
	ds_store_2addr_b32 v2, v4, v5 offset0:2 offset1:3
	ds_store_2addr_b32 v2, v6, v7 offset0:4 offset1:5
	;; [unrolled: 1-line block ×3, first 2 shown]
	v_min_i32_e32 v16, v13, v16
	v_cndmask_b32_e64 v17, v46, v47, s10
	v_lshl_add_u32 v0, v23, 2, v1
	v_and_b32_e32 v10, 56, v15
	v_lshl_add_u32 v3, v26, 2, v1
	v_add_nc_u32_e32 v4, 32, v16
	v_lshl_add_u32 v5, v28, 2, v1
	v_lshl_add_u32 v6, v31, 2, v1
	;; [unrolled: 1-line block ×4, first 2 shown]
	; wave barrier
	v_min_i32_e32 v15, v13, v4
	v_lshl_add_u32 v23, v45, 2, v1
	v_lshl_add_u32 v26, v17, 2, v1
	v_min_i32_e32 v17, v13, v10
	ds_load_b32 v0, v0
	ds_load_b32 v3, v3
	;; [unrolled: 1-line block ×8, first 2 shown]
	v_sub_nc_u32_e32 v28, v15, v16
	v_sub_nc_u32_e32 v26, v16, v22
	v_cndmask_b32_e64 v24, v24, v25, s9
	v_cndmask_b32_e64 v25, v21, v20, s8
	v_cndmask_b32_e64 v19, v18, v19, s7
	v_sub_nc_u32_e32 v23, v17, v28
	v_cmp_ge_i32_e64 s8, v17, v28
	v_min_i32_e32 v21, v17, v26
	v_lshl_add_u32 v18, v22, 2, v1
	v_cndmask_b32_e64 v27, v40, v43, s10
	s_mov_b32 s9, 0
	v_cndmask_b32_e64 v20, 0, v23, s8
	s_mov_b32 s8, exec_lo
	; wave barrier
	ds_store_2addr_b32 v2, v19, v25 offset1:1
	ds_store_2addr_b32 v2, v24, v30 offset0:2 offset1:3
	ds_store_2addr_b32 v2, v34, v38 offset0:4 offset1:5
	;; [unrolled: 1-line block ×3, first 2 shown]
	; wave barrier
	v_cmpx_lt_i32_e64 v20, v21
	s_cbranch_execz .LBB23_88
; %bb.85:
	v_lshlrev_b32_e32 v19, 2, v16
	v_lshlrev_b32_e32 v23, 2, v17
	s_delay_alu instid0(VALU_DEP_1)
	v_add3_u32 v19, v1, v19, v23
	.p2align	6
.LBB23_86:                              ; =>This Inner Loop Header: Depth=1
	v_sub_nc_u32_e32 v23, v21, v20
	s_delay_alu instid0(VALU_DEP_1) | instskip(NEXT) | instid1(VALU_DEP_1)
	v_lshrrev_b32_e32 v24, 31, v23
	v_add_nc_u32_e32 v23, v23, v24
	s_delay_alu instid0(VALU_DEP_1) | instskip(NEXT) | instid1(VALU_DEP_1)
	v_ashrrev_i32_e32 v23, 1, v23
	v_add_nc_u32_e32 v23, v23, v20
	s_delay_alu instid0(VALU_DEP_1) | instskip(SKIP_2) | instid1(VALU_DEP_3)
	v_not_b32_e32 v24, v23
	v_lshl_add_u32 v25, v23, 2, v18
	v_add_nc_u32_e32 v26, 1, v23
	v_lshl_add_u32 v24, v24, 2, v19
	ds_load_b32 v25, v25
	ds_load_b32 v24, v24
	s_waitcnt lgkmcnt(0)
	v_cmp_lt_i32_e64 s7, v24, v25
	s_delay_alu instid0(VALU_DEP_1) | instskip(SKIP_1) | instid1(VALU_DEP_1)
	v_cndmask_b32_e64 v21, v21, v23, s7
	v_cndmask_b32_e64 v20, v26, v20, s7
	v_cmp_ge_i32_e64 s7, v20, v21
	s_delay_alu instid0(VALU_DEP_1) | instskip(NEXT) | instid1(SALU_CYCLE_1)
	s_or_b32 s9, s7, s9
	s_and_not1_b32 exec_lo, exec_lo, s9
	s_cbranch_execnz .LBB23_86
; %bb.87:
	s_or_b32 exec_lo, exec_lo, s9
.LBB23_88:
	s_delay_alu instid0(SALU_CYCLE_1) | instskip(SKIP_3) | instid1(VALU_DEP_3)
	s_or_b32 exec_lo, exec_lo, s8
	v_add_nc_u32_e32 v17, v16, v17
	v_lshl_add_u32 v24, v20, 2, v18
	v_add_nc_u32_e32 v22, v20, v22
                                        ; implicit-def: $vgpr19
	v_sub_nc_u32_e32 v21, v17, v20
                                        ; implicit-def: $vgpr20
	s_delay_alu instid0(VALU_DEP_2) | instskip(NEXT) | instid1(VALU_DEP_2)
	v_cmp_le_i32_e64 s7, v16, v22
	v_lshl_add_u32 v23, v21, 2, v1
	v_cmp_gt_i32_e64 s9, v15, v21
	ds_load_b32 v17, v24
	ds_load_b32 v18, v23
	s_waitcnt lgkmcnt(0)
	v_cmp_lt_i32_e64 s8, v18, v17
	s_delay_alu instid0(VALU_DEP_1) | instskip(NEXT) | instid1(SALU_CYCLE_1)
	s_or_b32 s7, s7, s8
	s_and_b32 s7, s9, s7
	s_delay_alu instid0(SALU_CYCLE_1) | instskip(NEXT) | instid1(SALU_CYCLE_1)
	s_xor_b32 s8, s7, -1
	s_and_saveexec_b32 s9, s8
	s_delay_alu instid0(SALU_CYCLE_1)
	s_xor_b32 s8, exec_lo, s9
	s_cbranch_execz .LBB23_90
; %bb.89:
	ds_load_b32 v20, v24 offset:4
	v_mov_b32_e32 v19, v18
                                        ; implicit-def: $vgpr23
.LBB23_90:
	s_and_not1_saveexec_b32 s8, s8
	s_cbranch_execz .LBB23_92
; %bb.91:
	ds_load_b32 v19, v23 offset:4
	s_waitcnt lgkmcnt(1)
	v_mov_b32_e32 v20, v17
.LBB23_92:
	s_or_b32 exec_lo, exec_lo, s8
	v_add_nc_u32_e32 v23, 1, v22
	v_add_nc_u32_e32 v24, 1, v21
	s_waitcnt lgkmcnt(0)
	v_cmp_lt_i32_e64 s9, v19, v20
	s_delay_alu instid0(VALU_DEP_3) | instskip(NEXT) | instid1(VALU_DEP_3)
	v_cndmask_b32_e64 v25, v23, v22, s7
	v_cndmask_b32_e64 v26, v21, v24, s7
                                        ; implicit-def: $vgpr23
	s_delay_alu instid0(VALU_DEP_2) | instskip(NEXT) | instid1(VALU_DEP_2)
	v_cmp_ge_i32_e64 s8, v25, v16
	v_cmp_lt_i32_e64 s10, v26, v15
	s_delay_alu instid0(VALU_DEP_2)
	s_or_b32 s8, s8, s9
	s_delay_alu instid0(VALU_DEP_1) | instid1(SALU_CYCLE_1)
	s_and_b32 s8, s10, s8
	s_delay_alu instid0(SALU_CYCLE_1) | instskip(NEXT) | instid1(SALU_CYCLE_1)
	s_xor_b32 s9, s8, -1
	s_and_saveexec_b32 s10, s9
	s_delay_alu instid0(SALU_CYCLE_1)
	s_xor_b32 s9, exec_lo, s10
	s_cbranch_execz .LBB23_94
; %bb.93:
	v_lshl_add_u32 v23, v25, 2, v1
	ds_load_b32 v23, v23 offset:4
.LBB23_94:
	s_or_saveexec_b32 s9, s9
	v_mov_b32_e32 v24, v19
	s_xor_b32 exec_lo, exec_lo, s9
	s_cbranch_execz .LBB23_96
; %bb.95:
	s_waitcnt lgkmcnt(0)
	v_lshl_add_u32 v23, v26, 2, v1
	ds_load_b32 v24, v23 offset:4
	v_mov_b32_e32 v23, v20
.LBB23_96:
	s_or_b32 exec_lo, exec_lo, s9
	v_add_nc_u32_e32 v27, 1, v25
	v_add_nc_u32_e32 v28, 1, v26
	s_waitcnt lgkmcnt(0)
	v_cmp_lt_i32_e64 s10, v24, v23
                                        ; implicit-def: $vgpr29
	s_delay_alu instid0(VALU_DEP_3) | instskip(NEXT) | instid1(VALU_DEP_3)
	v_cndmask_b32_e64 v27, v27, v25, s8
	v_cndmask_b32_e64 v28, v26, v28, s8
	s_delay_alu instid0(VALU_DEP_2) | instskip(NEXT) | instid1(VALU_DEP_2)
	v_cmp_ge_i32_e64 s9, v27, v16
	v_cmp_lt_i32_e64 s11, v28, v15
	s_delay_alu instid0(VALU_DEP_2)
	s_or_b32 s9, s9, s10
	s_delay_alu instid0(VALU_DEP_1) | instid1(SALU_CYCLE_1)
	s_and_b32 s9, s11, s9
	s_delay_alu instid0(SALU_CYCLE_1) | instskip(NEXT) | instid1(SALU_CYCLE_1)
	s_xor_b32 s10, s9, -1
	s_and_saveexec_b32 s11, s10
	s_delay_alu instid0(SALU_CYCLE_1)
	s_xor_b32 s10, exec_lo, s11
	s_cbranch_execz .LBB23_98
; %bb.97:
	v_lshl_add_u32 v29, v27, 2, v1
	ds_load_b32 v29, v29 offset:4
.LBB23_98:
	s_or_saveexec_b32 s10, s10
	v_mov_b32_e32 v30, v24
	s_xor_b32 exec_lo, exec_lo, s10
	s_cbranch_execz .LBB23_100
; %bb.99:
	s_waitcnt lgkmcnt(0)
	v_lshl_add_u32 v29, v28, 2, v1
	ds_load_b32 v30, v29 offset:4
	v_mov_b32_e32 v29, v23
.LBB23_100:
	s_or_b32 exec_lo, exec_lo, s10
	v_add_nc_u32_e32 v31, 1, v27
	v_add_nc_u32_e32 v32, 1, v28
	s_waitcnt lgkmcnt(0)
	v_cmp_lt_i32_e64 s11, v30, v29
                                        ; implicit-def: $vgpr33
	s_delay_alu instid0(VALU_DEP_3) | instskip(NEXT) | instid1(VALU_DEP_3)
	v_cndmask_b32_e64 v31, v31, v27, s9
	v_cndmask_b32_e64 v32, v28, v32, s9
	s_delay_alu instid0(VALU_DEP_2) | instskip(NEXT) | instid1(VALU_DEP_2)
	v_cmp_ge_i32_e64 s10, v31, v16
	v_cmp_lt_i32_e64 s12, v32, v15
	s_delay_alu instid0(VALU_DEP_2)
	s_or_b32 s10, s10, s11
	s_delay_alu instid0(VALU_DEP_1) | instid1(SALU_CYCLE_1)
	s_and_b32 s10, s12, s10
	s_delay_alu instid0(SALU_CYCLE_1) | instskip(NEXT) | instid1(SALU_CYCLE_1)
	s_xor_b32 s11, s10, -1
	s_and_saveexec_b32 s12, s11
	s_delay_alu instid0(SALU_CYCLE_1)
	s_xor_b32 s11, exec_lo, s12
	s_cbranch_execz .LBB23_102
; %bb.101:
	v_lshl_add_u32 v33, v31, 2, v1
	ds_load_b32 v33, v33 offset:4
.LBB23_102:
	s_or_saveexec_b32 s11, s11
	v_mov_b32_e32 v34, v30
	s_xor_b32 exec_lo, exec_lo, s11
	s_cbranch_execz .LBB23_104
; %bb.103:
	s_waitcnt lgkmcnt(0)
	v_lshl_add_u32 v33, v32, 2, v1
	ds_load_b32 v34, v33 offset:4
	v_mov_b32_e32 v33, v29
.LBB23_104:
	s_or_b32 exec_lo, exec_lo, s11
	v_add_nc_u32_e32 v35, 1, v31
	v_add_nc_u32_e32 v36, 1, v32
	s_waitcnt lgkmcnt(0)
	v_cmp_lt_i32_e64 s12, v34, v33
                                        ; implicit-def: $vgpr37
	s_delay_alu instid0(VALU_DEP_3) | instskip(NEXT) | instid1(VALU_DEP_3)
	v_cndmask_b32_e64 v35, v35, v31, s10
	v_cndmask_b32_e64 v36, v32, v36, s10
	s_delay_alu instid0(VALU_DEP_2) | instskip(NEXT) | instid1(VALU_DEP_2)
	v_cmp_ge_i32_e64 s11, v35, v16
	v_cmp_lt_i32_e64 s13, v36, v15
	s_delay_alu instid0(VALU_DEP_2)
	s_or_b32 s11, s11, s12
	s_delay_alu instid0(VALU_DEP_1) | instid1(SALU_CYCLE_1)
	s_and_b32 s11, s13, s11
	s_delay_alu instid0(SALU_CYCLE_1) | instskip(NEXT) | instid1(SALU_CYCLE_1)
	s_xor_b32 s12, s11, -1
	s_and_saveexec_b32 s13, s12
	s_delay_alu instid0(SALU_CYCLE_1)
	s_xor_b32 s12, exec_lo, s13
	s_cbranch_execz .LBB23_106
; %bb.105:
	v_lshl_add_u32 v37, v35, 2, v1
	ds_load_b32 v37, v37 offset:4
.LBB23_106:
	s_or_saveexec_b32 s12, s12
	v_mov_b32_e32 v38, v34
	s_xor_b32 exec_lo, exec_lo, s12
	s_cbranch_execz .LBB23_108
; %bb.107:
	s_waitcnt lgkmcnt(0)
	v_lshl_add_u32 v37, v36, 2, v1
	ds_load_b32 v38, v37 offset:4
	v_mov_b32_e32 v37, v33
.LBB23_108:
	s_or_b32 exec_lo, exec_lo, s12
	v_add_nc_u32_e32 v39, 1, v35
	v_add_nc_u32_e32 v41, 1, v36
	s_waitcnt lgkmcnt(0)
	v_cmp_lt_i32_e64 s13, v38, v37
                                        ; implicit-def: $vgpr43
	s_delay_alu instid0(VALU_DEP_3) | instskip(NEXT) | instid1(VALU_DEP_3)
	v_cndmask_b32_e64 v40, v39, v35, s11
	v_cndmask_b32_e64 v41, v36, v41, s11
	s_delay_alu instid0(VALU_DEP_2) | instskip(NEXT) | instid1(VALU_DEP_2)
	v_cmp_ge_i32_e64 s12, v40, v16
	v_cmp_lt_i32_e64 s14, v41, v15
	s_delay_alu instid0(VALU_DEP_2)
	s_or_b32 s12, s12, s13
	s_delay_alu instid0(VALU_DEP_1) | instid1(SALU_CYCLE_1)
	s_and_b32 s12, s14, s12
	s_delay_alu instid0(SALU_CYCLE_1) | instskip(NEXT) | instid1(SALU_CYCLE_1)
	s_xor_b32 s13, s12, -1
	s_and_saveexec_b32 s14, s13
	s_delay_alu instid0(SALU_CYCLE_1)
	s_xor_b32 s13, exec_lo, s14
	s_cbranch_execz .LBB23_110
; %bb.109:
	v_lshl_add_u32 v39, v40, 2, v1
	ds_load_b32 v43, v39 offset:4
.LBB23_110:
	s_or_saveexec_b32 s13, s13
	v_mov_b32_e32 v44, v38
	s_xor_b32 exec_lo, exec_lo, s13
	s_cbranch_execz .LBB23_112
; %bb.111:
	v_lshl_add_u32 v39, v41, 2, v1
	s_waitcnt lgkmcnt(0)
	v_mov_b32_e32 v43, v37
	ds_load_b32 v44, v39 offset:4
.LBB23_112:
	s_or_b32 exec_lo, exec_lo, s13
	v_add_nc_u32_e32 v39, 1, v40
	v_add_nc_u32_e32 v42, 1, v41
	s_waitcnt lgkmcnt(0)
	v_cmp_lt_i32_e64 s14, v44, v43
	s_delay_alu instid0(VALU_DEP_3) | instskip(NEXT) | instid1(VALU_DEP_3)
	v_cndmask_b32_e64 v45, v39, v40, s12
	v_cndmask_b32_e64 v46, v41, v42, s12
                                        ; implicit-def: $vgpr39
	s_delay_alu instid0(VALU_DEP_2) | instskip(NEXT) | instid1(VALU_DEP_2)
	v_cmp_ge_i32_e64 s13, v45, v16
	v_cmp_lt_i32_e64 s15, v46, v15
	s_delay_alu instid0(VALU_DEP_2)
	s_or_b32 s13, s13, s14
	s_delay_alu instid0(VALU_DEP_1) | instid1(SALU_CYCLE_1)
	s_and_b32 s13, s15, s13
	s_delay_alu instid0(SALU_CYCLE_1) | instskip(NEXT) | instid1(SALU_CYCLE_1)
	s_xor_b32 s14, s13, -1
	s_and_saveexec_b32 s15, s14
	s_delay_alu instid0(SALU_CYCLE_1)
	s_xor_b32 s14, exec_lo, s15
	s_cbranch_execz .LBB23_114
; %bb.113:
	v_lshl_add_u32 v39, v45, 2, v1
	ds_load_b32 v39, v39 offset:4
.LBB23_114:
	s_or_saveexec_b32 s14, s14
	v_mov_b32_e32 v42, v44
	s_xor_b32 exec_lo, exec_lo, s14
	s_cbranch_execz .LBB23_116
; %bb.115:
	s_waitcnt lgkmcnt(0)
	v_lshl_add_u32 v39, v46, 2, v1
	ds_load_b32 v42, v39 offset:4
	v_mov_b32_e32 v39, v43
.LBB23_116:
	s_or_b32 exec_lo, exec_lo, s14
	v_add_nc_u32_e32 v47, 1, v46
	v_add_nc_u32_e32 v48, 1, v45
	v_cndmask_b32_e64 v43, v43, v44, s13
	v_cndmask_b32_e64 v44, v45, v46, s13
	;; [unrolled: 1-line block ×4, first 2 shown]
	v_min_i32_e32 v27, 0, v13
	v_cndmask_b32_e64 v45, v48, v45, s13
	v_cndmask_b32_e64 v37, v37, v38, s12
	;; [unrolled: 1-line block ×3, first 2 shown]
	v_cmp_lt_i32_e64 s12, v46, v15
	v_add_nc_u32_e32 v15, 64, v27
	v_cndmask_b32_e64 v33, v33, v34, s11
	v_cndmask_b32_e64 v34, v35, v36, s11
	;; [unrolled: 1-line block ×4, first 2 shown]
	v_cmp_ge_i32_e64 s10, v45, v16
	s_waitcnt lgkmcnt(0)
	v_cmp_lt_i32_e64 s11, v42, v39
	v_cndmask_b32_e64 v21, v22, v21, s7
	v_min_i32_e32 v15, v13, v15
	v_cndmask_b32_e64 v16, v25, v26, s8
	s_delay_alu instid0(VALU_DEP_4) | instskip(NEXT) | instid1(SALU_CYCLE_1)
	s_or_b32 s10, s10, s11
	; wave barrier
	s_and_b32 s10, s12, s10
	ds_store_2addr_b32 v2, v0, v3 offset1:1
	ds_store_2addr_b32 v2, v4, v5 offset0:2 offset1:3
	ds_store_2addr_b32 v2, v6, v7 offset0:4 offset1:5
	;; [unrolled: 1-line block ×3, first 2 shown]
	v_cndmask_b32_e64 v25, v45, v46, s10
	v_lshl_add_u32 v0, v21, 2, v1
	v_add_nc_u32_e32 v3, 64, v15
	v_lshl_add_u32 v4, v16, 2, v1
	v_lshl_add_u32 v5, v28, 2, v1
	;; [unrolled: 1-line block ×6, first 2 shown]
	; wave barrier
	v_min_i32_e32 v16, v13, v3
	v_lshl_add_u32 v21, v25, 2, v1
	ds_load_b32 v0, v0
	ds_load_b32 v3, v4
	;; [unrolled: 1-line block ×8, first 2 shown]
	v_min_i32_e32 v13, v13, v14
	v_sub_nc_u32_e32 v25, v15, v27
	v_sub_nc_u32_e32 v14, v16, v15
	v_cndmask_b32_e64 v20, v20, v19, s8
	v_cndmask_b32_e64 v18, v17, v18, s7
	v_lshl_add_u32 v17, v27, 2, v1
	v_min_i32_e32 v19, v13, v25
	v_sub_nc_u32_e32 v21, v13, v14
	v_cmp_ge_i32_e64 s8, v13, v14
	v_cndmask_b32_e64 v23, v23, v24, s9
	v_cndmask_b32_e64 v22, v39, v42, s10
	s_mov_b32 s9, 0
	s_delay_alu instid0(VALU_DEP_3)
	v_cndmask_b32_e64 v14, 0, v21, s8
	s_mov_b32 s8, exec_lo
	; wave barrier
	ds_store_2addr_b32 v2, v18, v20 offset1:1
	ds_store_2addr_b32 v2, v23, v29 offset0:2 offset1:3
	ds_store_2addr_b32 v2, v33, v37 offset0:4 offset1:5
	;; [unrolled: 1-line block ×3, first 2 shown]
	; wave barrier
	v_cmpx_lt_i32_e64 v14, v19
	s_cbranch_execz .LBB23_120
; %bb.117:
	v_lshlrev_b32_e32 v18, 2, v15
	v_lshlrev_b32_e32 v20, 2, v13
	s_delay_alu instid0(VALU_DEP_1)
	v_add3_u32 v18, v1, v18, v20
	.p2align	6
.LBB23_118:                             ; =>This Inner Loop Header: Depth=1
	v_sub_nc_u32_e32 v20, v19, v14
	s_delay_alu instid0(VALU_DEP_1) | instskip(NEXT) | instid1(VALU_DEP_1)
	v_lshrrev_b32_e32 v21, 31, v20
	v_add_nc_u32_e32 v20, v20, v21
	s_delay_alu instid0(VALU_DEP_1) | instskip(NEXT) | instid1(VALU_DEP_1)
	v_ashrrev_i32_e32 v20, 1, v20
	v_add_nc_u32_e32 v20, v20, v14
	s_delay_alu instid0(VALU_DEP_1) | instskip(SKIP_2) | instid1(VALU_DEP_3)
	v_not_b32_e32 v21, v20
	v_lshl_add_u32 v22, v20, 2, v17
	v_add_nc_u32_e32 v23, 1, v20
	v_lshl_add_u32 v21, v21, 2, v18
	ds_load_b32 v22, v22
	ds_load_b32 v21, v21
	s_waitcnt lgkmcnt(0)
	v_cmp_lt_i32_e64 s7, v21, v22
	s_delay_alu instid0(VALU_DEP_1) | instskip(SKIP_1) | instid1(VALU_DEP_1)
	v_cndmask_b32_e64 v19, v19, v20, s7
	v_cndmask_b32_e64 v14, v23, v14, s7
	v_cmp_ge_i32_e64 s7, v14, v19
	s_delay_alu instid0(VALU_DEP_1) | instskip(NEXT) | instid1(SALU_CYCLE_1)
	s_or_b32 s9, s7, s9
	s_and_not1_b32 exec_lo, exec_lo, s9
	s_cbranch_execnz .LBB23_118
; %bb.119:
	s_or_b32 exec_lo, exec_lo, s9
.LBB23_120:
	s_delay_alu instid0(SALU_CYCLE_1) | instskip(SKIP_2) | instid1(VALU_DEP_2)
	s_or_b32 exec_lo, exec_lo, s8
	v_add_nc_u32_e32 v13, v15, v13
	v_lshl_add_u32 v22, v14, 2, v17
                                        ; implicit-def: $vgpr19
                                        ; implicit-def: $vgpr20
	v_sub_nc_u32_e32 v13, v13, v14
	v_add_nc_u32_e32 v14, v14, v27
	s_delay_alu instid0(VALU_DEP_2) | instskip(NEXT) | instid1(VALU_DEP_2)
	v_lshl_add_u32 v21, v13, 2, v1
	v_cmp_le_i32_e64 s7, v15, v14
	v_cmp_gt_i32_e64 s9, v16, v13
	ds_load_b32 v17, v22
	ds_load_b32 v18, v21
	s_waitcnt lgkmcnt(0)
	v_cmp_lt_i32_e64 s8, v18, v17
	s_delay_alu instid0(VALU_DEP_1) | instskip(NEXT) | instid1(SALU_CYCLE_1)
	s_or_b32 s7, s7, s8
	s_and_b32 s7, s9, s7
	s_delay_alu instid0(SALU_CYCLE_1) | instskip(NEXT) | instid1(SALU_CYCLE_1)
	s_xor_b32 s8, s7, -1
	s_and_saveexec_b32 s9, s8
	s_delay_alu instid0(SALU_CYCLE_1)
	s_xor_b32 s8, exec_lo, s9
	s_cbranch_execz .LBB23_122
; %bb.121:
	ds_load_b32 v20, v22 offset:4
	v_mov_b32_e32 v19, v18
                                        ; implicit-def: $vgpr21
.LBB23_122:
	s_and_not1_saveexec_b32 s8, s8
	s_cbranch_execz .LBB23_124
; %bb.123:
	ds_load_b32 v19, v21 offset:4
	s_waitcnt lgkmcnt(1)
	v_mov_b32_e32 v20, v17
.LBB23_124:
	s_or_b32 exec_lo, exec_lo, s8
	v_add_nc_u32_e32 v21, 1, v14
	v_add_nc_u32_e32 v22, 1, v13
	s_waitcnt lgkmcnt(0)
	v_cmp_lt_i32_e64 s9, v19, v20
	s_delay_alu instid0(VALU_DEP_3) | instskip(NEXT) | instid1(VALU_DEP_3)
	v_cndmask_b32_e64 v23, v21, v14, s7
	v_cndmask_b32_e64 v24, v13, v22, s7
                                        ; implicit-def: $vgpr21
	s_delay_alu instid0(VALU_DEP_2) | instskip(NEXT) | instid1(VALU_DEP_2)
	v_cmp_ge_i32_e64 s8, v23, v15
	v_cmp_lt_i32_e64 s10, v24, v16
	s_delay_alu instid0(VALU_DEP_2)
	s_or_b32 s8, s8, s9
	s_delay_alu instid0(VALU_DEP_1) | instid1(SALU_CYCLE_1)
	s_and_b32 s8, s10, s8
	s_delay_alu instid0(SALU_CYCLE_1) | instskip(NEXT) | instid1(SALU_CYCLE_1)
	s_xor_b32 s9, s8, -1
	s_and_saveexec_b32 s10, s9
	s_delay_alu instid0(SALU_CYCLE_1)
	s_xor_b32 s9, exec_lo, s10
	s_cbranch_execz .LBB23_126
; %bb.125:
	v_lshl_add_u32 v21, v23, 2, v1
	ds_load_b32 v21, v21 offset:4
.LBB23_126:
	s_or_saveexec_b32 s9, s9
	v_mov_b32_e32 v22, v19
	s_xor_b32 exec_lo, exec_lo, s9
	s_cbranch_execz .LBB23_128
; %bb.127:
	s_waitcnt lgkmcnt(0)
	v_lshl_add_u32 v21, v24, 2, v1
	ds_load_b32 v22, v21 offset:4
	v_mov_b32_e32 v21, v20
.LBB23_128:
	s_or_b32 exec_lo, exec_lo, s9
	v_add_nc_u32_e32 v25, 1, v23
	v_add_nc_u32_e32 v26, 1, v24
	s_waitcnt lgkmcnt(0)
	v_cmp_lt_i32_e64 s10, v22, v21
	s_delay_alu instid0(VALU_DEP_3) | instskip(NEXT) | instid1(VALU_DEP_3)
	v_cndmask_b32_e64 v27, v25, v23, s8
	v_cndmask_b32_e64 v28, v24, v26, s8
                                        ; implicit-def: $vgpr25
	s_delay_alu instid0(VALU_DEP_2) | instskip(NEXT) | instid1(VALU_DEP_2)
	v_cmp_ge_i32_e64 s9, v27, v15
	v_cmp_lt_i32_e64 s11, v28, v16
	s_delay_alu instid0(VALU_DEP_2)
	s_or_b32 s9, s9, s10
	s_delay_alu instid0(VALU_DEP_1) | instid1(SALU_CYCLE_1)
	s_and_b32 s9, s11, s9
	s_delay_alu instid0(SALU_CYCLE_1) | instskip(NEXT) | instid1(SALU_CYCLE_1)
	s_xor_b32 s10, s9, -1
	s_and_saveexec_b32 s11, s10
	s_delay_alu instid0(SALU_CYCLE_1)
	s_xor_b32 s10, exec_lo, s11
	s_cbranch_execz .LBB23_130
; %bb.129:
	v_lshl_add_u32 v25, v27, 2, v1
	ds_load_b32 v25, v25 offset:4
.LBB23_130:
	s_or_saveexec_b32 s10, s10
	v_mov_b32_e32 v26, v22
	s_xor_b32 exec_lo, exec_lo, s10
	s_cbranch_execz .LBB23_132
; %bb.131:
	s_waitcnt lgkmcnt(0)
	v_lshl_add_u32 v25, v28, 2, v1
	ds_load_b32 v26, v25 offset:4
	v_mov_b32_e32 v25, v21
.LBB23_132:
	s_or_b32 exec_lo, exec_lo, s10
	v_add_nc_u32_e32 v29, 1, v27
	v_add_nc_u32_e32 v30, 1, v28
	s_waitcnt lgkmcnt(0)
	v_cmp_lt_i32_e64 s11, v26, v25
	s_delay_alu instid0(VALU_DEP_3) | instskip(NEXT) | instid1(VALU_DEP_3)
	v_cndmask_b32_e64 v31, v29, v27, s9
	v_cndmask_b32_e64 v32, v28, v30, s9
                                        ; implicit-def: $vgpr29
	s_delay_alu instid0(VALU_DEP_2) | instskip(NEXT) | instid1(VALU_DEP_2)
	v_cmp_ge_i32_e64 s10, v31, v15
	v_cmp_lt_i32_e64 s12, v32, v16
	s_delay_alu instid0(VALU_DEP_2)
	s_or_b32 s10, s10, s11
	s_delay_alu instid0(VALU_DEP_1) | instid1(SALU_CYCLE_1)
	s_and_b32 s10, s12, s10
	s_delay_alu instid0(SALU_CYCLE_1) | instskip(NEXT) | instid1(SALU_CYCLE_1)
	s_xor_b32 s11, s10, -1
	s_and_saveexec_b32 s12, s11
	s_delay_alu instid0(SALU_CYCLE_1)
	s_xor_b32 s11, exec_lo, s12
	s_cbranch_execz .LBB23_134
; %bb.133:
	v_lshl_add_u32 v29, v31, 2, v1
	ds_load_b32 v29, v29 offset:4
.LBB23_134:
	s_or_saveexec_b32 s11, s11
	v_mov_b32_e32 v30, v26
	s_xor_b32 exec_lo, exec_lo, s11
	s_cbranch_execz .LBB23_136
; %bb.135:
	s_waitcnt lgkmcnt(0)
	v_lshl_add_u32 v29, v32, 2, v1
	ds_load_b32 v30, v29 offset:4
	v_mov_b32_e32 v29, v25
.LBB23_136:
	s_or_b32 exec_lo, exec_lo, s11
	v_add_nc_u32_e32 v33, 1, v31
	v_add_nc_u32_e32 v34, 1, v32
	s_waitcnt lgkmcnt(0)
	v_cmp_lt_i32_e64 s12, v30, v29
	s_delay_alu instid0(VALU_DEP_3) | instskip(NEXT) | instid1(VALU_DEP_3)
	v_cndmask_b32_e64 v35, v33, v31, s10
	v_cndmask_b32_e64 v36, v32, v34, s10
                                        ; implicit-def: $vgpr33
	s_delay_alu instid0(VALU_DEP_2) | instskip(NEXT) | instid1(VALU_DEP_2)
	v_cmp_ge_i32_e64 s11, v35, v15
	v_cmp_lt_i32_e64 s13, v36, v16
	s_delay_alu instid0(VALU_DEP_2)
	s_or_b32 s11, s11, s12
	s_delay_alu instid0(VALU_DEP_1) | instid1(SALU_CYCLE_1)
	s_and_b32 s11, s13, s11
	s_delay_alu instid0(SALU_CYCLE_1) | instskip(NEXT) | instid1(SALU_CYCLE_1)
	s_xor_b32 s12, s11, -1
	s_and_saveexec_b32 s13, s12
	s_delay_alu instid0(SALU_CYCLE_1)
	s_xor_b32 s12, exec_lo, s13
	s_cbranch_execz .LBB23_138
; %bb.137:
	v_lshl_add_u32 v33, v35, 2, v1
	ds_load_b32 v33, v33 offset:4
.LBB23_138:
	s_or_saveexec_b32 s12, s12
	v_mov_b32_e32 v34, v30
	s_xor_b32 exec_lo, exec_lo, s12
	s_cbranch_execz .LBB23_140
; %bb.139:
	s_waitcnt lgkmcnt(0)
	v_lshl_add_u32 v33, v36, 2, v1
	ds_load_b32 v34, v33 offset:4
	v_mov_b32_e32 v33, v29
.LBB23_140:
	s_or_b32 exec_lo, exec_lo, s12
	v_add_nc_u32_e32 v37, 1, v35
	v_add_nc_u32_e32 v38, 1, v36
	s_waitcnt lgkmcnt(0)
	v_cmp_lt_i32_e64 s13, v34, v33
	s_delay_alu instid0(VALU_DEP_3) | instskip(NEXT) | instid1(VALU_DEP_3)
	v_cndmask_b32_e64 v39, v37, v35, s11
	v_cndmask_b32_e64 v40, v36, v38, s11
                                        ; implicit-def: $vgpr37
	s_delay_alu instid0(VALU_DEP_2) | instskip(NEXT) | instid1(VALU_DEP_2)
	v_cmp_ge_i32_e64 s12, v39, v15
	v_cmp_lt_i32_e64 s14, v40, v16
	s_delay_alu instid0(VALU_DEP_2)
	s_or_b32 s12, s12, s13
	s_delay_alu instid0(VALU_DEP_1) | instid1(SALU_CYCLE_1)
	s_and_b32 s12, s14, s12
	s_delay_alu instid0(SALU_CYCLE_1) | instskip(NEXT) | instid1(SALU_CYCLE_1)
	s_xor_b32 s13, s12, -1
	s_and_saveexec_b32 s14, s13
	s_delay_alu instid0(SALU_CYCLE_1)
	s_xor_b32 s13, exec_lo, s14
	s_cbranch_execz .LBB23_142
; %bb.141:
	v_lshl_add_u32 v37, v39, 2, v1
	ds_load_b32 v37, v37 offset:4
.LBB23_142:
	s_or_saveexec_b32 s13, s13
	v_mov_b32_e32 v38, v34
	s_xor_b32 exec_lo, exec_lo, s13
	s_cbranch_execz .LBB23_144
; %bb.143:
	s_waitcnt lgkmcnt(0)
	v_lshl_add_u32 v37, v40, 2, v1
	ds_load_b32 v38, v37 offset:4
	v_mov_b32_e32 v37, v33
.LBB23_144:
	s_or_b32 exec_lo, exec_lo, s13
	v_add_nc_u32_e32 v41, 1, v39
	v_add_nc_u32_e32 v42, 1, v40
	s_waitcnt lgkmcnt(0)
	v_cmp_lt_i32_e64 s14, v38, v37
                                        ; implicit-def: $vgpr44
                                        ; implicit-def: $vgpr43
	s_delay_alu instid0(VALU_DEP_3) | instskip(NEXT) | instid1(VALU_DEP_3)
	v_cndmask_b32_e64 v45, v41, v39, s12
	v_cndmask_b32_e64 v41, v40, v42, s12
	s_delay_alu instid0(VALU_DEP_2) | instskip(NEXT) | instid1(VALU_DEP_2)
	v_cmp_ge_i32_e64 s13, v45, v15
	v_cmp_lt_i32_e64 s15, v41, v16
	s_delay_alu instid0(VALU_DEP_2)
	s_or_b32 s13, s13, s14
	s_delay_alu instid0(VALU_DEP_1) | instid1(SALU_CYCLE_1)
	s_and_b32 s13, s15, s13
	s_delay_alu instid0(SALU_CYCLE_1) | instskip(NEXT) | instid1(SALU_CYCLE_1)
	s_xor_b32 s14, s13, -1
	s_and_saveexec_b32 s15, s14
	s_delay_alu instid0(SALU_CYCLE_1)
	s_xor_b32 s14, exec_lo, s15
	s_cbranch_execz .LBB23_146
; %bb.145:
	v_lshl_add_u32 v42, v45, 2, v1
	v_add_nc_u32_e32 v43, 1, v45
	ds_load_b32 v44, v42 offset:4
.LBB23_146:
	s_or_saveexec_b32 s14, s14
	v_mov_b32_e32 v42, v45
	v_mov_b32_e32 v46, v38
	s_xor_b32 exec_lo, exec_lo, s14
	s_cbranch_execz .LBB23_148
; %bb.147:
	v_lshl_add_u32 v42, v41, 2, v1
	s_waitcnt lgkmcnt(0)
	v_dual_mov_b32 v43, v45 :: v_dual_add_nc_u32 v44, 1, v41
	ds_load_b32 v46, v42 offset:4
	v_dual_mov_b32 v42, v41 :: v_dual_mov_b32 v41, v44
	v_mov_b32_e32 v44, v37
.LBB23_148:
	s_or_b32 exec_lo, exec_lo, s14
	v_cmp_ge_i32_e64 s14, v43, v15
	s_waitcnt lgkmcnt(0)
	s_delay_alu instid0(VALU_DEP_2)
	v_cmp_lt_i32_e64 s15, v46, v44
	v_cmp_lt_i32_e64 s16, v41, v16
	v_cndmask_b32_e64 v23, v23, v24, s8
	v_cndmask_b32_e64 v27, v27, v28, s9
	;; [unrolled: 1-line block ×3, first 2 shown]
	s_or_b32 s14, s14, s15
	v_cndmask_b32_e64 v35, v35, v36, s11
	s_and_b32 s14, s16, s14
	v_cndmask_b32_e64 v39, v39, v40, s12
	v_cndmask_b32_e64 v24, v43, v41, s14
	; wave barrier
	ds_store_2addr_b32 v2, v0, v3 offset1:1
	ds_store_2addr_b32 v2, v4, v5 offset0:2 offset1:3
	ds_store_2addr_b32 v2, v6, v7 offset0:4 offset1:5
	;; [unrolled: 1-line block ×3, first 2 shown]
	v_lshl_add_u32 v0, v23, 2, v1
	v_lshl_add_u32 v2, v27, 2, v1
	;; [unrolled: 1-line block ×5, first 2 shown]
	; wave barrier
	v_lshl_add_u32 v6, v42, 2, v1
	v_lshl_add_u32 v7, v24, 2, v1
	ds_load_b32 v24, v0
	ds_load_b32 v23, v2
	;; [unrolled: 1-line block ×7, first 2 shown]
	v_cndmask_b32_e64 v15, v44, v46, s14
	v_cndmask_b32_e64 v5, v17, v18, s7
	;; [unrolled: 1-line block ×8, first 2 shown]
	s_and_saveexec_b32 s8, vcc_lo
	s_cbranch_execz .LBB23_150
; %bb.149:
	v_cndmask_b32_e64 v13, v14, v13, s7
	s_delay_alu instid0(VALU_DEP_1)
	v_lshl_add_u32 v1, v13, 2, v1
	ds_load_b32 v1, v1
	s_waitcnt lgkmcnt(0)
	v_add_nc_u32_e32 v5, v1, v5
.LBB23_150:
	s_or_b32 exec_lo, exec_lo, s8
	s_waitcnt lgkmcnt(6)
	v_add_nc_u32_e32 v1, v18, v24
	s_waitcnt lgkmcnt(5)
	v_add_nc_u32_e32 v14, v6, v23
	;; [unrolled: 2-line block ×4, first 2 shown]
	v_add_nc_u32_e32 v19, v7, v10
	v_cndmask_b32_e64 v13, v18, v1, s0
	s_waitcnt lgkmcnt(1)
	v_add_nc_u32_e32 v1, v17, v2
	v_cndmask_b32_e64 v10, v6, v14, s1
	v_cndmask_b32_e64 v6, v11, v4, s3
	;; [unrolled: 1-line block ×3, first 2 shown]
	s_waitcnt lgkmcnt(0)
	v_add_nc_u32_e32 v0, v15, v0
	v_cndmask_b32_e64 v3, v17, v1, s5
	v_add_co_u32 v1, s7, s18, v8
	s_delay_alu instid0(VALU_DEP_1) | instskip(NEXT) | instid1(VALU_DEP_4)
	v_add_co_ci_u32_e64 v8, s7, s19, v9, s7
	v_cndmask_b32_e64 v2, v15, v0, s6
	s_delay_alu instid0(VALU_DEP_3) | instskip(SKIP_1) | instid1(VALU_DEP_4)
	v_add_co_u32 v0, s7, v1, v12
	v_cndmask_b32_e64 v7, v7, v19, s2
	v_add_co_ci_u32_e64 v1, s7, 0, v8, s7
	s_and_saveexec_b32 s7, vcc_lo
	s_delay_alu instid0(SALU_CYCLE_1)
	s_xor_b32 s7, exec_lo, s7
	s_cbranch_execnz .LBB23_159
; %bb.151:
	s_or_b32 exec_lo, exec_lo, s7
	s_and_saveexec_b32 s7, s0
	s_cbranch_execnz .LBB23_160
.LBB23_152:
	s_or_b32 exec_lo, exec_lo, s7
	s_and_saveexec_b32 s0, s1
	s_cbranch_execnz .LBB23_161
.LBB23_153:
	s_or_b32 exec_lo, exec_lo, s0
	s_and_saveexec_b32 s0, s2
	s_cbranch_execnz .LBB23_162
.LBB23_154:
	s_or_b32 exec_lo, exec_lo, s0
	s_and_saveexec_b32 s0, s3
	s_cbranch_execnz .LBB23_163
.LBB23_155:
	s_or_b32 exec_lo, exec_lo, s0
	s_and_saveexec_b32 s0, s4
	s_cbranch_execnz .LBB23_164
.LBB23_156:
	s_or_b32 exec_lo, exec_lo, s0
	s_and_saveexec_b32 s0, s5
	s_cbranch_execnz .LBB23_165
.LBB23_157:
	s_or_b32 exec_lo, exec_lo, s0
	s_and_saveexec_b32 s0, s6
	s_cbranch_execnz .LBB23_166
.LBB23_158:
	s_nop 0
	s_sendmsg sendmsg(MSG_DEALLOC_VGPRS)
	s_endpgm
.LBB23_159:
	global_store_b32 v[0:1], v5, off
	s_or_b32 exec_lo, exec_lo, s7
	s_and_saveexec_b32 s7, s0
	s_cbranch_execz .LBB23_152
.LBB23_160:
	global_store_b32 v[0:1], v13, off offset:4
	s_or_b32 exec_lo, exec_lo, s7
	s_and_saveexec_b32 s0, s1
	s_cbranch_execz .LBB23_153
.LBB23_161:
	global_store_b32 v[0:1], v10, off offset:8
	s_or_b32 exec_lo, exec_lo, s0
	s_and_saveexec_b32 s0, s2
	s_cbranch_execz .LBB23_154
.LBB23_162:
	global_store_b32 v[0:1], v7, off offset:12
	s_or_b32 exec_lo, exec_lo, s0
	s_and_saveexec_b32 s0, s3
	s_cbranch_execz .LBB23_155
.LBB23_163:
	global_store_b32 v[0:1], v6, off offset:16
	s_or_b32 exec_lo, exec_lo, s0
	s_and_saveexec_b32 s0, s4
	s_cbranch_execz .LBB23_156
.LBB23_164:
	global_store_b32 v[0:1], v4, off offset:20
	s_or_b32 exec_lo, exec_lo, s0
	s_and_saveexec_b32 s0, s5
	s_cbranch_execz .LBB23_157
.LBB23_165:
	global_store_b32 v[0:1], v3, off offset:24
	s_or_b32 exec_lo, exec_lo, s0
	s_and_saveexec_b32 s0, s6
	s_cbranch_execz .LBB23_158
.LBB23_166:
	global_store_b32 v[0:1], v2, off offset:28
	s_nop 0
	s_sendmsg sendmsg(MSG_DEALLOC_VGPRS)
	s_endpgm
	.section	.rodata,"a",@progbits
	.p2align	6, 0x0
	.amdhsa_kernel _Z20sort_pairs_segmentedILj256ELj16ELj8EiN10test_utils4lessEEvPKT2_PS2_PKjT3_
		.amdhsa_group_segment_fixed_size 8256
		.amdhsa_private_segment_fixed_size 0
		.amdhsa_kernarg_size 28
		.amdhsa_user_sgpr_count 15
		.amdhsa_user_sgpr_dispatch_ptr 0
		.amdhsa_user_sgpr_queue_ptr 0
		.amdhsa_user_sgpr_kernarg_segment_ptr 1
		.amdhsa_user_sgpr_dispatch_id 0
		.amdhsa_user_sgpr_private_segment_size 0
		.amdhsa_wavefront_size32 1
		.amdhsa_uses_dynamic_stack 0
		.amdhsa_enable_private_segment 0
		.amdhsa_system_sgpr_workgroup_id_x 1
		.amdhsa_system_sgpr_workgroup_id_y 0
		.amdhsa_system_sgpr_workgroup_id_z 0
		.amdhsa_system_sgpr_workgroup_info 0
		.amdhsa_system_vgpr_workitem_id 0
		.amdhsa_next_free_vgpr 50
		.amdhsa_next_free_sgpr 20
		.amdhsa_reserve_vcc 1
		.amdhsa_float_round_mode_32 0
		.amdhsa_float_round_mode_16_64 0
		.amdhsa_float_denorm_mode_32 3
		.amdhsa_float_denorm_mode_16_64 3
		.amdhsa_dx10_clamp 1
		.amdhsa_ieee_mode 1
		.amdhsa_fp16_overflow 0
		.amdhsa_workgroup_processor_mode 1
		.amdhsa_memory_ordered 1
		.amdhsa_forward_progress 0
		.amdhsa_shared_vgpr_count 0
		.amdhsa_exception_fp_ieee_invalid_op 0
		.amdhsa_exception_fp_denorm_src 0
		.amdhsa_exception_fp_ieee_div_zero 0
		.amdhsa_exception_fp_ieee_overflow 0
		.amdhsa_exception_fp_ieee_underflow 0
		.amdhsa_exception_fp_ieee_inexact 0
		.amdhsa_exception_int_div_zero 0
	.end_amdhsa_kernel
	.section	.text._Z20sort_pairs_segmentedILj256ELj16ELj8EiN10test_utils4lessEEvPKT2_PS2_PKjT3_,"axG",@progbits,_Z20sort_pairs_segmentedILj256ELj16ELj8EiN10test_utils4lessEEvPKT2_PS2_PKjT3_,comdat
.Lfunc_end23:
	.size	_Z20sort_pairs_segmentedILj256ELj16ELj8EiN10test_utils4lessEEvPKT2_PS2_PKjT3_, .Lfunc_end23-_Z20sort_pairs_segmentedILj256ELj16ELj8EiN10test_utils4lessEEvPKT2_PS2_PKjT3_
                                        ; -- End function
	.section	.AMDGPU.csdata,"",@progbits
; Kernel info:
; codeLenInByte = 9276
; NumSgprs: 22
; NumVgprs: 50
; ScratchSize: 0
; MemoryBound: 0
; FloatMode: 240
; IeeeMode: 1
; LDSByteSize: 8256 bytes/workgroup (compile time only)
; SGPRBlocks: 2
; VGPRBlocks: 6
; NumSGPRsForWavesPerEU: 22
; NumVGPRsForWavesPerEU: 50
; Occupancy: 16
; WaveLimiterHint : 0
; COMPUTE_PGM_RSRC2:SCRATCH_EN: 0
; COMPUTE_PGM_RSRC2:USER_SGPR: 15
; COMPUTE_PGM_RSRC2:TRAP_HANDLER: 0
; COMPUTE_PGM_RSRC2:TGID_X_EN: 1
; COMPUTE_PGM_RSRC2:TGID_Y_EN: 0
; COMPUTE_PGM_RSRC2:TGID_Z_EN: 0
; COMPUTE_PGM_RSRC2:TIDIG_COMP_CNT: 0
	.section	.text._Z9sort_keysILj256ELj32ELj1EiN10test_utils4lessEEvPKT2_PS2_T3_,"axG",@progbits,_Z9sort_keysILj256ELj32ELj1EiN10test_utils4lessEEvPKT2_PS2_T3_,comdat
	.protected	_Z9sort_keysILj256ELj32ELj1EiN10test_utils4lessEEvPKT2_PS2_T3_ ; -- Begin function _Z9sort_keysILj256ELj32ELj1EiN10test_utils4lessEEvPKT2_PS2_T3_
	.globl	_Z9sort_keysILj256ELj32ELj1EiN10test_utils4lessEEvPKT2_PS2_T3_
	.p2align	8
	.type	_Z9sort_keysILj256ELj32ELj1EiN10test_utils4lessEEvPKT2_PS2_T3_,@function
_Z9sort_keysILj256ELj32ELj1EiN10test_utils4lessEEvPKT2_PS2_T3_: ; @_Z9sort_keysILj256ELj32ELj1EiN10test_utils4lessEEvPKT2_PS2_T3_
; %bb.0:
	s_load_b128 s[4:7], s[0:1], 0x0
	s_mov_b32 s1, 0
	s_lshl_b32 s0, s15, 8
	v_lshlrev_b32_e32 v1, 2, v0
	s_lshl_b64 s[8:9], s[0:1], 2
	v_mbcnt_lo_u32_b32 v2, -1, 0
	v_lshrrev_b32_e32 v7, 5, v0
	s_mov_b32 s0, exec_lo
	s_delay_alu instid0(VALU_DEP_2) | instskip(SKIP_2) | instid1(VALU_DEP_3)
	v_and_b32_e32 v8, 30, v2
	v_and_b32_e32 v5, 1, v2
	v_lshlrev_b32_e32 v3, 2, v2
	v_or_b32_e32 v6, 1, v8
	s_delay_alu instid0(VALU_DEP_3) | instskip(SKIP_2) | instid1(VALU_DEP_4)
	v_add_nc_u32_e32 v0, -1, v5
	v_lshlrev_b32_e32 v12, 2, v8
	v_cmp_lt_i32_e32 vcc_lo, 0, v5
	v_sub_nc_u32_e32 v4, v6, v8
	s_waitcnt lgkmcnt(0)
	s_add_u32 s2, s4, s8
	s_addc_u32 s3, s5, s9
	v_cndmask_b32_e32 v10, 0, v0, vcc_lo
	global_load_b32 v11, v1, s[2:3]
	v_min_i32_e32 v9, v5, v4
	v_mul_u32_u24_e32 v0, 0x84, v7
	v_mad_u32_u24 v4, 0x84, v7, v3
	v_mad_u32_u24 v7, 0x84, v7, v12
	; wave barrier
	s_waitcnt vmcnt(0)
	ds_store_b32 v4, v11
	; wave barrier
	v_cmpx_lt_i32_e64 v10, v9
	s_cbranch_execz .LBB24_4
; %bb.1:
	v_lshlrev_b32_e32 v11, 2, v6
	v_lshlrev_b32_e32 v12, 2, v5
	s_delay_alu instid0(VALU_DEP_1)
	v_add3_u32 v11, v0, v11, v12
	.p2align	6
.LBB24_2:                               ; =>This Inner Loop Header: Depth=1
	v_sub_nc_u32_e32 v12, v9, v10
	s_delay_alu instid0(VALU_DEP_1) | instskip(NEXT) | instid1(VALU_DEP_1)
	v_lshrrev_b32_e32 v13, 31, v12
	v_add_nc_u32_e32 v12, v12, v13
	s_delay_alu instid0(VALU_DEP_1) | instskip(NEXT) | instid1(VALU_DEP_1)
	v_ashrrev_i32_e32 v12, 1, v12
	v_add_nc_u32_e32 v12, v12, v10
	s_delay_alu instid0(VALU_DEP_1) | instskip(SKIP_2) | instid1(VALU_DEP_3)
	v_not_b32_e32 v13, v12
	v_lshl_add_u32 v14, v12, 2, v7
	v_add_nc_u32_e32 v15, 1, v12
	v_lshl_add_u32 v13, v13, 2, v11
	ds_load_b32 v14, v14
	ds_load_b32 v13, v13
	s_waitcnt lgkmcnt(0)
	v_cmp_lt_i32_e32 vcc_lo, v13, v14
	v_dual_cndmask_b32 v9, v9, v12 :: v_dual_cndmask_b32 v10, v15, v10
	s_delay_alu instid0(VALU_DEP_1) | instskip(SKIP_1) | instid1(SALU_CYCLE_1)
	v_cmp_ge_i32_e32 vcc_lo, v10, v9
	s_or_b32 s1, vcc_lo, s1
	s_and_not1_b32 exec_lo, exec_lo, s1
	s_cbranch_execnz .LBB24_2
; %bb.3:
	s_or_b32 exec_lo, exec_lo, s1
.LBB24_4:
	s_delay_alu instid0(SALU_CYCLE_1) | instskip(SKIP_2) | instid1(VALU_DEP_1)
	s_or_b32 exec_lo, exec_lo, s0
	v_add_nc_u32_e32 v5, v6, v5
	s_mov_b32 s2, 0
	v_sub_nc_u32_e32 v11, v5, v10
	v_lshl_add_u32 v5, v10, 2, v7
	v_add_nc_u32_e32 v10, v10, v8
	v_and_b32_e32 v8, 3, v2
	s_delay_alu instid0(VALU_DEP_4) | instskip(SKIP_1) | instid1(VALU_DEP_4)
	v_lshl_add_u32 v7, v11, 2, v0
	v_cmp_ge_i32_e64 s1, v6, v11
	v_cmp_le_i32_e32 vcc_lo, v6, v10
	ds_load_b32 v12, v5
	ds_load_b32 v13, v7
	v_and_b32_e32 v9, 28, v2
	; wave barrier
	s_delay_alu instid0(VALU_DEP_1) | instskip(SKIP_1) | instid1(VALU_DEP_1)
	v_or_b32_e32 v7, 2, v9
	v_add_nc_u32_e32 v5, 4, v9
	v_sub_nc_u32_e32 v14, v5, v7
	s_delay_alu instid0(VALU_DEP_1) | instskip(SKIP_2) | instid1(VALU_DEP_1)
	v_sub_nc_u32_e32 v15, v8, v14
	s_waitcnt lgkmcnt(0)
	v_cmp_lt_i32_e64 s0, v13, v12
	s_or_b32 s0, vcc_lo, s0
	v_cmp_ge_i32_e32 vcc_lo, v8, v14
	v_cndmask_b32_e32 v11, 0, v15, vcc_lo
	s_and_b32 vcc_lo, s1, s0
	s_mov_b32 s0, exec_lo
	v_cndmask_b32_e32 v12, v12, v13, vcc_lo
	v_sub_nc_u32_e32 v10, v7, v9
	v_lshl_add_u32 v6, v9, 2, v0
	ds_store_b32 v4, v12
	v_min_i32_e32 v10, v8, v10
	; wave barrier
	s_delay_alu instid0(VALU_DEP_1)
	v_cmpx_lt_i32_e64 v11, v10
	s_cbranch_execz .LBB24_8
; %bb.5:
	v_lshlrev_b32_e32 v12, 2, v7
	v_lshlrev_b32_e32 v13, 2, v8
	s_delay_alu instid0(VALU_DEP_1)
	v_add3_u32 v12, v0, v12, v13
	.p2align	6
.LBB24_6:                               ; =>This Inner Loop Header: Depth=1
	v_sub_nc_u32_e32 v13, v10, v11
	s_delay_alu instid0(VALU_DEP_1) | instskip(NEXT) | instid1(VALU_DEP_1)
	v_lshrrev_b32_e32 v14, 31, v13
	v_add_nc_u32_e32 v13, v13, v14
	s_delay_alu instid0(VALU_DEP_1) | instskip(NEXT) | instid1(VALU_DEP_1)
	v_ashrrev_i32_e32 v13, 1, v13
	v_add_nc_u32_e32 v13, v13, v11
	s_delay_alu instid0(VALU_DEP_1) | instskip(SKIP_2) | instid1(VALU_DEP_3)
	v_not_b32_e32 v14, v13
	v_lshl_add_u32 v15, v13, 2, v6
	v_add_nc_u32_e32 v16, 1, v13
	v_lshl_add_u32 v14, v14, 2, v12
	ds_load_b32 v15, v15
	ds_load_b32 v14, v14
	s_waitcnt lgkmcnt(0)
	v_cmp_lt_i32_e32 vcc_lo, v14, v15
	v_dual_cndmask_b32 v10, v10, v13 :: v_dual_cndmask_b32 v11, v16, v11
	s_delay_alu instid0(VALU_DEP_1) | instskip(SKIP_1) | instid1(SALU_CYCLE_1)
	v_cmp_ge_i32_e32 vcc_lo, v11, v10
	s_or_b32 s2, vcc_lo, s2
	s_and_not1_b32 exec_lo, exec_lo, s2
	s_cbranch_execnz .LBB24_6
; %bb.7:
	s_or_b32 exec_lo, exec_lo, s2
.LBB24_8:
	s_delay_alu instid0(SALU_CYCLE_1) | instskip(SKIP_4) | instid1(VALU_DEP_3)
	s_or_b32 exec_lo, exec_lo, s0
	v_add_nc_u32_e32 v8, v7, v8
	v_lshl_add_u32 v6, v11, 2, v6
	v_and_b32_e32 v10, 24, v2
	s_mov_b32 s2, 0
	v_sub_nc_u32_e32 v12, v8, v11
	s_delay_alu instid0(VALU_DEP_1)
	v_lshl_add_u32 v8, v12, 2, v0
	v_cmp_gt_i32_e64 s1, v5, v12
	v_lshl_add_u32 v5, v10, 2, v0
	ds_load_b32 v13, v6
	ds_load_b32 v14, v8
	v_or_b32_e32 v8, 4, v10
	v_add_nc_u32_e32 v6, 8, v10
	v_add_nc_u32_e32 v11, v11, v9
	v_and_b32_e32 v9, 7, v2
	; wave barrier
	s_delay_alu instid0(VALU_DEP_3) | instskip(NEXT) | instid1(VALU_DEP_3)
	v_sub_nc_u32_e32 v15, v6, v8
	v_cmp_le_i32_e32 vcc_lo, v7, v11
	v_sub_nc_u32_e32 v7, v8, v10
	s_delay_alu instid0(VALU_DEP_3) | instskip(NEXT) | instid1(VALU_DEP_2)
	v_sub_nc_u32_e32 v11, v9, v15
	v_min_i32_e32 v7, v9, v7
	s_waitcnt lgkmcnt(0)
	v_cmp_lt_i32_e64 s0, v14, v13
	s_delay_alu instid0(VALU_DEP_1)
	s_or_b32 s0, vcc_lo, s0
	v_cmp_ge_i32_e32 vcc_lo, v9, v15
	v_cndmask_b32_e32 v11, 0, v11, vcc_lo
	s_and_b32 vcc_lo, s1, s0
	s_mov_b32 s0, exec_lo
	v_cndmask_b32_e32 v12, v13, v14, vcc_lo
	ds_store_b32 v4, v12
	; wave barrier
	v_cmpx_lt_i32_e64 v11, v7
	s_cbranch_execz .LBB24_12
; %bb.9:
	v_lshlrev_b32_e32 v12, 2, v8
	v_lshlrev_b32_e32 v13, 2, v9
	s_delay_alu instid0(VALU_DEP_1)
	v_add3_u32 v12, v0, v12, v13
	.p2align	6
.LBB24_10:                              ; =>This Inner Loop Header: Depth=1
	v_sub_nc_u32_e32 v13, v7, v11
	s_delay_alu instid0(VALU_DEP_1) | instskip(NEXT) | instid1(VALU_DEP_1)
	v_lshrrev_b32_e32 v14, 31, v13
	v_add_nc_u32_e32 v13, v13, v14
	s_delay_alu instid0(VALU_DEP_1) | instskip(NEXT) | instid1(VALU_DEP_1)
	v_ashrrev_i32_e32 v13, 1, v13
	v_add_nc_u32_e32 v13, v13, v11
	s_delay_alu instid0(VALU_DEP_1) | instskip(SKIP_2) | instid1(VALU_DEP_3)
	v_not_b32_e32 v14, v13
	v_lshl_add_u32 v15, v13, 2, v5
	v_add_nc_u32_e32 v16, 1, v13
	v_lshl_add_u32 v14, v14, 2, v12
	ds_load_b32 v15, v15
	ds_load_b32 v14, v14
	s_waitcnt lgkmcnt(0)
	v_cmp_lt_i32_e32 vcc_lo, v14, v15
	v_cndmask_b32_e32 v7, v7, v13, vcc_lo
	v_cndmask_b32_e32 v11, v16, v11, vcc_lo
	s_delay_alu instid0(VALU_DEP_1) | instskip(SKIP_1) | instid1(SALU_CYCLE_1)
	v_cmp_ge_i32_e32 vcc_lo, v11, v7
	s_or_b32 s2, vcc_lo, s2
	s_and_not1_b32 exec_lo, exec_lo, s2
	s_cbranch_execnz .LBB24_10
; %bb.11:
	s_or_b32 exec_lo, exec_lo, s2
.LBB24_12:
	s_delay_alu instid0(SALU_CYCLE_1) | instskip(SKIP_4) | instid1(VALU_DEP_3)
	s_or_b32 exec_lo, exec_lo, s0
	v_add_nc_u32_e32 v7, v8, v9
	v_lshl_add_u32 v5, v11, 2, v5
	v_and_b32_e32 v9, 16, v2
	s_mov_b32 s2, 0
	v_sub_nc_u32_e32 v12, v7, v11
	v_add_nc_u32_e32 v11, v11, v10
	v_and_b32_e32 v10, 15, v2
	s_delay_alu instid0(VALU_DEP_3) | instskip(NEXT) | instid1(VALU_DEP_3)
	v_lshl_add_u32 v7, v12, 2, v0
	v_cmp_le_i32_e32 vcc_lo, v8, v11
	v_cmp_gt_i32_e64 s1, v6, v12
	ds_load_b32 v13, v5
	ds_load_b32 v14, v7
	v_or_b32_e32 v7, 8, v9
	v_add_nc_u32_e32 v5, 16, v9
	; wave barrier
	s_delay_alu instid0(VALU_DEP_2) | instskip(NEXT) | instid1(VALU_DEP_2)
	v_sub_nc_u32_e32 v8, v7, v9
	v_sub_nc_u32_e32 v15, v5, v7
	s_delay_alu instid0(VALU_DEP_2) | instskip(NEXT) | instid1(VALU_DEP_2)
	v_min_i32_e32 v11, v10, v8
	v_sub_nc_u32_e32 v16, v10, v15
	v_lshl_add_u32 v8, v9, 2, v0
	s_waitcnt lgkmcnt(0)
	v_cmp_lt_i32_e64 s0, v14, v13
	s_delay_alu instid0(VALU_DEP_1)
	s_or_b32 s0, vcc_lo, s0
	v_cmp_ge_i32_e32 vcc_lo, v10, v15
	v_cndmask_b32_e32 v6, 0, v16, vcc_lo
	s_and_b32 vcc_lo, s1, s0
	s_mov_b32 s0, exec_lo
	v_cndmask_b32_e32 v12, v13, v14, vcc_lo
	ds_store_b32 v4, v12
	; wave barrier
	v_cmpx_lt_i32_e64 v6, v11
	s_cbranch_execz .LBB24_16
; %bb.13:
	v_lshlrev_b32_e32 v12, 2, v7
	v_lshlrev_b32_e32 v13, 2, v10
	s_delay_alu instid0(VALU_DEP_1)
	v_add3_u32 v12, v0, v12, v13
	.p2align	6
.LBB24_14:                              ; =>This Inner Loop Header: Depth=1
	v_sub_nc_u32_e32 v13, v11, v6
	s_delay_alu instid0(VALU_DEP_1) | instskip(NEXT) | instid1(VALU_DEP_1)
	v_lshrrev_b32_e32 v14, 31, v13
	v_add_nc_u32_e32 v13, v13, v14
	s_delay_alu instid0(VALU_DEP_1) | instskip(NEXT) | instid1(VALU_DEP_1)
	v_ashrrev_i32_e32 v13, 1, v13
	v_add_nc_u32_e32 v13, v13, v6
	s_delay_alu instid0(VALU_DEP_1) | instskip(SKIP_2) | instid1(VALU_DEP_3)
	v_not_b32_e32 v14, v13
	v_lshl_add_u32 v15, v13, 2, v8
	v_add_nc_u32_e32 v16, 1, v13
	v_lshl_add_u32 v14, v14, 2, v12
	ds_load_b32 v15, v15
	ds_load_b32 v14, v14
	s_waitcnt lgkmcnt(0)
	v_cmp_lt_i32_e32 vcc_lo, v14, v15
	v_dual_cndmask_b32 v11, v11, v13 :: v_dual_cndmask_b32 v6, v16, v6
	s_delay_alu instid0(VALU_DEP_1) | instskip(SKIP_1) | instid1(SALU_CYCLE_1)
	v_cmp_ge_i32_e32 vcc_lo, v6, v11
	s_or_b32 s2, vcc_lo, s2
	s_and_not1_b32 exec_lo, exec_lo, s2
	s_cbranch_execnz .LBB24_14
; %bb.15:
	s_or_b32 exec_lo, exec_lo, s2
.LBB24_16:
	s_delay_alu instid0(SALU_CYCLE_1) | instskip(SKIP_3) | instid1(VALU_DEP_3)
	s_or_b32 exec_lo, exec_lo, s0
	v_add_nc_u32_e32 v10, v7, v10
	v_lshl_add_u32 v8, v6, 2, v8
	v_cmp_lt_i32_e64 s2, 15, v2
	v_sub_nc_u32_e32 v10, v10, v6
	v_add_nc_u32_e32 v6, v6, v9
	v_add_nc_u32_e32 v9, -16, v2
	s_delay_alu instid0(VALU_DEP_3) | instskip(NEXT) | instid1(VALU_DEP_3)
	v_lshl_add_u32 v11, v10, 2, v0
	v_cmp_le_i32_e32 vcc_lo, v7, v6
	v_cmp_gt_i32_e64 s1, v5, v10
	v_min_i32_e32 v6, 16, v2
	ds_load_b32 v8, v8
	ds_load_b32 v11, v11
	v_cndmask_b32_e64 v5, 0, v9, s2
	; wave barrier
	s_waitcnt lgkmcnt(0)
	v_cmp_lt_i32_e64 s0, v11, v8
	s_delay_alu instid0(VALU_DEP_1) | instskip(NEXT) | instid1(SALU_CYCLE_1)
	s_or_b32 s0, vcc_lo, s0
	s_and_b32 vcc_lo, s1, s0
	s_mov_b32 s0, exec_lo
	v_cndmask_b32_e32 v7, v8, v11, vcc_lo
	ds_store_b32 v4, v7
	; wave barrier
	v_cmpx_lt_i32_e64 v5, v6
	s_cbranch_execz .LBB24_20
; %bb.17:
	v_add3_u32 v3, v0, 64, v3
	s_mov_b32 s1, 0
	.p2align	6
.LBB24_18:                              ; =>This Inner Loop Header: Depth=1
	v_sub_nc_u32_e32 v4, v6, v5
	s_delay_alu instid0(VALU_DEP_1) | instskip(NEXT) | instid1(VALU_DEP_1)
	v_lshrrev_b32_e32 v7, 31, v4
	v_add_nc_u32_e32 v4, v4, v7
	s_delay_alu instid0(VALU_DEP_1) | instskip(NEXT) | instid1(VALU_DEP_1)
	v_ashrrev_i32_e32 v4, 1, v4
	v_add_nc_u32_e32 v4, v4, v5
	s_delay_alu instid0(VALU_DEP_1) | instskip(SKIP_2) | instid1(VALU_DEP_3)
	v_not_b32_e32 v7, v4
	v_lshl_add_u32 v8, v4, 2, v0
	v_add_nc_u32_e32 v9, 1, v4
	v_lshl_add_u32 v7, v7, 2, v3
	ds_load_b32 v8, v8
	ds_load_b32 v7, v7
	s_waitcnt lgkmcnt(0)
	v_cmp_lt_i32_e32 vcc_lo, v7, v8
	v_dual_cndmask_b32 v5, v9, v5 :: v_dual_cndmask_b32 v6, v6, v4
	s_delay_alu instid0(VALU_DEP_1) | instskip(SKIP_1) | instid1(SALU_CYCLE_1)
	v_cmp_ge_i32_e32 vcc_lo, v5, v6
	s_or_b32 s1, vcc_lo, s1
	s_and_not1_b32 exec_lo, exec_lo, s1
	s_cbranch_execnz .LBB24_18
; %bb.19:
	s_or_b32 exec_lo, exec_lo, s1
.LBB24_20:
	s_delay_alu instid0(SALU_CYCLE_1) | instskip(SKIP_3) | instid1(VALU_DEP_3)
	s_or_b32 exec_lo, exec_lo, s0
	v_add_nc_u32_e32 v2, 16, v2
	v_lshl_add_u32 v3, v5, 2, v0
	v_cmp_le_i32_e32 vcc_lo, 16, v5
	v_sub_nc_u32_e32 v2, v2, v5
	s_delay_alu instid0(VALU_DEP_1)
	v_lshl_add_u32 v0, v2, 2, v0
	v_cmp_gt_i32_e64 s1, 32, v2
	ds_load_b32 v3, v3
	ds_load_b32 v0, v0
	s_waitcnt lgkmcnt(0)
	v_cmp_lt_i32_e64 s0, v0, v3
	s_delay_alu instid0(VALU_DEP_1) | instskip(NEXT) | instid1(SALU_CYCLE_1)
	s_or_b32 s0, vcc_lo, s0
	s_and_b32 vcc_lo, s1, s0
	s_add_u32 s0, s6, s8
	v_cndmask_b32_e32 v0, v3, v0, vcc_lo
	s_addc_u32 s1, s7, s9
	global_store_b32 v1, v0, s[0:1]
	s_nop 0
	s_sendmsg sendmsg(MSG_DEALLOC_VGPRS)
	s_endpgm
	.section	.rodata,"a",@progbits
	.p2align	6, 0x0
	.amdhsa_kernel _Z9sort_keysILj256ELj32ELj1EiN10test_utils4lessEEvPKT2_PS2_T3_
		.amdhsa_group_segment_fixed_size 1056
		.amdhsa_private_segment_fixed_size 0
		.amdhsa_kernarg_size 20
		.amdhsa_user_sgpr_count 15
		.amdhsa_user_sgpr_dispatch_ptr 0
		.amdhsa_user_sgpr_queue_ptr 0
		.amdhsa_user_sgpr_kernarg_segment_ptr 1
		.amdhsa_user_sgpr_dispatch_id 0
		.amdhsa_user_sgpr_private_segment_size 0
		.amdhsa_wavefront_size32 1
		.amdhsa_uses_dynamic_stack 0
		.amdhsa_enable_private_segment 0
		.amdhsa_system_sgpr_workgroup_id_x 1
		.amdhsa_system_sgpr_workgroup_id_y 0
		.amdhsa_system_sgpr_workgroup_id_z 0
		.amdhsa_system_sgpr_workgroup_info 0
		.amdhsa_system_vgpr_workitem_id 0
		.amdhsa_next_free_vgpr 17
		.amdhsa_next_free_sgpr 16
		.amdhsa_reserve_vcc 1
		.amdhsa_float_round_mode_32 0
		.amdhsa_float_round_mode_16_64 0
		.amdhsa_float_denorm_mode_32 3
		.amdhsa_float_denorm_mode_16_64 3
		.amdhsa_dx10_clamp 1
		.amdhsa_ieee_mode 1
		.amdhsa_fp16_overflow 0
		.amdhsa_workgroup_processor_mode 1
		.amdhsa_memory_ordered 1
		.amdhsa_forward_progress 0
		.amdhsa_shared_vgpr_count 0
		.amdhsa_exception_fp_ieee_invalid_op 0
		.amdhsa_exception_fp_denorm_src 0
		.amdhsa_exception_fp_ieee_div_zero 0
		.amdhsa_exception_fp_ieee_overflow 0
		.amdhsa_exception_fp_ieee_underflow 0
		.amdhsa_exception_fp_ieee_inexact 0
		.amdhsa_exception_int_div_zero 0
	.end_amdhsa_kernel
	.section	.text._Z9sort_keysILj256ELj32ELj1EiN10test_utils4lessEEvPKT2_PS2_T3_,"axG",@progbits,_Z9sort_keysILj256ELj32ELj1EiN10test_utils4lessEEvPKT2_PS2_T3_,comdat
.Lfunc_end24:
	.size	_Z9sort_keysILj256ELj32ELj1EiN10test_utils4lessEEvPKT2_PS2_T3_, .Lfunc_end24-_Z9sort_keysILj256ELj32ELj1EiN10test_utils4lessEEvPKT2_PS2_T3_
                                        ; -- End function
	.section	.AMDGPU.csdata,"",@progbits
; Kernel info:
; codeLenInByte = 1620
; NumSgprs: 18
; NumVgprs: 17
; ScratchSize: 0
; MemoryBound: 0
; FloatMode: 240
; IeeeMode: 1
; LDSByteSize: 1056 bytes/workgroup (compile time only)
; SGPRBlocks: 2
; VGPRBlocks: 2
; NumSGPRsForWavesPerEU: 18
; NumVGPRsForWavesPerEU: 17
; Occupancy: 16
; WaveLimiterHint : 0
; COMPUTE_PGM_RSRC2:SCRATCH_EN: 0
; COMPUTE_PGM_RSRC2:USER_SGPR: 15
; COMPUTE_PGM_RSRC2:TRAP_HANDLER: 0
; COMPUTE_PGM_RSRC2:TGID_X_EN: 1
; COMPUTE_PGM_RSRC2:TGID_Y_EN: 0
; COMPUTE_PGM_RSRC2:TGID_Z_EN: 0
; COMPUTE_PGM_RSRC2:TIDIG_COMP_CNT: 0
	.section	.text._Z10sort_pairsILj256ELj32ELj1EiN10test_utils4lessEEvPKT2_PS2_T3_,"axG",@progbits,_Z10sort_pairsILj256ELj32ELj1EiN10test_utils4lessEEvPKT2_PS2_T3_,comdat
	.protected	_Z10sort_pairsILj256ELj32ELj1EiN10test_utils4lessEEvPKT2_PS2_T3_ ; -- Begin function _Z10sort_pairsILj256ELj32ELj1EiN10test_utils4lessEEvPKT2_PS2_T3_
	.globl	_Z10sort_pairsILj256ELj32ELj1EiN10test_utils4lessEEvPKT2_PS2_T3_
	.p2align	8
	.type	_Z10sort_pairsILj256ELj32ELj1EiN10test_utils4lessEEvPKT2_PS2_T3_,@function
_Z10sort_pairsILj256ELj32ELj1EiN10test_utils4lessEEvPKT2_PS2_T3_: ; @_Z10sort_pairsILj256ELj32ELj1EiN10test_utils4lessEEvPKT2_PS2_T3_
; %bb.0:
	s_load_b128 s[0:3], s[0:1], 0x0
	s_mov_b32 s7, 0
	s_lshl_b32 s6, s15, 8
	v_lshlrev_b32_e32 v1, 2, v0
	s_lshl_b64 s[4:5], s[6:7], 2
	v_mbcnt_lo_u32_b32 v2, -1, 0
	v_lshrrev_b32_e32 v10, 5, v0
	s_delay_alu instid0(VALU_DEP_2) | instskip(SKIP_2) | instid1(VALU_DEP_3)
	v_and_b32_e32 v7, 30, v2
	v_and_b32_e32 v8, 1, v2
	v_lshlrev_b32_e32 v4, 2, v2
	v_or_b32_e32 v6, 1, v7
	s_delay_alu instid0(VALU_DEP_3) | instskip(SKIP_2) | instid1(VALU_DEP_4)
	v_add_nc_u32_e32 v0, -1, v8
	v_lshlrev_b32_e32 v12, 2, v7
	v_cmp_lt_i32_e32 vcc_lo, 0, v8
	v_sub_nc_u32_e32 v3, v6, v7
	s_waitcnt lgkmcnt(0)
	s_add_u32 s0, s0, s4
	s_addc_u32 s1, s1, s5
	v_cndmask_b32_e32 v9, 0, v0, vcc_lo
	global_load_b32 v5, v1, s[0:1]
	v_min_i32_e32 v11, v8, v3
	v_mul_u32_u24_e32 v3, 0x84, v10
	v_mad_u32_u24 v0, 0x84, v10, v4
	v_mad_u32_u24 v10, 0x84, v10, v12
	s_mov_b32 s0, exec_lo
	; wave barrier
	s_waitcnt vmcnt(0)
	ds_store_b32 v0, v5
	; wave barrier
	v_cmpx_lt_i32_e64 v9, v11
	s_cbranch_execz .LBB25_4
; %bb.1:
	v_lshlrev_b32_e32 v12, 2, v6
	v_lshlrev_b32_e32 v13, 2, v8
	s_delay_alu instid0(VALU_DEP_1)
	v_add3_u32 v12, v3, v12, v13
	.p2align	6
.LBB25_2:                               ; =>This Inner Loop Header: Depth=1
	v_sub_nc_u32_e32 v13, v11, v9
	s_delay_alu instid0(VALU_DEP_1) | instskip(NEXT) | instid1(VALU_DEP_1)
	v_lshrrev_b32_e32 v14, 31, v13
	v_add_nc_u32_e32 v13, v13, v14
	s_delay_alu instid0(VALU_DEP_1) | instskip(NEXT) | instid1(VALU_DEP_1)
	v_ashrrev_i32_e32 v13, 1, v13
	v_add_nc_u32_e32 v13, v13, v9
	s_delay_alu instid0(VALU_DEP_1) | instskip(SKIP_2) | instid1(VALU_DEP_3)
	v_not_b32_e32 v14, v13
	v_lshl_add_u32 v15, v13, 2, v10
	v_add_nc_u32_e32 v16, 1, v13
	v_lshl_add_u32 v14, v14, 2, v12
	ds_load_b32 v15, v15
	ds_load_b32 v14, v14
	s_waitcnt lgkmcnt(0)
	v_cmp_lt_i32_e32 vcc_lo, v14, v15
	v_cndmask_b32_e32 v11, v11, v13, vcc_lo
	v_cndmask_b32_e32 v9, v16, v9, vcc_lo
	s_delay_alu instid0(VALU_DEP_1) | instskip(SKIP_1) | instid1(SALU_CYCLE_1)
	v_cmp_ge_i32_e32 vcc_lo, v9, v11
	s_or_b32 s7, vcc_lo, s7
	s_and_not1_b32 exec_lo, exec_lo, s7
	s_cbranch_execnz .LBB25_2
; %bb.3:
	s_or_b32 exec_lo, exec_lo, s7
.LBB25_4:
	s_delay_alu instid0(SALU_CYCLE_1) | instskip(SKIP_4) | instid1(VALU_DEP_4)
	s_or_b32 exec_lo, exec_lo, s0
	v_add_nc_u32_e32 v8, v6, v8
	v_lshl_add_u32 v10, v9, 2, v10
	v_add_nc_u32_e32 v7, v9, v7
	v_add_nc_u32_e32 v5, 1, v5
	v_sub_nc_u32_e32 v8, v8, v9
	s_delay_alu instid0(VALU_DEP_3) | instskip(NEXT) | instid1(VALU_DEP_2)
	v_cmp_le_i32_e32 vcc_lo, v6, v7
	v_lshl_add_u32 v11, v8, 2, v3
	v_cmp_ge_i32_e64 s1, v6, v8
	ds_load_b32 v10, v10
	ds_load_b32 v11, v11
	; wave barrier
	ds_store_b32 v0, v5
	; wave barrier
	s_waitcnt lgkmcnt(1)
	v_cmp_lt_i32_e64 s0, v11, v10
	s_delay_alu instid0(VALU_DEP_1) | instskip(NEXT) | instid1(SALU_CYCLE_1)
	s_or_b32 s0, vcc_lo, s0
	s_and_b32 vcc_lo, s1, s0
	v_dual_cndmask_b32 v13, v10, v11 :: v_dual_and_b32 v6, 28, v2
	v_cndmask_b32_e32 v9, v7, v8, vcc_lo
	s_mov_b32 s1, 0
	s_mov_b32 s0, exec_lo
	s_delay_alu instid0(VALU_DEP_2) | instskip(SKIP_3) | instid1(VALU_DEP_4)
	v_or_b32_e32 v8, 2, v6
	v_add_nc_u32_e32 v7, 4, v6
	v_lshl_add_u32 v5, v9, 2, v3
	v_and_b32_e32 v9, 3, v2
	v_sub_nc_u32_e32 v12, v8, v6
	s_delay_alu instid0(VALU_DEP_4)
	v_sub_nc_u32_e32 v10, v7, v8
	ds_load_b32 v5, v5
	; wave barrier
	v_min_i32_e32 v12, v9, v12
	v_sub_nc_u32_e32 v11, v9, v10
	v_cmp_ge_i32_e32 vcc_lo, v9, v10
	ds_store_b32 v0, v13
	; wave barrier
	v_cndmask_b32_e32 v10, 0, v11, vcc_lo
	v_lshl_add_u32 v11, v6, 2, v3
	s_delay_alu instid0(VALU_DEP_2)
	v_cmpx_lt_i32_e64 v10, v12
	s_cbranch_execz .LBB25_8
; %bb.5:
	v_lshlrev_b32_e32 v13, 2, v8
	v_lshlrev_b32_e32 v14, 2, v9
	s_delay_alu instid0(VALU_DEP_1)
	v_add3_u32 v13, v3, v13, v14
	.p2align	6
.LBB25_6:                               ; =>This Inner Loop Header: Depth=1
	v_sub_nc_u32_e32 v14, v12, v10
	s_delay_alu instid0(VALU_DEP_1) | instskip(NEXT) | instid1(VALU_DEP_1)
	v_lshrrev_b32_e32 v15, 31, v14
	v_add_nc_u32_e32 v14, v14, v15
	s_delay_alu instid0(VALU_DEP_1) | instskip(NEXT) | instid1(VALU_DEP_1)
	v_ashrrev_i32_e32 v14, 1, v14
	v_add_nc_u32_e32 v14, v14, v10
	s_delay_alu instid0(VALU_DEP_1) | instskip(SKIP_2) | instid1(VALU_DEP_3)
	v_not_b32_e32 v15, v14
	v_lshl_add_u32 v16, v14, 2, v11
	v_add_nc_u32_e32 v17, 1, v14
	v_lshl_add_u32 v15, v15, 2, v13
	ds_load_b32 v16, v16
	ds_load_b32 v15, v15
	s_waitcnt lgkmcnt(0)
	v_cmp_lt_i32_e32 vcc_lo, v15, v16
	v_cndmask_b32_e32 v12, v12, v14, vcc_lo
	v_cndmask_b32_e32 v10, v17, v10, vcc_lo
	s_delay_alu instid0(VALU_DEP_1) | instskip(SKIP_1) | instid1(SALU_CYCLE_1)
	v_cmp_ge_i32_e32 vcc_lo, v10, v12
	s_or_b32 s1, vcc_lo, s1
	s_and_not1_b32 exec_lo, exec_lo, s1
	s_cbranch_execnz .LBB25_6
; %bb.7:
	s_or_b32 exec_lo, exec_lo, s1
.LBB25_8:
	s_delay_alu instid0(SALU_CYCLE_1) | instskip(SKIP_2) | instid1(VALU_DEP_2)
	s_or_b32 exec_lo, exec_lo, s0
	v_add_nc_u32_e32 v9, v8, v9
	v_lshl_add_u32 v11, v10, 2, v11
	v_sub_nc_u32_e32 v9, v9, v10
	s_delay_alu instid0(VALU_DEP_1)
	v_lshl_add_u32 v12, v9, 2, v3
	v_cmp_gt_i32_e64 s1, v7, v9
	ds_load_b32 v11, v11
	ds_load_b32 v12, v12
	v_add_nc_u32_e32 v10, v10, v6
	; wave barrier
	s_waitcnt lgkmcnt(3)
	ds_store_b32 v0, v5
	v_cmp_le_i32_e32 vcc_lo, v8, v10
	; wave barrier
	s_waitcnt lgkmcnt(1)
	v_cmp_lt_i32_e64 s0, v12, v11
	s_delay_alu instid0(VALU_DEP_1) | instskip(NEXT) | instid1(SALU_CYCLE_1)
	s_or_b32 s0, vcc_lo, s0
	s_and_b32 vcc_lo, s1, s0
	s_mov_b32 s1, 0
	v_dual_cndmask_b32 v13, v11, v12 :: v_dual_and_b32 v6, 24, v2
	v_cndmask_b32_e32 v9, v10, v9, vcc_lo
	s_mov_b32 s0, exec_lo
	s_delay_alu instid0(VALU_DEP_2) | instskip(NEXT) | instid1(VALU_DEP_2)
	v_or_b32_e32 v8, 4, v6
	v_lshl_add_u32 v5, v9, 2, v3
	v_add_nc_u32_e32 v7, 8, v6
	v_and_b32_e32 v9, 7, v2
	s_delay_alu instid0(VALU_DEP_4)
	v_sub_nc_u32_e32 v12, v8, v6
	ds_load_b32 v5, v5
	v_sub_nc_u32_e32 v10, v7, v8
	; wave barrier
	v_min_i32_e32 v12, v9, v12
	ds_store_b32 v0, v13
	v_sub_nc_u32_e32 v11, v9, v10
	v_cmp_ge_i32_e32 vcc_lo, v9, v10
	; wave barrier
	s_delay_alu instid0(VALU_DEP_2) | instskip(SKIP_1) | instid1(VALU_DEP_2)
	v_cndmask_b32_e32 v10, 0, v11, vcc_lo
	v_lshl_add_u32 v11, v6, 2, v3
	v_cmpx_lt_i32_e64 v10, v12
	s_cbranch_execz .LBB25_12
; %bb.9:
	v_lshlrev_b32_e32 v13, 2, v8
	v_lshlrev_b32_e32 v14, 2, v9
	s_delay_alu instid0(VALU_DEP_1)
	v_add3_u32 v13, v3, v13, v14
	.p2align	6
.LBB25_10:                              ; =>This Inner Loop Header: Depth=1
	v_sub_nc_u32_e32 v14, v12, v10
	s_delay_alu instid0(VALU_DEP_1) | instskip(NEXT) | instid1(VALU_DEP_1)
	v_lshrrev_b32_e32 v15, 31, v14
	v_add_nc_u32_e32 v14, v14, v15
	s_delay_alu instid0(VALU_DEP_1) | instskip(NEXT) | instid1(VALU_DEP_1)
	v_ashrrev_i32_e32 v14, 1, v14
	v_add_nc_u32_e32 v14, v14, v10
	s_delay_alu instid0(VALU_DEP_1) | instskip(SKIP_2) | instid1(VALU_DEP_3)
	v_not_b32_e32 v15, v14
	v_lshl_add_u32 v16, v14, 2, v11
	v_add_nc_u32_e32 v17, 1, v14
	v_lshl_add_u32 v15, v15, 2, v13
	ds_load_b32 v16, v16
	ds_load_b32 v15, v15
	s_waitcnt lgkmcnt(0)
	v_cmp_lt_i32_e32 vcc_lo, v15, v16
	v_cndmask_b32_e32 v12, v12, v14, vcc_lo
	v_cndmask_b32_e32 v10, v17, v10, vcc_lo
	s_delay_alu instid0(VALU_DEP_1) | instskip(SKIP_1) | instid1(SALU_CYCLE_1)
	v_cmp_ge_i32_e32 vcc_lo, v10, v12
	s_or_b32 s1, vcc_lo, s1
	s_and_not1_b32 exec_lo, exec_lo, s1
	s_cbranch_execnz .LBB25_10
; %bb.11:
	s_or_b32 exec_lo, exec_lo, s1
.LBB25_12:
	s_delay_alu instid0(SALU_CYCLE_1) | instskip(SKIP_2) | instid1(VALU_DEP_2)
	s_or_b32 exec_lo, exec_lo, s0
	v_add_nc_u32_e32 v9, v8, v9
	v_lshl_add_u32 v11, v10, 2, v11
	v_sub_nc_u32_e32 v9, v9, v10
	s_delay_alu instid0(VALU_DEP_1)
	v_lshl_add_u32 v12, v9, 2, v3
	v_cmp_gt_i32_e64 s1, v7, v9
	ds_load_b32 v11, v11
	ds_load_b32 v12, v12
	v_add_nc_u32_e32 v10, v10, v6
	; wave barrier
	s_waitcnt lgkmcnt(3)
	ds_store_b32 v0, v5
	v_cmp_le_i32_e32 vcc_lo, v8, v10
	; wave barrier
	s_waitcnt lgkmcnt(1)
	v_cmp_lt_i32_e64 s0, v12, v11
	s_delay_alu instid0(VALU_DEP_1) | instskip(NEXT) | instid1(SALU_CYCLE_1)
	s_or_b32 s0, vcc_lo, s0
	s_and_b32 vcc_lo, s1, s0
	s_mov_b32 s1, 0
	v_dual_cndmask_b32 v13, v11, v12 :: v_dual_and_b32 v6, 16, v2
	v_cndmask_b32_e32 v9, v10, v9, vcc_lo
	s_mov_b32 s0, exec_lo
	s_delay_alu instid0(VALU_DEP_2) | instskip(NEXT) | instid1(VALU_DEP_2)
	v_or_b32_e32 v8, 8, v6
	v_lshl_add_u32 v5, v9, 2, v3
	v_add_nc_u32_e32 v7, 16, v6
	v_and_b32_e32 v9, 15, v2
	s_delay_alu instid0(VALU_DEP_4)
	v_sub_nc_u32_e32 v12, v8, v6
	ds_load_b32 v5, v5
	v_sub_nc_u32_e32 v10, v7, v8
	; wave barrier
	v_min_i32_e32 v12, v9, v12
	ds_store_b32 v0, v13
	v_sub_nc_u32_e32 v11, v9, v10
	v_cmp_ge_i32_e32 vcc_lo, v9, v10
	; wave barrier
	s_delay_alu instid0(VALU_DEP_2) | instskip(SKIP_1) | instid1(VALU_DEP_2)
	v_cndmask_b32_e32 v10, 0, v11, vcc_lo
	v_lshl_add_u32 v11, v6, 2, v3
	v_cmpx_lt_i32_e64 v10, v12
	s_cbranch_execz .LBB25_16
; %bb.13:
	v_lshlrev_b32_e32 v13, 2, v8
	v_lshlrev_b32_e32 v14, 2, v9
	s_delay_alu instid0(VALU_DEP_1)
	v_add3_u32 v13, v3, v13, v14
	.p2align	6
.LBB25_14:                              ; =>This Inner Loop Header: Depth=1
	v_sub_nc_u32_e32 v14, v12, v10
	s_delay_alu instid0(VALU_DEP_1) | instskip(NEXT) | instid1(VALU_DEP_1)
	v_lshrrev_b32_e32 v15, 31, v14
	v_add_nc_u32_e32 v14, v14, v15
	s_delay_alu instid0(VALU_DEP_1) | instskip(NEXT) | instid1(VALU_DEP_1)
	v_ashrrev_i32_e32 v14, 1, v14
	v_add_nc_u32_e32 v14, v14, v10
	s_delay_alu instid0(VALU_DEP_1) | instskip(SKIP_2) | instid1(VALU_DEP_3)
	v_not_b32_e32 v15, v14
	v_lshl_add_u32 v16, v14, 2, v11
	v_add_nc_u32_e32 v17, 1, v14
	v_lshl_add_u32 v15, v15, 2, v13
	ds_load_b32 v16, v16
	ds_load_b32 v15, v15
	s_waitcnt lgkmcnt(0)
	v_cmp_lt_i32_e32 vcc_lo, v15, v16
	v_cndmask_b32_e32 v12, v12, v14, vcc_lo
	v_cndmask_b32_e32 v10, v17, v10, vcc_lo
	s_delay_alu instid0(VALU_DEP_1) | instskip(SKIP_1) | instid1(SALU_CYCLE_1)
	v_cmp_ge_i32_e32 vcc_lo, v10, v12
	s_or_b32 s1, vcc_lo, s1
	s_and_not1_b32 exec_lo, exec_lo, s1
	s_cbranch_execnz .LBB25_14
; %bb.15:
	s_or_b32 exec_lo, exec_lo, s1
.LBB25_16:
	s_delay_alu instid0(SALU_CYCLE_1) | instskip(SKIP_3) | instid1(VALU_DEP_3)
	s_or_b32 exec_lo, exec_lo, s0
	v_add_nc_u32_e32 v9, v8, v9
	v_lshl_add_u32 v11, v10, 2, v11
	v_add_nc_u32_e32 v6, v10, v6
	v_sub_nc_u32_e32 v9, v9, v10
	s_delay_alu instid0(VALU_DEP_2) | instskip(NEXT) | instid1(VALU_DEP_2)
	v_cmp_le_i32_e32 vcc_lo, v8, v6
	v_lshl_add_u32 v12, v9, 2, v3
	v_cmp_gt_i32_e64 s1, v7, v9
	v_min_i32_e32 v7, 16, v2
	ds_load_b32 v11, v11
	ds_load_b32 v12, v12
	; wave barrier
	s_waitcnt lgkmcnt(3)
	ds_store_b32 v0, v5
	; wave barrier
	s_waitcnt lgkmcnt(1)
	v_cmp_lt_i32_e64 s0, v12, v11
	s_delay_alu instid0(VALU_DEP_1) | instskip(NEXT) | instid1(SALU_CYCLE_1)
	s_or_b32 s0, vcc_lo, s0
	s_and_b32 vcc_lo, s1, s0
	s_mov_b32 s0, exec_lo
	v_cndmask_b32_e32 v8, v11, v12, vcc_lo
	v_cndmask_b32_e32 v6, v6, v9, vcc_lo
	v_cmp_lt_i32_e32 vcc_lo, 15, v2
	s_delay_alu instid0(VALU_DEP_2) | instskip(SKIP_4) | instid1(VALU_DEP_1)
	v_lshl_add_u32 v6, v6, 2, v3
	ds_load_b32 v5, v6
	v_add_nc_u32_e32 v6, -16, v2
	; wave barrier
	ds_store_b32 v0, v8
	v_cndmask_b32_e32 v6, 0, v6, vcc_lo
	; wave barrier
	v_cmpx_lt_i32_e64 v6, v7
	s_cbranch_execz .LBB25_20
; %bb.17:
	v_add3_u32 v4, v3, 64, v4
	s_mov_b32 s1, 0
	.p2align	6
.LBB25_18:                              ; =>This Inner Loop Header: Depth=1
	v_sub_nc_u32_e32 v8, v7, v6
	s_delay_alu instid0(VALU_DEP_1) | instskip(NEXT) | instid1(VALU_DEP_1)
	v_lshrrev_b32_e32 v9, 31, v8
	v_add_nc_u32_e32 v8, v8, v9
	s_delay_alu instid0(VALU_DEP_1) | instskip(NEXT) | instid1(VALU_DEP_1)
	v_ashrrev_i32_e32 v8, 1, v8
	v_add_nc_u32_e32 v8, v8, v6
	s_delay_alu instid0(VALU_DEP_1) | instskip(SKIP_2) | instid1(VALU_DEP_3)
	v_not_b32_e32 v9, v8
	v_lshl_add_u32 v10, v8, 2, v3
	v_add_nc_u32_e32 v11, 1, v8
	v_lshl_add_u32 v9, v9, 2, v4
	ds_load_b32 v10, v10
	ds_load_b32 v9, v9
	s_waitcnt lgkmcnt(0)
	v_cmp_lt_i32_e32 vcc_lo, v9, v10
	v_cndmask_b32_e32 v7, v7, v8, vcc_lo
	v_cndmask_b32_e32 v6, v11, v6, vcc_lo
	s_delay_alu instid0(VALU_DEP_1) | instskip(SKIP_1) | instid1(SALU_CYCLE_1)
	v_cmp_ge_i32_e32 vcc_lo, v6, v7
	s_or_b32 s1, vcc_lo, s1
	s_and_not1_b32 exec_lo, exec_lo, s1
	s_cbranch_execnz .LBB25_18
; %bb.19:
	s_or_b32 exec_lo, exec_lo, s1
.LBB25_20:
	s_delay_alu instid0(SALU_CYCLE_1) | instskip(SKIP_3) | instid1(VALU_DEP_3)
	s_or_b32 exec_lo, exec_lo, s0
	v_add_nc_u32_e32 v2, 16, v2
	v_lshl_add_u32 v4, v6, 2, v3
	v_cmp_le_i32_e32 vcc_lo, 16, v6
	v_sub_nc_u32_e32 v2, v2, v6
	s_delay_alu instid0(VALU_DEP_1)
	v_lshl_add_u32 v7, v2, 2, v3
	v_cmp_gt_i32_e64 s1, 32, v2
	ds_load_b32 v4, v4
	ds_load_b32 v7, v7
	; wave barrier
	s_waitcnt lgkmcnt(3)
	ds_store_b32 v0, v5
	; wave barrier
	s_waitcnt lgkmcnt(1)
	v_cmp_lt_i32_e64 s0, v7, v4
	s_delay_alu instid0(VALU_DEP_1) | instskip(NEXT) | instid1(SALU_CYCLE_1)
	s_or_b32 s0, vcc_lo, s0
	s_and_b32 vcc_lo, s1, s0
	s_add_u32 s0, s2, s4
	v_cndmask_b32_e32 v2, v6, v2, vcc_lo
	v_cndmask_b32_e32 v4, v4, v7, vcc_lo
	s_addc_u32 s1, s3, s5
	s_delay_alu instid0(VALU_DEP_2)
	v_lshl_add_u32 v2, v2, 2, v3
	ds_load_b32 v0, v2
	s_waitcnt lgkmcnt(0)
	v_add_nc_u32_e32 v0, v0, v4
	global_store_b32 v1, v0, s[0:1]
	s_nop 0
	s_sendmsg sendmsg(MSG_DEALLOC_VGPRS)
	s_endpgm
	.section	.rodata,"a",@progbits
	.p2align	6, 0x0
	.amdhsa_kernel _Z10sort_pairsILj256ELj32ELj1EiN10test_utils4lessEEvPKT2_PS2_T3_
		.amdhsa_group_segment_fixed_size 1056
		.amdhsa_private_segment_fixed_size 0
		.amdhsa_kernarg_size 20
		.amdhsa_user_sgpr_count 15
		.amdhsa_user_sgpr_dispatch_ptr 0
		.amdhsa_user_sgpr_queue_ptr 0
		.amdhsa_user_sgpr_kernarg_segment_ptr 1
		.amdhsa_user_sgpr_dispatch_id 0
		.amdhsa_user_sgpr_private_segment_size 0
		.amdhsa_wavefront_size32 1
		.amdhsa_uses_dynamic_stack 0
		.amdhsa_enable_private_segment 0
		.amdhsa_system_sgpr_workgroup_id_x 1
		.amdhsa_system_sgpr_workgroup_id_y 0
		.amdhsa_system_sgpr_workgroup_id_z 0
		.amdhsa_system_sgpr_workgroup_info 0
		.amdhsa_system_vgpr_workitem_id 0
		.amdhsa_next_free_vgpr 18
		.amdhsa_next_free_sgpr 16
		.amdhsa_reserve_vcc 1
		.amdhsa_float_round_mode_32 0
		.amdhsa_float_round_mode_16_64 0
		.amdhsa_float_denorm_mode_32 3
		.amdhsa_float_denorm_mode_16_64 3
		.amdhsa_dx10_clamp 1
		.amdhsa_ieee_mode 1
		.amdhsa_fp16_overflow 0
		.amdhsa_workgroup_processor_mode 1
		.amdhsa_memory_ordered 1
		.amdhsa_forward_progress 0
		.amdhsa_shared_vgpr_count 0
		.amdhsa_exception_fp_ieee_invalid_op 0
		.amdhsa_exception_fp_denorm_src 0
		.amdhsa_exception_fp_ieee_div_zero 0
		.amdhsa_exception_fp_ieee_overflow 0
		.amdhsa_exception_fp_ieee_underflow 0
		.amdhsa_exception_fp_ieee_inexact 0
		.amdhsa_exception_int_div_zero 0
	.end_amdhsa_kernel
	.section	.text._Z10sort_pairsILj256ELj32ELj1EiN10test_utils4lessEEvPKT2_PS2_T3_,"axG",@progbits,_Z10sort_pairsILj256ELj32ELj1EiN10test_utils4lessEEvPKT2_PS2_T3_,comdat
.Lfunc_end25:
	.size	_Z10sort_pairsILj256ELj32ELj1EiN10test_utils4lessEEvPKT2_PS2_T3_, .Lfunc_end25-_Z10sort_pairsILj256ELj32ELj1EiN10test_utils4lessEEvPKT2_PS2_T3_
                                        ; -- End function
	.section	.AMDGPU.csdata,"",@progbits
; Kernel info:
; codeLenInByte = 1800
; NumSgprs: 18
; NumVgprs: 18
; ScratchSize: 0
; MemoryBound: 0
; FloatMode: 240
; IeeeMode: 1
; LDSByteSize: 1056 bytes/workgroup (compile time only)
; SGPRBlocks: 2
; VGPRBlocks: 2
; NumSGPRsForWavesPerEU: 18
; NumVGPRsForWavesPerEU: 18
; Occupancy: 16
; WaveLimiterHint : 0
; COMPUTE_PGM_RSRC2:SCRATCH_EN: 0
; COMPUTE_PGM_RSRC2:USER_SGPR: 15
; COMPUTE_PGM_RSRC2:TRAP_HANDLER: 0
; COMPUTE_PGM_RSRC2:TGID_X_EN: 1
; COMPUTE_PGM_RSRC2:TGID_Y_EN: 0
; COMPUTE_PGM_RSRC2:TGID_Z_EN: 0
; COMPUTE_PGM_RSRC2:TIDIG_COMP_CNT: 0
	.section	.text._Z19sort_keys_segmentedILj256ELj32ELj1EiN10test_utils4lessEEvPKT2_PS2_PKjT3_,"axG",@progbits,_Z19sort_keys_segmentedILj256ELj32ELj1EiN10test_utils4lessEEvPKT2_PS2_PKjT3_,comdat
	.protected	_Z19sort_keys_segmentedILj256ELj32ELj1EiN10test_utils4lessEEvPKT2_PS2_PKjT3_ ; -- Begin function _Z19sort_keys_segmentedILj256ELj32ELj1EiN10test_utils4lessEEvPKT2_PS2_PKjT3_
	.globl	_Z19sort_keys_segmentedILj256ELj32ELj1EiN10test_utils4lessEEvPKT2_PS2_PKjT3_
	.p2align	8
	.type	_Z19sort_keys_segmentedILj256ELj32ELj1EiN10test_utils4lessEEvPKT2_PS2_PKjT3_,@function
_Z19sort_keys_segmentedILj256ELj32ELj1EiN10test_utils4lessEEvPKT2_PS2_PKjT3_: ; @_Z19sort_keys_segmentedILj256ELj32ELj1EiN10test_utils4lessEEvPKT2_PS2_PKjT3_
; %bb.0:
	s_clause 0x1
	s_load_b64 s[2:3], s[0:1], 0x10
	s_load_b128 s[4:7], s[0:1], 0x0
	v_lshrrev_b32_e32 v8, 5, v0
	v_mbcnt_lo_u32_b32 v5, -1, 0
                                        ; implicit-def: $vgpr14
	s_delay_alu instid0(VALU_DEP_2) | instskip(SKIP_1) | instid1(VALU_DEP_1)
	v_lshl_or_b32 v0, s15, 3, v8
	v_mov_b32_e32 v1, 0
	v_lshlrev_b64 v[2:3], 2, v[0:1]
	v_lshlrev_b32_e32 v0, 5, v0
	s_delay_alu instid0(VALU_DEP_1) | instskip(SKIP_1) | instid1(VALU_DEP_3)
	v_lshlrev_b64 v[0:1], 2, v[0:1]
	s_waitcnt lgkmcnt(0)
	v_add_co_u32 v2, vcc_lo, s2, v2
	s_delay_alu instid0(VALU_DEP_4)
	v_add_co_ci_u32_e32 v3, vcc_lo, s3, v3, vcc_lo
	global_load_b32 v4, v[2:3], off
	v_lshlrev_b32_e32 v2, 2, v5
	s_waitcnt vmcnt(0)
	v_cmp_lt_u32_e32 vcc_lo, v5, v4
	s_and_saveexec_b32 s1, vcc_lo
	s_cbranch_execz .LBB26_2
; %bb.1:
	v_add_co_u32 v3, s0, s4, v0
	s_delay_alu instid0(VALU_DEP_1) | instskip(NEXT) | instid1(VALU_DEP_2)
	v_add_co_ci_u32_e64 v7, s0, s5, v1, s0
	v_add_co_u32 v6, s0, v3, v2
	s_delay_alu instid0(VALU_DEP_1)
	v_add_co_ci_u32_e64 v7, s0, 0, v7, s0
	global_load_b32 v14, v[6:7], off
.LBB26_2:
	s_or_b32 exec_lo, exec_lo, s1
	v_and_b32_e32 v3, 30, v5
	v_and_b32_e32 v6, 1, v5
	s_mov_b32 s1, exec_lo
	; wave barrier
	s_delay_alu instid0(VALU_DEP_2) | instskip(NEXT) | instid1(VALU_DEP_2)
	v_min_i32_e32 v12, v4, v3
	v_min_i32_e32 v7, v4, v6
	s_delay_alu instid0(VALU_DEP_2) | instskip(SKIP_1) | instid1(VALU_DEP_2)
	v_add_nc_u32_e32 v3, 1, v12
	v_lshlrev_b32_e32 v15, 2, v12
	v_min_i32_e32 v10, v4, v3
	s_delay_alu instid0(VALU_DEP_1) | instskip(SKIP_1) | instid1(VALU_DEP_2)
	v_add_nc_u32_e32 v3, 1, v10
	v_sub_nc_u32_e32 v11, v10, v12
	v_min_i32_e32 v9, v4, v3
	s_delay_alu instid0(VALU_DEP_2) | instskip(NEXT) | instid1(VALU_DEP_2)
	v_min_i32_e32 v11, v7, v11
	v_sub_nc_u32_e32 v3, v9, v10
	s_delay_alu instid0(VALU_DEP_1) | instskip(SKIP_2) | instid1(VALU_DEP_2)
	v_sub_nc_u32_e32 v6, v7, v3
	v_cmp_ge_i32_e64 s0, v7, v3
	v_mul_u32_u24_e32 v3, 0x84, v8
	v_cndmask_b32_e64 v13, 0, v6, s0
	v_mad_u32_u24 v6, 0x84, v8, v2
	v_mad_u32_u24 v8, 0x84, v8, v15
	s_waitcnt vmcnt(0)
	ds_store_b32 v6, v14
	; wave barrier
	v_cmpx_lt_i32_e64 v13, v11
	s_cbranch_execz .LBB26_6
; %bb.3:
	v_lshlrev_b32_e32 v14, 2, v10
	v_lshlrev_b32_e32 v15, 2, v7
	s_mov_b32 s2, 0
	s_delay_alu instid0(VALU_DEP_1)
	v_add3_u32 v14, v3, v14, v15
	.p2align	6
.LBB26_4:                               ; =>This Inner Loop Header: Depth=1
	v_sub_nc_u32_e32 v15, v11, v13
	s_delay_alu instid0(VALU_DEP_1) | instskip(NEXT) | instid1(VALU_DEP_1)
	v_lshrrev_b32_e32 v16, 31, v15
	v_add_nc_u32_e32 v15, v15, v16
	s_delay_alu instid0(VALU_DEP_1) | instskip(NEXT) | instid1(VALU_DEP_1)
	v_ashrrev_i32_e32 v15, 1, v15
	v_add_nc_u32_e32 v15, v15, v13
	s_delay_alu instid0(VALU_DEP_1) | instskip(SKIP_2) | instid1(VALU_DEP_3)
	v_not_b32_e32 v16, v15
	v_lshl_add_u32 v17, v15, 2, v8
	v_add_nc_u32_e32 v18, 1, v15
	v_lshl_add_u32 v16, v16, 2, v14
	ds_load_b32 v17, v17
	ds_load_b32 v16, v16
	s_waitcnt lgkmcnt(0)
	v_cmp_lt_i32_e64 s0, v16, v17
	s_delay_alu instid0(VALU_DEP_1) | instskip(SKIP_1) | instid1(VALU_DEP_1)
	v_cndmask_b32_e64 v11, v11, v15, s0
	v_cndmask_b32_e64 v13, v18, v13, s0
	v_cmp_ge_i32_e64 s0, v13, v11
	s_delay_alu instid0(VALU_DEP_1) | instskip(NEXT) | instid1(SALU_CYCLE_1)
	s_or_b32 s2, s0, s2
	s_and_not1_b32 exec_lo, exec_lo, s2
	s_cbranch_execnz .LBB26_4
; %bb.5:
	s_or_b32 exec_lo, exec_lo, s2
.LBB26_6:
	s_delay_alu instid0(SALU_CYCLE_1) | instskip(SKIP_3) | instid1(VALU_DEP_3)
	s_or_b32 exec_lo, exec_lo, s1
	v_add_nc_u32_e32 v7, v10, v7
	v_and_b32_e32 v11, 28, v5
	v_lshl_add_u32 v8, v13, 2, v8
	v_sub_nc_u32_e32 v14, v7, v13
	s_delay_alu instid0(VALU_DEP_3) | instskip(SKIP_1) | instid1(VALU_DEP_3)
	v_min_i32_e32 v7, v4, v11
	v_add_nc_u32_e32 v13, v13, v12
	v_lshl_add_u32 v11, v14, 2, v3
	s_delay_alu instid0(VALU_DEP_3) | instskip(NEXT) | instid1(VALU_DEP_3)
	v_add_nc_u32_e32 v15, 2, v7
	v_cmp_le_i32_e64 s0, v10, v13
	v_cmp_gt_i32_e64 s2, v9, v14
	ds_load_b32 v16, v8
	ds_load_b32 v17, v11
	v_min_i32_e32 v11, v4, v15
	v_and_b32_e32 v15, 3, v5
	; wave barrier
	s_delay_alu instid0(VALU_DEP_2) | instskip(NEXT) | instid1(VALU_DEP_2)
	v_add_nc_u32_e32 v8, 2, v11
	v_min_i32_e32 v12, v4, v15
	v_sub_nc_u32_e32 v10, v11, v7
	s_delay_alu instid0(VALU_DEP_3) | instskip(NEXT) | instid1(VALU_DEP_2)
	v_min_i32_e32 v8, v4, v8
	v_min_i32_e32 v9, v12, v10
	v_lshl_add_u32 v10, v7, 2, v3
	s_delay_alu instid0(VALU_DEP_3) | instskip(SKIP_2) | instid1(VALU_DEP_2)
	v_sub_nc_u32_e32 v15, v8, v11
	s_waitcnt lgkmcnt(0)
	v_cmp_lt_i32_e64 s1, v17, v16
	v_sub_nc_u32_e32 v13, v12, v15
	s_delay_alu instid0(VALU_DEP_2) | instskip(SKIP_1) | instid1(VALU_DEP_1)
	s_or_b32 s1, s0, s1
	v_cmp_ge_i32_e64 s0, v12, v15
	v_cndmask_b32_e64 v13, 0, v13, s0
	s_and_b32 s0, s2, s1
	s_mov_b32 s2, 0
	v_cndmask_b32_e64 v14, v16, v17, s0
	s_mov_b32 s1, exec_lo
	ds_store_b32 v6, v14
	; wave barrier
	v_cmpx_lt_i32_e64 v13, v9
	s_cbranch_execz .LBB26_10
; %bb.7:
	v_lshlrev_b32_e32 v14, 2, v11
	v_lshlrev_b32_e32 v15, 2, v12
	s_delay_alu instid0(VALU_DEP_1)
	v_add3_u32 v14, v3, v14, v15
	.p2align	6
.LBB26_8:                               ; =>This Inner Loop Header: Depth=1
	v_sub_nc_u32_e32 v15, v9, v13
	s_delay_alu instid0(VALU_DEP_1) | instskip(NEXT) | instid1(VALU_DEP_1)
	v_lshrrev_b32_e32 v16, 31, v15
	v_add_nc_u32_e32 v15, v15, v16
	s_delay_alu instid0(VALU_DEP_1) | instskip(NEXT) | instid1(VALU_DEP_1)
	v_ashrrev_i32_e32 v15, 1, v15
	v_add_nc_u32_e32 v15, v15, v13
	s_delay_alu instid0(VALU_DEP_1) | instskip(SKIP_2) | instid1(VALU_DEP_3)
	v_not_b32_e32 v16, v15
	v_lshl_add_u32 v17, v15, 2, v10
	v_add_nc_u32_e32 v18, 1, v15
	v_lshl_add_u32 v16, v16, 2, v14
	ds_load_b32 v17, v17
	ds_load_b32 v16, v16
	s_waitcnt lgkmcnt(0)
	v_cmp_lt_i32_e64 s0, v16, v17
	s_delay_alu instid0(VALU_DEP_1) | instskip(SKIP_1) | instid1(VALU_DEP_1)
	v_cndmask_b32_e64 v9, v9, v15, s0
	v_cndmask_b32_e64 v13, v18, v13, s0
	v_cmp_ge_i32_e64 s0, v13, v9
	s_delay_alu instid0(VALU_DEP_1) | instskip(NEXT) | instid1(SALU_CYCLE_1)
	s_or_b32 s2, s0, s2
	s_and_not1_b32 exec_lo, exec_lo, s2
	s_cbranch_execnz .LBB26_8
; %bb.9:
	s_or_b32 exec_lo, exec_lo, s2
.LBB26_10:
	s_delay_alu instid0(SALU_CYCLE_1) | instskip(SKIP_4) | instid1(VALU_DEP_4)
	s_or_b32 exec_lo, exec_lo, s1
	v_add_nc_u32_e32 v9, v11, v12
	v_and_b32_e32 v12, 24, v5
	v_lshl_add_u32 v10, v13, 2, v10
	v_add_nc_u32_e32 v7, v13, v7
	v_sub_nc_u32_e32 v15, v9, v13
	s_delay_alu instid0(VALU_DEP_4) | instskip(NEXT) | instid1(VALU_DEP_3)
	v_min_i32_e32 v9, v4, v12
	v_cmp_le_i32_e64 s0, v11, v7
	s_delay_alu instid0(VALU_DEP_3) | instskip(NEXT) | instid1(VALU_DEP_3)
	v_lshl_add_u32 v12, v15, 2, v3
	v_add_nc_u32_e32 v14, 4, v9
	v_cmp_gt_i32_e64 s2, v8, v15
	ds_load_b32 v16, v10
	ds_load_b32 v17, v12
	v_min_i32_e32 v12, v4, v14
	v_and_b32_e32 v14, 7, v5
	; wave barrier
	s_delay_alu instid0(VALU_DEP_2) | instskip(NEXT) | instid1(VALU_DEP_2)
	v_add_nc_u32_e32 v10, 4, v12
	v_min_i32_e32 v14, v4, v14
	v_sub_nc_u32_e32 v7, v12, v9
	s_delay_alu instid0(VALU_DEP_3) | instskip(NEXT) | instid1(VALU_DEP_2)
	v_min_i32_e32 v10, v4, v10
	v_min_i32_e32 v8, v14, v7
	v_lshl_add_u32 v7, v9, 2, v3
	s_delay_alu instid0(VALU_DEP_3) | instskip(SKIP_2) | instid1(VALU_DEP_2)
	v_sub_nc_u32_e32 v13, v10, v12
	s_waitcnt lgkmcnt(0)
	v_cmp_lt_i32_e64 s1, v17, v16
	v_sub_nc_u32_e32 v11, v14, v13
	s_delay_alu instid0(VALU_DEP_2) | instskip(SKIP_1) | instid1(VALU_DEP_1)
	s_or_b32 s1, s0, s1
	v_cmp_ge_i32_e64 s0, v14, v13
	v_cndmask_b32_e64 v13, 0, v11, s0
	s_and_b32 s0, s2, s1
	s_mov_b32 s2, 0
	v_cndmask_b32_e64 v11, v16, v17, s0
	s_mov_b32 s1, exec_lo
	ds_store_b32 v6, v11
	; wave barrier
	v_cmpx_lt_i32_e64 v13, v8
	s_cbranch_execz .LBB26_14
; %bb.11:
	v_lshlrev_b32_e32 v11, 2, v12
	v_lshlrev_b32_e32 v15, 2, v14
	s_delay_alu instid0(VALU_DEP_1)
	v_add3_u32 v11, v3, v11, v15
	.p2align	6
.LBB26_12:                              ; =>This Inner Loop Header: Depth=1
	v_sub_nc_u32_e32 v15, v8, v13
	s_delay_alu instid0(VALU_DEP_1) | instskip(NEXT) | instid1(VALU_DEP_1)
	v_lshrrev_b32_e32 v16, 31, v15
	v_add_nc_u32_e32 v15, v15, v16
	s_delay_alu instid0(VALU_DEP_1) | instskip(NEXT) | instid1(VALU_DEP_1)
	v_ashrrev_i32_e32 v15, 1, v15
	v_add_nc_u32_e32 v15, v15, v13
	s_delay_alu instid0(VALU_DEP_1) | instskip(SKIP_2) | instid1(VALU_DEP_3)
	v_not_b32_e32 v16, v15
	v_lshl_add_u32 v17, v15, 2, v7
	v_add_nc_u32_e32 v18, 1, v15
	v_lshl_add_u32 v16, v16, 2, v11
	ds_load_b32 v17, v17
	ds_load_b32 v16, v16
	s_waitcnt lgkmcnt(0)
	v_cmp_lt_i32_e64 s0, v16, v17
	s_delay_alu instid0(VALU_DEP_1) | instskip(SKIP_1) | instid1(VALU_DEP_1)
	v_cndmask_b32_e64 v8, v8, v15, s0
	v_cndmask_b32_e64 v13, v18, v13, s0
	v_cmp_ge_i32_e64 s0, v13, v8
	s_delay_alu instid0(VALU_DEP_1) | instskip(NEXT) | instid1(SALU_CYCLE_1)
	s_or_b32 s2, s0, s2
	s_and_not1_b32 exec_lo, exec_lo, s2
	s_cbranch_execnz .LBB26_12
; %bb.13:
	s_or_b32 exec_lo, exec_lo, s2
.LBB26_14:
	s_delay_alu instid0(SALU_CYCLE_1) | instskip(SKIP_3) | instid1(VALU_DEP_3)
	s_or_b32 exec_lo, exec_lo, s1
	v_add_nc_u32_e32 v8, v12, v14
	v_and_b32_e32 v11, 16, v5
	v_lshl_add_u32 v7, v13, 2, v7
	v_sub_nc_u32_e32 v14, v8, v13
	s_delay_alu instid0(VALU_DEP_3) | instskip(SKIP_1) | instid1(VALU_DEP_3)
	v_min_i32_e32 v8, v4, v11
	v_add_nc_u32_e32 v13, v13, v9
	v_lshl_add_u32 v11, v14, 2, v3
	s_delay_alu instid0(VALU_DEP_3) | instskip(NEXT) | instid1(VALU_DEP_3)
	v_add_nc_u32_e32 v15, 8, v8
	v_cmp_le_i32_e64 s0, v12, v13
	v_cmp_gt_i32_e64 s2, v10, v14
	ds_load_b32 v16, v7
	ds_load_b32 v17, v11
	v_lshl_add_u32 v10, v8, 2, v3
	v_min_i32_e32 v11, v4, v15
	v_and_b32_e32 v15, 15, v5
	; wave barrier
	s_delay_alu instid0(VALU_DEP_2) | instskip(NEXT) | instid1(VALU_DEP_2)
	v_add_nc_u32_e32 v7, 8, v11
	v_min_i32_e32 v9, v4, v15
	v_sub_nc_u32_e32 v12, v11, v8
	s_delay_alu instid0(VALU_DEP_3) | instskip(NEXT) | instid1(VALU_DEP_2)
	v_min_i32_e32 v7, v4, v7
	v_min_i32_e32 v12, v9, v12
	s_delay_alu instid0(VALU_DEP_2) | instskip(SKIP_2) | instid1(VALU_DEP_2)
	v_sub_nc_u32_e32 v15, v7, v11
	s_waitcnt lgkmcnt(0)
	v_cmp_lt_i32_e64 s1, v17, v16
	v_sub_nc_u32_e32 v13, v9, v15
	s_delay_alu instid0(VALU_DEP_2) | instskip(SKIP_1) | instid1(VALU_DEP_1)
	s_or_b32 s1, s0, s1
	v_cmp_ge_i32_e64 s0, v9, v15
	v_cndmask_b32_e64 v13, 0, v13, s0
	s_and_b32 s0, s2, s1
	s_mov_b32 s2, 0
	v_cndmask_b32_e64 v14, v16, v17, s0
	s_mov_b32 s1, exec_lo
	ds_store_b32 v6, v14
	; wave barrier
	v_cmpx_lt_i32_e64 v13, v12
	s_cbranch_execz .LBB26_18
; %bb.15:
	v_lshlrev_b32_e32 v14, 2, v11
	v_lshlrev_b32_e32 v15, 2, v9
	s_delay_alu instid0(VALU_DEP_1)
	v_add3_u32 v14, v3, v14, v15
	.p2align	6
.LBB26_16:                              ; =>This Inner Loop Header: Depth=1
	v_sub_nc_u32_e32 v15, v12, v13
	s_delay_alu instid0(VALU_DEP_1) | instskip(NEXT) | instid1(VALU_DEP_1)
	v_lshrrev_b32_e32 v16, 31, v15
	v_add_nc_u32_e32 v15, v15, v16
	s_delay_alu instid0(VALU_DEP_1) | instskip(NEXT) | instid1(VALU_DEP_1)
	v_ashrrev_i32_e32 v15, 1, v15
	v_add_nc_u32_e32 v15, v15, v13
	s_delay_alu instid0(VALU_DEP_1) | instskip(SKIP_2) | instid1(VALU_DEP_3)
	v_not_b32_e32 v16, v15
	v_lshl_add_u32 v17, v15, 2, v10
	v_add_nc_u32_e32 v18, 1, v15
	v_lshl_add_u32 v16, v16, 2, v14
	ds_load_b32 v17, v17
	ds_load_b32 v16, v16
	s_waitcnt lgkmcnt(0)
	v_cmp_lt_i32_e64 s0, v16, v17
	s_delay_alu instid0(VALU_DEP_1) | instskip(SKIP_1) | instid1(VALU_DEP_1)
	v_cndmask_b32_e64 v12, v12, v15, s0
	v_cndmask_b32_e64 v13, v18, v13, s0
	v_cmp_ge_i32_e64 s0, v13, v12
	s_delay_alu instid0(VALU_DEP_1) | instskip(NEXT) | instid1(SALU_CYCLE_1)
	s_or_b32 s2, s0, s2
	s_and_not1_b32 exec_lo, exec_lo, s2
	s_cbranch_execnz .LBB26_16
; %bb.17:
	s_or_b32 exec_lo, exec_lo, s2
.LBB26_18:
	s_delay_alu instid0(SALU_CYCLE_1) | instskip(SKIP_4) | instid1(VALU_DEP_3)
	s_or_b32 exec_lo, exec_lo, s1
	v_add_nc_u32_e32 v9, v11, v9
	v_lshl_add_u32 v10, v13, 2, v10
	v_add_nc_u32_e32 v8, v13, v8
	s_mov_b32 s3, 0
	v_sub_nc_u32_e32 v14, v9, v13
	v_min_i32_e32 v9, 0, v4
	s_delay_alu instid0(VALU_DEP_3) | instskip(NEXT) | instid1(VALU_DEP_3)
	v_cmp_le_i32_e64 s0, v11, v8
	v_lshl_add_u32 v12, v14, 2, v3
	s_delay_alu instid0(VALU_DEP_3)
	v_add_nc_u32_e32 v15, 16, v9
	v_cmp_gt_i32_e64 s2, v7, v14
	v_lshl_add_u32 v7, v9, 2, v3
	ds_load_b32 v16, v10
	ds_load_b32 v17, v12
	v_min_i32_e32 v12, v4, v15
	; wave barrier
	s_delay_alu instid0(VALU_DEP_1) | instskip(SKIP_1) | instid1(VALU_DEP_2)
	v_add_nc_u32_e32 v10, 16, v12
	v_sub_nc_u32_e32 v8, v12, v9
	v_min_i32_e32 v10, v4, v10
	v_min_i32_e32 v4, v4, v5
	s_delay_alu instid0(VALU_DEP_2) | instskip(NEXT) | instid1(VALU_DEP_2)
	v_sub_nc_u32_e32 v5, v10, v12
	v_min_i32_e32 v8, v4, v8
	s_waitcnt lgkmcnt(0)
	v_cmp_lt_i32_e64 s1, v17, v16
	s_delay_alu instid0(VALU_DEP_3) | instskip(NEXT) | instid1(VALU_DEP_2)
	v_sub_nc_u32_e32 v11, v4, v5
	s_or_b32 s1, s0, s1
	v_cmp_ge_i32_e64 s0, v4, v5
	s_delay_alu instid0(VALU_DEP_1)
	v_cndmask_b32_e64 v5, 0, v11, s0
	s_and_b32 s0, s2, s1
	s_mov_b32 s1, exec_lo
	v_cndmask_b32_e64 v11, v16, v17, s0
	ds_store_b32 v6, v11
	; wave barrier
	v_cmpx_lt_i32_e64 v5, v8
	s_cbranch_execnz .LBB26_21
; %bb.19:
	s_or_b32 exec_lo, exec_lo, s1
	s_and_saveexec_b32 s0, vcc_lo
	s_cbranch_execnz .LBB26_24
.LBB26_20:
	s_endpgm
.LBB26_21:
	v_lshlrev_b32_e32 v6, 2, v12
	v_lshlrev_b32_e32 v11, 2, v4
	s_delay_alu instid0(VALU_DEP_1)
	v_add3_u32 v6, v3, v6, v11
	.p2align	6
.LBB26_22:                              ; =>This Inner Loop Header: Depth=1
	v_sub_nc_u32_e32 v11, v8, v5
	s_delay_alu instid0(VALU_DEP_1) | instskip(NEXT) | instid1(VALU_DEP_1)
	v_lshrrev_b32_e32 v13, 31, v11
	v_add_nc_u32_e32 v11, v11, v13
	s_delay_alu instid0(VALU_DEP_1) | instskip(NEXT) | instid1(VALU_DEP_1)
	v_ashrrev_i32_e32 v11, 1, v11
	v_add_nc_u32_e32 v11, v11, v5
	s_delay_alu instid0(VALU_DEP_1) | instskip(SKIP_2) | instid1(VALU_DEP_3)
	v_not_b32_e32 v13, v11
	v_lshl_add_u32 v14, v11, 2, v7
	v_add_nc_u32_e32 v15, 1, v11
	v_lshl_add_u32 v13, v13, 2, v6
	ds_load_b32 v14, v14
	ds_load_b32 v13, v13
	s_waitcnt lgkmcnt(0)
	v_cmp_lt_i32_e64 s0, v13, v14
	s_delay_alu instid0(VALU_DEP_1) | instskip(SKIP_1) | instid1(VALU_DEP_1)
	v_cndmask_b32_e64 v8, v8, v11, s0
	v_cndmask_b32_e64 v5, v15, v5, s0
	v_cmp_ge_i32_e64 s0, v5, v8
	s_delay_alu instid0(VALU_DEP_1) | instskip(NEXT) | instid1(SALU_CYCLE_1)
	s_or_b32 s3, s0, s3
	s_and_not1_b32 exec_lo, exec_lo, s3
	s_cbranch_execnz .LBB26_22
; %bb.23:
	s_or_b32 exec_lo, exec_lo, s3
	s_delay_alu instid0(SALU_CYCLE_1)
	s_or_b32 exec_lo, exec_lo, s1
	s_and_saveexec_b32 s0, vcc_lo
	s_cbranch_execz .LBB26_20
.LBB26_24:
	v_add_nc_u32_e32 v4, v12, v4
	v_lshl_add_u32 v6, v5, 2, v7
	v_add_co_u32 v0, s1, s6, v0
	s_delay_alu instid0(VALU_DEP_1) | instskip(NEXT) | instid1(VALU_DEP_4)
	v_add_co_ci_u32_e64 v1, s1, s7, v1, s1
	v_sub_nc_u32_e32 v4, v4, v5
	s_delay_alu instid0(VALU_DEP_1) | instskip(SKIP_4) | instid1(VALU_DEP_1)
	v_lshl_add_u32 v3, v4, 2, v3
	v_cmp_gt_i32_e64 s1, v10, v4
	ds_load_b32 v3, v3
	ds_load_b32 v6, v6
	v_add_nc_u32_e32 v5, v5, v9
	v_cmp_le_i32_e32 vcc_lo, v12, v5
	s_waitcnt lgkmcnt(0)
	v_cmp_lt_i32_e64 s0, v3, v6
	s_delay_alu instid0(VALU_DEP_1)
	s_or_b32 s0, vcc_lo, s0
	v_add_co_u32 v0, vcc_lo, v0, v2
	v_add_co_ci_u32_e32 v1, vcc_lo, 0, v1, vcc_lo
	s_and_b32 vcc_lo, s1, s0
	v_cndmask_b32_e32 v2, v6, v3, vcc_lo
	global_store_b32 v[0:1], v2, off
	s_nop 0
	s_sendmsg sendmsg(MSG_DEALLOC_VGPRS)
	s_endpgm
	.section	.rodata,"a",@progbits
	.p2align	6, 0x0
	.amdhsa_kernel _Z19sort_keys_segmentedILj256ELj32ELj1EiN10test_utils4lessEEvPKT2_PS2_PKjT3_
		.amdhsa_group_segment_fixed_size 1056
		.amdhsa_private_segment_fixed_size 0
		.amdhsa_kernarg_size 28
		.amdhsa_user_sgpr_count 15
		.amdhsa_user_sgpr_dispatch_ptr 0
		.amdhsa_user_sgpr_queue_ptr 0
		.amdhsa_user_sgpr_kernarg_segment_ptr 1
		.amdhsa_user_sgpr_dispatch_id 0
		.amdhsa_user_sgpr_private_segment_size 0
		.amdhsa_wavefront_size32 1
		.amdhsa_uses_dynamic_stack 0
		.amdhsa_enable_private_segment 0
		.amdhsa_system_sgpr_workgroup_id_x 1
		.amdhsa_system_sgpr_workgroup_id_y 0
		.amdhsa_system_sgpr_workgroup_id_z 0
		.amdhsa_system_sgpr_workgroup_info 0
		.amdhsa_system_vgpr_workitem_id 0
		.amdhsa_next_free_vgpr 19
		.amdhsa_next_free_sgpr 16
		.amdhsa_reserve_vcc 1
		.amdhsa_float_round_mode_32 0
		.amdhsa_float_round_mode_16_64 0
		.amdhsa_float_denorm_mode_32 3
		.amdhsa_float_denorm_mode_16_64 3
		.amdhsa_dx10_clamp 1
		.amdhsa_ieee_mode 1
		.amdhsa_fp16_overflow 0
		.amdhsa_workgroup_processor_mode 1
		.amdhsa_memory_ordered 1
		.amdhsa_forward_progress 0
		.amdhsa_shared_vgpr_count 0
		.amdhsa_exception_fp_ieee_invalid_op 0
		.amdhsa_exception_fp_denorm_src 0
		.amdhsa_exception_fp_ieee_div_zero 0
		.amdhsa_exception_fp_ieee_overflow 0
		.amdhsa_exception_fp_ieee_underflow 0
		.amdhsa_exception_fp_ieee_inexact 0
		.amdhsa_exception_int_div_zero 0
	.end_amdhsa_kernel
	.section	.text._Z19sort_keys_segmentedILj256ELj32ELj1EiN10test_utils4lessEEvPKT2_PS2_PKjT3_,"axG",@progbits,_Z19sort_keys_segmentedILj256ELj32ELj1EiN10test_utils4lessEEvPKT2_PS2_PKjT3_,comdat
.Lfunc_end26:
	.size	_Z19sort_keys_segmentedILj256ELj32ELj1EiN10test_utils4lessEEvPKT2_PS2_PKjT3_, .Lfunc_end26-_Z19sort_keys_segmentedILj256ELj32ELj1EiN10test_utils4lessEEvPKT2_PS2_PKjT3_
                                        ; -- End function
	.section	.AMDGPU.csdata,"",@progbits
; Kernel info:
; codeLenInByte = 2128
; NumSgprs: 18
; NumVgprs: 19
; ScratchSize: 0
; MemoryBound: 0
; FloatMode: 240
; IeeeMode: 1
; LDSByteSize: 1056 bytes/workgroup (compile time only)
; SGPRBlocks: 2
; VGPRBlocks: 2
; NumSGPRsForWavesPerEU: 18
; NumVGPRsForWavesPerEU: 19
; Occupancy: 16
; WaveLimiterHint : 0
; COMPUTE_PGM_RSRC2:SCRATCH_EN: 0
; COMPUTE_PGM_RSRC2:USER_SGPR: 15
; COMPUTE_PGM_RSRC2:TRAP_HANDLER: 0
; COMPUTE_PGM_RSRC2:TGID_X_EN: 1
; COMPUTE_PGM_RSRC2:TGID_Y_EN: 0
; COMPUTE_PGM_RSRC2:TGID_Z_EN: 0
; COMPUTE_PGM_RSRC2:TIDIG_COMP_CNT: 0
	.section	.text._Z20sort_pairs_segmentedILj256ELj32ELj1EiN10test_utils4lessEEvPKT2_PS2_PKjT3_,"axG",@progbits,_Z20sort_pairs_segmentedILj256ELj32ELj1EiN10test_utils4lessEEvPKT2_PS2_PKjT3_,comdat
	.protected	_Z20sort_pairs_segmentedILj256ELj32ELj1EiN10test_utils4lessEEvPKT2_PS2_PKjT3_ ; -- Begin function _Z20sort_pairs_segmentedILj256ELj32ELj1EiN10test_utils4lessEEvPKT2_PS2_PKjT3_
	.globl	_Z20sort_pairs_segmentedILj256ELj32ELj1EiN10test_utils4lessEEvPKT2_PS2_PKjT3_
	.p2align	8
	.type	_Z20sort_pairs_segmentedILj256ELj32ELj1EiN10test_utils4lessEEvPKT2_PS2_PKjT3_,@function
_Z20sort_pairs_segmentedILj256ELj32ELj1EiN10test_utils4lessEEvPKT2_PS2_PKjT3_: ; @_Z20sort_pairs_segmentedILj256ELj32ELj1EiN10test_utils4lessEEvPKT2_PS2_PKjT3_
; %bb.0:
	s_clause 0x1
	s_load_b64 s[2:3], s[0:1], 0x10
	s_load_b128 s[4:7], s[0:1], 0x0
	v_lshrrev_b32_e32 v13, 5, v0
	v_mbcnt_lo_u32_b32 v6, -1, 0
                                        ; implicit-def: $vgpr7
	s_delay_alu instid0(VALU_DEP_2) | instskip(SKIP_1) | instid1(VALU_DEP_1)
	v_lshl_or_b32 v0, s15, 3, v13
	v_mov_b32_e32 v1, 0
	v_lshlrev_b64 v[2:3], 2, v[0:1]
	v_lshlrev_b32_e32 v0, 5, v0
	s_delay_alu instid0(VALU_DEP_1) | instskip(SKIP_1) | instid1(VALU_DEP_3)
	v_lshlrev_b64 v[0:1], 2, v[0:1]
	s_waitcnt lgkmcnt(0)
	v_add_co_u32 v2, vcc_lo, s2, v2
	s_delay_alu instid0(VALU_DEP_4)
	v_add_co_ci_u32_e32 v3, vcc_lo, s3, v3, vcc_lo
	global_load_b32 v5, v[2:3], off
	v_lshlrev_b32_e32 v2, 2, v6
	s_waitcnt vmcnt(0)
	v_cmp_lt_u32_e32 vcc_lo, v6, v5
	s_and_saveexec_b32 s1, vcc_lo
	s_cbranch_execz .LBB27_2
; %bb.1:
	v_add_co_u32 v3, s0, s4, v0
	s_delay_alu instid0(VALU_DEP_1) | instskip(NEXT) | instid1(VALU_DEP_2)
	v_add_co_ci_u32_e64 v4, s0, s5, v1, s0
	v_add_co_u32 v3, s0, v3, v2
	s_delay_alu instid0(VALU_DEP_1)
	v_add_co_ci_u32_e64 v4, s0, 0, v4, s0
	global_load_b32 v7, v[3:4], off
.LBB27_2:
	s_or_b32 exec_lo, exec_lo, s1
	v_and_b32_e32 v3, 30, v6
	v_and_b32_e32 v4, 1, v6
	s_mov_b32 s1, exec_lo
	; wave barrier
	s_delay_alu instid0(VALU_DEP_2) | instskip(NEXT) | instid1(VALU_DEP_2)
	v_min_i32_e32 v9, v5, v3
	v_min_i32_e32 v8, v5, v4
	s_delay_alu instid0(VALU_DEP_2) | instskip(SKIP_1) | instid1(VALU_DEP_2)
	v_add_nc_u32_e32 v3, 1, v9
	v_lshlrev_b32_e32 v15, 2, v9
	v_min_i32_e32 v10, v5, v3
	s_delay_alu instid0(VALU_DEP_1) | instskip(SKIP_1) | instid1(VALU_DEP_2)
	v_add_nc_u32_e32 v3, 1, v10
	v_sub_nc_u32_e32 v14, v10, v9
	v_min_i32_e32 v11, v5, v3
	s_delay_alu instid0(VALU_DEP_2) | instskip(NEXT) | instid1(VALU_DEP_2)
	v_min_i32_e32 v14, v8, v14
	v_sub_nc_u32_e32 v3, v11, v10
	s_delay_alu instid0(VALU_DEP_1) | instskip(SKIP_2) | instid1(VALU_DEP_2)
	v_sub_nc_u32_e32 v4, v8, v3
	v_cmp_ge_i32_e64 s0, v8, v3
	v_mul_u32_u24_e32 v3, 0x84, v13
	v_cndmask_b32_e64 v12, 0, v4, s0
	v_mad_u32_u24 v4, 0x84, v13, v2
	v_mad_u32_u24 v13, 0x84, v13, v15
	s_waitcnt vmcnt(0)
	ds_store_b32 v4, v7
	; wave barrier
	v_cmpx_lt_i32_e64 v12, v14
	s_cbranch_execz .LBB27_6
; %bb.3:
	v_lshlrev_b32_e32 v15, 2, v10
	v_lshlrev_b32_e32 v16, 2, v8
	s_mov_b32 s2, 0
	s_delay_alu instid0(VALU_DEP_1)
	v_add3_u32 v15, v3, v15, v16
	.p2align	6
.LBB27_4:                               ; =>This Inner Loop Header: Depth=1
	v_sub_nc_u32_e32 v16, v14, v12
	s_delay_alu instid0(VALU_DEP_1) | instskip(NEXT) | instid1(VALU_DEP_1)
	v_lshrrev_b32_e32 v17, 31, v16
	v_add_nc_u32_e32 v16, v16, v17
	s_delay_alu instid0(VALU_DEP_1) | instskip(NEXT) | instid1(VALU_DEP_1)
	v_ashrrev_i32_e32 v16, 1, v16
	v_add_nc_u32_e32 v16, v16, v12
	s_delay_alu instid0(VALU_DEP_1) | instskip(SKIP_2) | instid1(VALU_DEP_3)
	v_not_b32_e32 v17, v16
	v_lshl_add_u32 v18, v16, 2, v13
	v_add_nc_u32_e32 v19, 1, v16
	v_lshl_add_u32 v17, v17, 2, v15
	ds_load_b32 v18, v18
	ds_load_b32 v17, v17
	s_waitcnt lgkmcnt(0)
	v_cmp_lt_i32_e64 s0, v17, v18
	s_delay_alu instid0(VALU_DEP_1) | instskip(SKIP_1) | instid1(VALU_DEP_1)
	v_cndmask_b32_e64 v14, v14, v16, s0
	v_cndmask_b32_e64 v12, v19, v12, s0
	v_cmp_ge_i32_e64 s0, v12, v14
	s_delay_alu instid0(VALU_DEP_1) | instskip(NEXT) | instid1(SALU_CYCLE_1)
	s_or_b32 s2, s0, s2
	s_and_not1_b32 exec_lo, exec_lo, s2
	s_cbranch_execnz .LBB27_4
; %bb.5:
	s_or_b32 exec_lo, exec_lo, s2
.LBB27_6:
	s_delay_alu instid0(SALU_CYCLE_1) | instskip(SKIP_2) | instid1(VALU_DEP_2)
	s_or_b32 exec_lo, exec_lo, s1
	v_add_nc_u32_e32 v8, v10, v8
	v_add_nc_u32_e32 v7, 1, v7
	v_sub_nc_u32_e32 v14, v8, v12
	v_lshl_add_u32 v8, v12, 2, v13
	v_add_nc_u32_e32 v12, v12, v9
	s_delay_alu instid0(VALU_DEP_3) | instskip(SKIP_1) | instid1(VALU_DEP_3)
	v_lshl_add_u32 v13, v14, 2, v3
	v_cmp_gt_i32_e64 s2, v11, v14
	v_cmp_le_i32_e64 s0, v10, v12
	ds_load_b32 v15, v8
	ds_load_b32 v13, v13
	v_and_b32_e32 v8, 28, v6
	; wave barrier
	ds_store_b32 v4, v7
	v_and_b32_e32 v7, 3, v6
	v_min_i32_e32 v8, v5, v8
	; wave barrier
	s_delay_alu instid0(VALU_DEP_2) | instskip(NEXT) | instid1(VALU_DEP_2)
	v_min_i32_e32 v7, v5, v7
	v_add_nc_u32_e32 v9, 2, v8
	s_delay_alu instid0(VALU_DEP_1) | instskip(SKIP_2) | instid1(VALU_DEP_2)
	v_min_i32_e32 v9, v5, v9
	s_waitcnt lgkmcnt(1)
	v_cmp_lt_i32_e64 s1, v13, v15
	v_add_nc_u32_e32 v10, 2, v9
	s_delay_alu instid0(VALU_DEP_2) | instskip(NEXT) | instid1(VALU_DEP_1)
	s_or_b32 s0, s0, s1
	v_min_i32_e32 v11, v5, v10
	s_and_b32 s0, s2, s0
	s_mov_b32 s2, 0
	v_cndmask_b32_e64 v12, v12, v14, s0
	v_cndmask_b32_e64 v15, v15, v13, s0
	v_sub_nc_u32_e32 v14, v9, v8
	s_mov_b32 s1, exec_lo
	s_delay_alu instid0(VALU_DEP_3) | instskip(SKIP_1) | instid1(VALU_DEP_3)
	v_lshl_add_u32 v10, v12, 2, v3
	v_sub_nc_u32_e32 v12, v11, v9
	v_min_i32_e32 v14, v7, v14
	ds_load_b32 v10, v10
	v_sub_nc_u32_e32 v13, v7, v12
	v_cmp_ge_i32_e64 s0, v7, v12
	; wave barrier
	ds_store_b32 v4, v15
	v_cndmask_b32_e64 v12, 0, v13, s0
	v_lshl_add_u32 v13, v8, 2, v3
	; wave barrier
	s_delay_alu instid0(VALU_DEP_2)
	v_cmpx_lt_i32_e64 v12, v14
	s_cbranch_execz .LBB27_10
; %bb.7:
	v_lshlrev_b32_e32 v15, 2, v9
	v_lshlrev_b32_e32 v16, 2, v7
	s_delay_alu instid0(VALU_DEP_1)
	v_add3_u32 v15, v3, v15, v16
	.p2align	6
.LBB27_8:                               ; =>This Inner Loop Header: Depth=1
	v_sub_nc_u32_e32 v16, v14, v12
	s_delay_alu instid0(VALU_DEP_1) | instskip(NEXT) | instid1(VALU_DEP_1)
	v_lshrrev_b32_e32 v17, 31, v16
	v_add_nc_u32_e32 v16, v16, v17
	s_delay_alu instid0(VALU_DEP_1) | instskip(NEXT) | instid1(VALU_DEP_1)
	v_ashrrev_i32_e32 v16, 1, v16
	v_add_nc_u32_e32 v16, v16, v12
	s_delay_alu instid0(VALU_DEP_1) | instskip(SKIP_2) | instid1(VALU_DEP_3)
	v_not_b32_e32 v17, v16
	v_lshl_add_u32 v18, v16, 2, v13
	v_add_nc_u32_e32 v19, 1, v16
	v_lshl_add_u32 v17, v17, 2, v15
	ds_load_b32 v18, v18
	ds_load_b32 v17, v17
	s_waitcnt lgkmcnt(0)
	v_cmp_lt_i32_e64 s0, v17, v18
	s_delay_alu instid0(VALU_DEP_1) | instskip(SKIP_1) | instid1(VALU_DEP_1)
	v_cndmask_b32_e64 v14, v14, v16, s0
	v_cndmask_b32_e64 v12, v19, v12, s0
	v_cmp_ge_i32_e64 s0, v12, v14
	s_delay_alu instid0(VALU_DEP_1) | instskip(NEXT) | instid1(SALU_CYCLE_1)
	s_or_b32 s2, s0, s2
	s_and_not1_b32 exec_lo, exec_lo, s2
	s_cbranch_execnz .LBB27_8
; %bb.9:
	s_or_b32 exec_lo, exec_lo, s2
.LBB27_10:
	s_delay_alu instid0(SALU_CYCLE_1) | instskip(SKIP_1) | instid1(VALU_DEP_1)
	s_or_b32 exec_lo, exec_lo, s1
	v_add_nc_u32_e32 v7, v9, v7
	v_sub_nc_u32_e32 v14, v7, v12
	v_lshl_add_u32 v7, v12, 2, v13
	v_add_nc_u32_e32 v12, v12, v8
	s_delay_alu instid0(VALU_DEP_3) | instskip(SKIP_1) | instid1(VALU_DEP_3)
	v_lshl_add_u32 v13, v14, 2, v3
	v_cmp_gt_i32_e64 s2, v11, v14
	v_cmp_le_i32_e64 s0, v9, v12
	ds_load_b32 v15, v7
	ds_load_b32 v13, v13
	v_and_b32_e32 v7, 24, v6
	; wave barrier
	s_waitcnt lgkmcnt(3)
	ds_store_b32 v4, v10
	v_min_i32_e32 v7, v5, v7
	; wave barrier
	s_delay_alu instid0(VALU_DEP_1) | instskip(NEXT) | instid1(VALU_DEP_1)
	v_add_nc_u32_e32 v8, 4, v7
	v_min_i32_e32 v8, v5, v8
	s_waitcnt lgkmcnt(1)
	v_cmp_lt_i32_e64 s1, v13, v15
	s_delay_alu instid0(VALU_DEP_2) | instskip(NEXT) | instid1(VALU_DEP_2)
	v_add_nc_u32_e32 v9, 4, v8
	s_or_b32 s0, s0, s1
	s_delay_alu instid0(VALU_DEP_1)
	v_min_i32_e32 v10, v5, v9
	s_and_b32 s0, s2, s0
	s_mov_b32 s2, 0
	v_cndmask_b32_e64 v11, v12, v14, s0
	v_and_b32_e32 v12, 7, v6
	v_cndmask_b32_e64 v15, v15, v13, s0
	v_sub_nc_u32_e32 v14, v8, v7
	s_mov_b32 s1, exec_lo
	v_lshl_add_u32 v9, v11, 2, v3
	v_min_i32_e32 v11, v5, v12
	v_sub_nc_u32_e32 v12, v10, v8
	ds_load_b32 v9, v9
	v_min_i32_e32 v14, v11, v14
	v_sub_nc_u32_e32 v13, v11, v12
	v_cmp_ge_i32_e64 s0, v11, v12
	; wave barrier
	ds_store_b32 v4, v15
	v_cndmask_b32_e64 v12, 0, v13, s0
	v_lshl_add_u32 v13, v7, 2, v3
	; wave barrier
	s_delay_alu instid0(VALU_DEP_2)
	v_cmpx_lt_i32_e64 v12, v14
	s_cbranch_execz .LBB27_14
; %bb.11:
	v_lshlrev_b32_e32 v15, 2, v8
	v_lshlrev_b32_e32 v16, 2, v11
	s_delay_alu instid0(VALU_DEP_1)
	v_add3_u32 v15, v3, v15, v16
	.p2align	6
.LBB27_12:                              ; =>This Inner Loop Header: Depth=1
	v_sub_nc_u32_e32 v16, v14, v12
	s_delay_alu instid0(VALU_DEP_1) | instskip(NEXT) | instid1(VALU_DEP_1)
	v_lshrrev_b32_e32 v17, 31, v16
	v_add_nc_u32_e32 v16, v16, v17
	s_delay_alu instid0(VALU_DEP_1) | instskip(NEXT) | instid1(VALU_DEP_1)
	v_ashrrev_i32_e32 v16, 1, v16
	v_add_nc_u32_e32 v16, v16, v12
	s_delay_alu instid0(VALU_DEP_1) | instskip(SKIP_2) | instid1(VALU_DEP_3)
	v_not_b32_e32 v17, v16
	v_lshl_add_u32 v18, v16, 2, v13
	v_add_nc_u32_e32 v19, 1, v16
	v_lshl_add_u32 v17, v17, 2, v15
	ds_load_b32 v18, v18
	ds_load_b32 v17, v17
	s_waitcnt lgkmcnt(0)
	v_cmp_lt_i32_e64 s0, v17, v18
	s_delay_alu instid0(VALU_DEP_1) | instskip(SKIP_1) | instid1(VALU_DEP_1)
	v_cndmask_b32_e64 v14, v14, v16, s0
	v_cndmask_b32_e64 v12, v19, v12, s0
	v_cmp_ge_i32_e64 s0, v12, v14
	s_delay_alu instid0(VALU_DEP_1) | instskip(NEXT) | instid1(SALU_CYCLE_1)
	s_or_b32 s2, s0, s2
	s_and_not1_b32 exec_lo, exec_lo, s2
	s_cbranch_execnz .LBB27_12
; %bb.13:
	s_or_b32 exec_lo, exec_lo, s2
.LBB27_14:
	s_delay_alu instid0(SALU_CYCLE_1) | instskip(SKIP_1) | instid1(VALU_DEP_1)
	s_or_b32 exec_lo, exec_lo, s1
	v_add_nc_u32_e32 v11, v8, v11
	v_sub_nc_u32_e32 v14, v11, v12
	v_lshl_add_u32 v11, v12, 2, v13
	v_add_nc_u32_e32 v12, v12, v7
	s_delay_alu instid0(VALU_DEP_3) | instskip(SKIP_1) | instid1(VALU_DEP_3)
	v_lshl_add_u32 v13, v14, 2, v3
	v_cmp_gt_i32_e64 s2, v10, v14
	v_cmp_le_i32_e64 s0, v8, v12
	ds_load_b32 v15, v11
	ds_load_b32 v13, v13
	v_and_b32_e32 v11, 16, v6
	; wave barrier
	s_waitcnt lgkmcnt(3)
	ds_store_b32 v4, v9
	v_min_i32_e32 v11, v5, v11
	; wave barrier
	s_delay_alu instid0(VALU_DEP_1) | instskip(NEXT) | instid1(VALU_DEP_1)
	v_add_nc_u32_e32 v7, 8, v11
	v_min_i32_e32 v7, v5, v7
	s_waitcnt lgkmcnt(1)
	v_cmp_lt_i32_e64 s1, v13, v15
	s_delay_alu instid0(VALU_DEP_2) | instskip(NEXT) | instid1(VALU_DEP_2)
	v_add_nc_u32_e32 v8, 8, v7
	s_or_b32 s0, s0, s1
	s_delay_alu instid0(VALU_DEP_1)
	v_min_i32_e32 v9, v5, v8
	s_and_b32 s0, s2, s0
	s_mov_b32 s2, 0
	v_cndmask_b32_e64 v10, v12, v14, s0
	v_and_b32_e32 v12, 15, v6
	v_cndmask_b32_e64 v15, v15, v13, s0
	v_sub_nc_u32_e32 v14, v7, v11
	s_mov_b32 s1, exec_lo
	v_lshl_add_u32 v8, v10, 2, v3
	v_min_i32_e32 v10, v5, v12
	v_sub_nc_u32_e32 v12, v9, v7
	ds_load_b32 v8, v8
	v_min_i32_e32 v14, v10, v14
	v_sub_nc_u32_e32 v13, v10, v12
	v_cmp_ge_i32_e64 s0, v10, v12
	; wave barrier
	ds_store_b32 v4, v15
	v_cndmask_b32_e64 v12, 0, v13, s0
	v_lshl_add_u32 v13, v11, 2, v3
	; wave barrier
	s_delay_alu instid0(VALU_DEP_2)
	v_cmpx_lt_i32_e64 v12, v14
	s_cbranch_execz .LBB27_18
; %bb.15:
	v_lshlrev_b32_e32 v15, 2, v7
	v_lshlrev_b32_e32 v16, 2, v10
	s_delay_alu instid0(VALU_DEP_1)
	v_add3_u32 v15, v3, v15, v16
	.p2align	6
.LBB27_16:                              ; =>This Inner Loop Header: Depth=1
	v_sub_nc_u32_e32 v16, v14, v12
	s_delay_alu instid0(VALU_DEP_1) | instskip(NEXT) | instid1(VALU_DEP_1)
	v_lshrrev_b32_e32 v17, 31, v16
	v_add_nc_u32_e32 v16, v16, v17
	s_delay_alu instid0(VALU_DEP_1) | instskip(NEXT) | instid1(VALU_DEP_1)
	v_ashrrev_i32_e32 v16, 1, v16
	v_add_nc_u32_e32 v16, v16, v12
	s_delay_alu instid0(VALU_DEP_1) | instskip(SKIP_2) | instid1(VALU_DEP_3)
	v_not_b32_e32 v17, v16
	v_lshl_add_u32 v18, v16, 2, v13
	v_add_nc_u32_e32 v19, 1, v16
	v_lshl_add_u32 v17, v17, 2, v15
	ds_load_b32 v18, v18
	ds_load_b32 v17, v17
	s_waitcnt lgkmcnt(0)
	v_cmp_lt_i32_e64 s0, v17, v18
	s_delay_alu instid0(VALU_DEP_1) | instskip(SKIP_1) | instid1(VALU_DEP_1)
	v_cndmask_b32_e64 v14, v14, v16, s0
	v_cndmask_b32_e64 v12, v19, v12, s0
	v_cmp_ge_i32_e64 s0, v12, v14
	s_delay_alu instid0(VALU_DEP_1) | instskip(NEXT) | instid1(SALU_CYCLE_1)
	s_or_b32 s2, s0, s2
	s_and_not1_b32 exec_lo, exec_lo, s2
	s_cbranch_execnz .LBB27_16
; %bb.17:
	s_or_b32 exec_lo, exec_lo, s2
.LBB27_18:
	s_delay_alu instid0(SALU_CYCLE_1) | instskip(SKIP_2) | instid1(VALU_DEP_2)
	s_or_b32 exec_lo, exec_lo, s1
	v_add_nc_u32_e32 v10, v7, v10
	v_add_nc_u32_e32 v11, v12, v11
	v_sub_nc_u32_e32 v14, v10, v12
	v_lshl_add_u32 v10, v12, 2, v13
	s_delay_alu instid0(VALU_DEP_3) | instskip(NEXT) | instid1(VALU_DEP_3)
	v_cmp_le_i32_e64 s0, v7, v11
	v_lshl_add_u32 v13, v14, 2, v3
	v_cmp_gt_i32_e64 s2, v9, v14
	ds_load_b32 v15, v10
	ds_load_b32 v13, v13
	v_min_i32_e32 v10, 0, v5
	; wave barrier
	s_waitcnt lgkmcnt(3)
	ds_store_b32 v4, v8
	v_add_nc_u32_e32 v7, 16, v10
	; wave barrier
	s_delay_alu instid0(VALU_DEP_1) | instskip(NEXT) | instid1(VALU_DEP_1)
	v_min_i32_e32 v7, v5, v7
	v_add_nc_u32_e32 v9, 16, v7
	v_sub_nc_u32_e32 v12, v7, v10
	s_waitcnt lgkmcnt(1)
	v_cmp_lt_i32_e64 s1, v13, v15
	s_delay_alu instid0(VALU_DEP_3) | instskip(SKIP_1) | instid1(VALU_DEP_3)
	v_min_i32_e32 v8, v5, v9
	v_min_i32_e32 v9, v5, v6
	s_or_b32 s0, s0, s1
	s_delay_alu instid0(VALU_DEP_2) | instskip(SKIP_1) | instid1(VALU_DEP_2)
	v_sub_nc_u32_e32 v5, v8, v7
	s_and_b32 s0, s2, s0
	v_min_i32_e32 v12, v9, v12
	v_cndmask_b32_e64 v11, v11, v14, s0
	v_cndmask_b32_e64 v13, v15, v13, s0
	v_cmp_ge_i32_e64 s0, v9, v5
	s_mov_b32 s2, 0
	s_mov_b32 s1, exec_lo
	v_lshl_add_u32 v11, v11, 2, v3
	ds_load_b32 v6, v11
	v_sub_nc_u32_e32 v11, v9, v5
	; wave barrier
	ds_store_b32 v4, v13
	v_cndmask_b32_e64 v5, 0, v11, s0
	v_lshl_add_u32 v11, v10, 2, v3
	; wave barrier
	s_delay_alu instid0(VALU_DEP_2)
	v_cmpx_lt_i32_e64 v5, v12
	s_cbranch_execz .LBB27_22
; %bb.19:
	v_lshlrev_b32_e32 v13, 2, v7
	v_lshlrev_b32_e32 v14, 2, v9
	s_delay_alu instid0(VALU_DEP_1)
	v_add3_u32 v13, v3, v13, v14
	.p2align	6
.LBB27_20:                              ; =>This Inner Loop Header: Depth=1
	v_sub_nc_u32_e32 v14, v12, v5
	s_delay_alu instid0(VALU_DEP_1) | instskip(NEXT) | instid1(VALU_DEP_1)
	v_lshrrev_b32_e32 v15, 31, v14
	v_add_nc_u32_e32 v14, v14, v15
	s_delay_alu instid0(VALU_DEP_1) | instskip(NEXT) | instid1(VALU_DEP_1)
	v_ashrrev_i32_e32 v14, 1, v14
	v_add_nc_u32_e32 v14, v14, v5
	s_delay_alu instid0(VALU_DEP_1) | instskip(SKIP_2) | instid1(VALU_DEP_3)
	v_not_b32_e32 v15, v14
	v_lshl_add_u32 v16, v14, 2, v11
	v_add_nc_u32_e32 v17, 1, v14
	v_lshl_add_u32 v15, v15, 2, v13
	ds_load_b32 v16, v16
	ds_load_b32 v15, v15
	s_waitcnt lgkmcnt(0)
	v_cmp_lt_i32_e64 s0, v15, v16
	s_delay_alu instid0(VALU_DEP_1) | instskip(SKIP_1) | instid1(VALU_DEP_1)
	v_cndmask_b32_e64 v12, v12, v14, s0
	v_cndmask_b32_e64 v5, v17, v5, s0
	v_cmp_ge_i32_e64 s0, v5, v12
	s_delay_alu instid0(VALU_DEP_1) | instskip(NEXT) | instid1(SALU_CYCLE_1)
	s_or_b32 s2, s0, s2
	s_and_not1_b32 exec_lo, exec_lo, s2
	s_cbranch_execnz .LBB27_20
; %bb.21:
	s_or_b32 exec_lo, exec_lo, s2
.LBB27_22:
	s_delay_alu instid0(SALU_CYCLE_1) | instskip(SKIP_2) | instid1(VALU_DEP_2)
	s_or_b32 exec_lo, exec_lo, s1
	v_add_nc_u32_e32 v9, v7, v9
	v_lshl_add_u32 v11, v5, 2, v11
	v_sub_nc_u32_e32 v9, v9, v5
	s_delay_alu instid0(VALU_DEP_1)
	v_lshl_add_u32 v12, v9, 2, v3
	ds_load_b32 v11, v11
	ds_load_b32 v12, v12
	; wave barrier
	s_waitcnt lgkmcnt(3)
	ds_store_b32 v4, v6
	; wave barrier
	s_and_saveexec_b32 s0, vcc_lo
	s_cbranch_execz .LBB27_24
; %bb.23:
	v_add_nc_u32_e32 v4, v5, v10
	s_waitcnt lgkmcnt(1)
	v_cmp_lt_i32_e64 s0, v12, v11
	v_cmp_gt_i32_e64 s1, v8, v9
	s_delay_alu instid0(VALU_DEP_3) | instskip(NEXT) | instid1(VALU_DEP_3)
	v_cmp_le_i32_e32 vcc_lo, v7, v4
	s_or_b32 s0, vcc_lo, s0
	s_delay_alu instid0(VALU_DEP_2) | instid1(SALU_CYCLE_1)
	s_and_b32 vcc_lo, s1, s0
	v_dual_cndmask_b32 v5, v11, v12 :: v_dual_cndmask_b32 v4, v4, v9
	v_add_co_u32 v0, vcc_lo, s6, v0
	v_add_co_ci_u32_e32 v1, vcc_lo, s7, v1, vcc_lo
	s_delay_alu instid0(VALU_DEP_3) | instskip(NEXT) | instid1(VALU_DEP_3)
	v_lshl_add_u32 v3, v4, 2, v3
	v_add_co_u32 v0, vcc_lo, v0, v2
	s_delay_alu instid0(VALU_DEP_3)
	v_add_co_ci_u32_e32 v1, vcc_lo, 0, v1, vcc_lo
	ds_load_b32 v3, v3
	s_waitcnt lgkmcnt(0)
	v_add_nc_u32_e32 v2, v3, v5
	global_store_b32 v[0:1], v2, off
.LBB27_24:
	s_nop 0
	s_sendmsg sendmsg(MSG_DEALLOC_VGPRS)
	s_endpgm
	.section	.rodata,"a",@progbits
	.p2align	6, 0x0
	.amdhsa_kernel _Z20sort_pairs_segmentedILj256ELj32ELj1EiN10test_utils4lessEEvPKT2_PS2_PKjT3_
		.amdhsa_group_segment_fixed_size 1056
		.amdhsa_private_segment_fixed_size 0
		.amdhsa_kernarg_size 28
		.amdhsa_user_sgpr_count 15
		.amdhsa_user_sgpr_dispatch_ptr 0
		.amdhsa_user_sgpr_queue_ptr 0
		.amdhsa_user_sgpr_kernarg_segment_ptr 1
		.amdhsa_user_sgpr_dispatch_id 0
		.amdhsa_user_sgpr_private_segment_size 0
		.amdhsa_wavefront_size32 1
		.amdhsa_uses_dynamic_stack 0
		.amdhsa_enable_private_segment 0
		.amdhsa_system_sgpr_workgroup_id_x 1
		.amdhsa_system_sgpr_workgroup_id_y 0
		.amdhsa_system_sgpr_workgroup_id_z 0
		.amdhsa_system_sgpr_workgroup_info 0
		.amdhsa_system_vgpr_workitem_id 0
		.amdhsa_next_free_vgpr 20
		.amdhsa_next_free_sgpr 16
		.amdhsa_reserve_vcc 1
		.amdhsa_float_round_mode_32 0
		.amdhsa_float_round_mode_16_64 0
		.amdhsa_float_denorm_mode_32 3
		.amdhsa_float_denorm_mode_16_64 3
		.amdhsa_dx10_clamp 1
		.amdhsa_ieee_mode 1
		.amdhsa_fp16_overflow 0
		.amdhsa_workgroup_processor_mode 1
		.amdhsa_memory_ordered 1
		.amdhsa_forward_progress 0
		.amdhsa_shared_vgpr_count 0
		.amdhsa_exception_fp_ieee_invalid_op 0
		.amdhsa_exception_fp_denorm_src 0
		.amdhsa_exception_fp_ieee_div_zero 0
		.amdhsa_exception_fp_ieee_overflow 0
		.amdhsa_exception_fp_ieee_underflow 0
		.amdhsa_exception_fp_ieee_inexact 0
		.amdhsa_exception_int_div_zero 0
	.end_amdhsa_kernel
	.section	.text._Z20sort_pairs_segmentedILj256ELj32ELj1EiN10test_utils4lessEEvPKT2_PS2_PKjT3_,"axG",@progbits,_Z20sort_pairs_segmentedILj256ELj32ELj1EiN10test_utils4lessEEvPKT2_PS2_PKjT3_,comdat
.Lfunc_end27:
	.size	_Z20sort_pairs_segmentedILj256ELj32ELj1EiN10test_utils4lessEEvPKT2_PS2_PKjT3_, .Lfunc_end27-_Z20sort_pairs_segmentedILj256ELj32ELj1EiN10test_utils4lessEEvPKT2_PS2_PKjT3_
                                        ; -- End function
	.section	.AMDGPU.csdata,"",@progbits
; Kernel info:
; codeLenInByte = 2288
; NumSgprs: 18
; NumVgprs: 20
; ScratchSize: 0
; MemoryBound: 0
; FloatMode: 240
; IeeeMode: 1
; LDSByteSize: 1056 bytes/workgroup (compile time only)
; SGPRBlocks: 2
; VGPRBlocks: 2
; NumSGPRsForWavesPerEU: 18
; NumVGPRsForWavesPerEU: 20
; Occupancy: 16
; WaveLimiterHint : 0
; COMPUTE_PGM_RSRC2:SCRATCH_EN: 0
; COMPUTE_PGM_RSRC2:USER_SGPR: 15
; COMPUTE_PGM_RSRC2:TRAP_HANDLER: 0
; COMPUTE_PGM_RSRC2:TGID_X_EN: 1
; COMPUTE_PGM_RSRC2:TGID_Y_EN: 0
; COMPUTE_PGM_RSRC2:TGID_Z_EN: 0
; COMPUTE_PGM_RSRC2:TIDIG_COMP_CNT: 0
	.section	.text._Z9sort_keysILj256ELj32ELj4EiN10test_utils4lessEEvPKT2_PS2_T3_,"axG",@progbits,_Z9sort_keysILj256ELj32ELj4EiN10test_utils4lessEEvPKT2_PS2_T3_,comdat
	.protected	_Z9sort_keysILj256ELj32ELj4EiN10test_utils4lessEEvPKT2_PS2_T3_ ; -- Begin function _Z9sort_keysILj256ELj32ELj4EiN10test_utils4lessEEvPKT2_PS2_T3_
	.globl	_Z9sort_keysILj256ELj32ELj4EiN10test_utils4lessEEvPKT2_PS2_T3_
	.p2align	8
	.type	_Z9sort_keysILj256ELj32ELj4EiN10test_utils4lessEEvPKT2_PS2_T3_,@function
_Z9sort_keysILj256ELj32ELj4EiN10test_utils4lessEEvPKT2_PS2_T3_: ; @_Z9sort_keysILj256ELj32ELj4EiN10test_utils4lessEEvPKT2_PS2_T3_
; %bb.0:
	s_load_b128 s[4:7], s[0:1], 0x0
	s_mov_b32 s3, 0
	s_lshl_b32 s2, s15, 10
	v_lshlrev_b32_e32 v1, 4, v0
	s_lshl_b64 s[8:9], s[2:3], 2
	v_lshrrev_b32_e32 v12, 5, v0
	s_waitcnt lgkmcnt(0)
	s_add_u32 s0, s4, s8
	s_addc_u32 s1, s5, s9
	global_load_b128 v[8:11], v1, s[0:1]
	v_mbcnt_lo_u32_b32 v1, -1, 0
	; wave barrier
	s_waitcnt vmcnt(0)
	v_cmp_lt_i32_e32 vcc_lo, v9, v8
	v_min_i32_e32 v16, v9, v8
	v_max_i32_e32 v17, v9, v8
	v_cmp_lt_i32_e64 s0, v11, v10
	v_min_i32_e32 v18, v11, v10
	v_max_i32_e32 v20, v11, v10
	v_dual_cndmask_b32 v15, v8, v9 :: v_dual_lshlrev_b32 v4, 2, v0
	s_delay_alu instid0(VALU_DEP_4)
	v_cndmask_b32_e64 v19, v11, v10, s0
	v_cndmask_b32_e32 v8, v9, v8, vcc_lo
	v_cndmask_b32_e64 v9, v10, v11, s0
	v_max_i32_e32 v10, v18, v17
	v_cmp_lt_i32_e32 vcc_lo, v18, v17
	v_min_i32_e32 v11, v18, v17
	v_cmp_lt_i32_e64 s0, v18, v16
	v_cmp_gt_i32_e64 s1, v17, v20
	v_mul_u32_u24_e32 v0, 0x204, v12
	v_dual_cndmask_b32 v9, v9, v17 :: v_dual_cndmask_b32 v8, v8, v18
	s_delay_alu instid0(VALU_DEP_4)
	v_cndmask_b32_e64 v15, v15, v11, s0
	v_cndmask_b32_e64 v11, v11, v16, s0
	;; [unrolled: 1-line block ×6, first 2 shown]
	s_delay_alu instid0(VALU_DEP_4) | instskip(SKIP_2) | instid1(VALU_DEP_2)
	v_cmp_lt_i32_e32 vcc_lo, v18, v11
	v_lshlrev_b32_e32 v2, 2, v1
	v_lshlrev_b32_e32 v1, 4, v1
	v_dual_cndmask_b32 v11, v16, v11 :: v_dual_and_b32 v6, 0x78, v2
	v_and_b32_e32 v7, 4, v2
	s_delay_alu instid0(VALU_DEP_2) | instskip(SKIP_2) | instid1(VALU_DEP_3)
	v_or_b32_e32 v5, 4, v6
	v_add_nc_u32_e32 v3, 8, v6
	v_lshlrev_b32_e32 v13, 2, v6
	v_sub_nc_u32_e32 v10, v5, v6
	s_delay_alu instid0(VALU_DEP_3) | instskip(NEXT) | instid1(VALU_DEP_2)
	v_sub_nc_u32_e32 v14, v3, v5
	v_min_i32_e32 v9, v7, v10
	s_delay_alu instid0(VALU_DEP_2)
	v_sub_nc_u32_e32 v19, v7, v14
	v_cmp_ge_i32_e64 s0, v7, v14
	v_cndmask_b32_e32 v14, v8, v18, vcc_lo
	v_mad_u32_u24 v1, 0x204, v12, v1
	v_mad_u32_u24 v8, 0x204, v12, v13
	ds_store_2addr_b32 v1, v15, v14 offset1:1
	ds_store_2addr_b32 v1, v11, v17 offset0:2 offset1:3
	v_cndmask_b32_e64 v10, 0, v19, s0
	s_mov_b32 s0, exec_lo
	; wave barrier
	s_delay_alu instid0(VALU_DEP_1)
	v_cmpx_lt_i32_e64 v10, v9
	s_cbranch_execz .LBB28_4
; %bb.1:
	v_lshlrev_b32_e32 v11, 2, v5
	v_lshlrev_b32_e32 v12, 2, v7
	s_delay_alu instid0(VALU_DEP_1)
	v_add3_u32 v11, v0, v11, v12
	.p2align	6
.LBB28_2:                               ; =>This Inner Loop Header: Depth=1
	v_sub_nc_u32_e32 v12, v9, v10
	s_delay_alu instid0(VALU_DEP_1) | instskip(NEXT) | instid1(VALU_DEP_1)
	v_lshrrev_b32_e32 v13, 31, v12
	v_add_nc_u32_e32 v12, v12, v13
	s_delay_alu instid0(VALU_DEP_1) | instskip(NEXT) | instid1(VALU_DEP_1)
	v_ashrrev_i32_e32 v12, 1, v12
	v_add_nc_u32_e32 v12, v12, v10
	s_delay_alu instid0(VALU_DEP_1) | instskip(SKIP_2) | instid1(VALU_DEP_3)
	v_not_b32_e32 v13, v12
	v_lshl_add_u32 v14, v12, 2, v8
	v_add_nc_u32_e32 v15, 1, v12
	v_lshl_add_u32 v13, v13, 2, v11
	ds_load_b32 v14, v14
	ds_load_b32 v13, v13
	s_waitcnt lgkmcnt(0)
	v_cmp_lt_i32_e32 vcc_lo, v13, v14
	v_dual_cndmask_b32 v9, v9, v12 :: v_dual_cndmask_b32 v10, v15, v10
	s_delay_alu instid0(VALU_DEP_1) | instskip(SKIP_1) | instid1(SALU_CYCLE_1)
	v_cmp_ge_i32_e32 vcc_lo, v10, v9
	s_or_b32 s3, vcc_lo, s3
	s_and_not1_b32 exec_lo, exec_lo, s3
	s_cbranch_execnz .LBB28_2
; %bb.3:
	s_or_b32 exec_lo, exec_lo, s3
.LBB28_4:
	s_delay_alu instid0(SALU_CYCLE_1) | instskip(SKIP_3) | instid1(VALU_DEP_3)
	s_or_b32 exec_lo, exec_lo, s0
	v_add_nc_u32_e32 v7, v5, v7
	v_lshl_add_u32 v13, v10, 2, v8
	v_add_nc_u32_e32 v6, v10, v6
                                        ; implicit-def: $vgpr11
	v_sub_nc_u32_e32 v7, v7, v10
                                        ; implicit-def: $vgpr10
	s_delay_alu instid0(VALU_DEP_2) | instskip(NEXT) | instid1(VALU_DEP_2)
	v_cmp_le_i32_e32 vcc_lo, v5, v6
	v_lshl_add_u32 v12, v7, 2, v0
	v_cmp_gt_i32_e64 s1, v3, v7
	ds_load_b32 v8, v13
	ds_load_b32 v9, v12
	s_waitcnt lgkmcnt(0)
	v_cmp_lt_i32_e64 s0, v9, v8
	s_delay_alu instid0(VALU_DEP_1) | instskip(NEXT) | instid1(SALU_CYCLE_1)
	s_or_b32 s0, vcc_lo, s0
	s_and_b32 vcc_lo, s1, s0
	s_delay_alu instid0(SALU_CYCLE_1) | instskip(NEXT) | instid1(SALU_CYCLE_1)
	s_xor_b32 s0, vcc_lo, -1
	s_and_saveexec_b32 s1, s0
	s_delay_alu instid0(SALU_CYCLE_1)
	s_xor_b32 s0, exec_lo, s1
	s_cbranch_execz .LBB28_6
; %bb.5:
	ds_load_b32 v11, v13 offset:4
	v_mov_b32_e32 v10, v9
                                        ; implicit-def: $vgpr12
.LBB28_6:
	s_and_not1_saveexec_b32 s0, s0
	s_cbranch_execz .LBB28_8
; %bb.7:
	ds_load_b32 v10, v12 offset:4
	s_waitcnt lgkmcnt(1)
	v_mov_b32_e32 v11, v8
.LBB28_8:
	s_or_b32 exec_lo, exec_lo, s0
	v_add_nc_u32_e32 v12, 1, v6
	v_add_nc_u32_e32 v14, 1, v7
	s_waitcnt lgkmcnt(0)
	v_cmp_lt_i32_e64 s1, v10, v11
	s_delay_alu instid0(VALU_DEP_3) | instskip(NEXT) | instid1(VALU_DEP_3)
	v_cndmask_b32_e32 v13, v12, v6, vcc_lo
	v_cndmask_b32_e32 v12, v7, v14, vcc_lo
                                        ; implicit-def: $vgpr6
	s_delay_alu instid0(VALU_DEP_2) | instskip(NEXT) | instid1(VALU_DEP_2)
	v_cmp_ge_i32_e64 s0, v13, v5
	v_cmp_lt_i32_e64 s2, v12, v3
	s_delay_alu instid0(VALU_DEP_2)
	s_or_b32 s0, s0, s1
	s_delay_alu instid0(VALU_DEP_1) | instid1(SALU_CYCLE_1)
	s_and_b32 s0, s2, s0
	s_delay_alu instid0(SALU_CYCLE_1) | instskip(NEXT) | instid1(SALU_CYCLE_1)
	s_xor_b32 s1, s0, -1
	s_and_saveexec_b32 s2, s1
	s_delay_alu instid0(SALU_CYCLE_1)
	s_xor_b32 s1, exec_lo, s2
	s_cbranch_execz .LBB28_10
; %bb.9:
	v_lshl_add_u32 v6, v13, 2, v0
	ds_load_b32 v6, v6 offset:4
.LBB28_10:
	s_or_saveexec_b32 s1, s1
	v_mov_b32_e32 v7, v10
	s_xor_b32 exec_lo, exec_lo, s1
	s_cbranch_execz .LBB28_12
; %bb.11:
	s_waitcnt lgkmcnt(0)
	v_lshl_add_u32 v6, v12, 2, v0
	ds_load_b32 v7, v6 offset:4
	v_mov_b32_e32 v6, v11
.LBB28_12:
	s_or_b32 exec_lo, exec_lo, s1
	v_add_nc_u32_e32 v14, 1, v13
	v_add_nc_u32_e32 v16, 1, v12
	s_waitcnt lgkmcnt(0)
	v_cmp_lt_i32_e64 s2, v7, v6
	s_delay_alu instid0(VALU_DEP_3) | instskip(NEXT) | instid1(VALU_DEP_3)
	v_cndmask_b32_e64 v15, v14, v13, s0
	v_cndmask_b32_e64 v14, v12, v16, s0
                                        ; implicit-def: $vgpr13
	s_delay_alu instid0(VALU_DEP_2) | instskip(NEXT) | instid1(VALU_DEP_2)
	v_cmp_ge_i32_e64 s1, v15, v5
	v_cmp_lt_i32_e64 s3, v14, v3
	s_delay_alu instid0(VALU_DEP_2)
	s_or_b32 s1, s1, s2
	s_delay_alu instid0(VALU_DEP_1) | instid1(SALU_CYCLE_1)
	s_and_b32 s1, s3, s1
	s_delay_alu instid0(SALU_CYCLE_1) | instskip(NEXT) | instid1(SALU_CYCLE_1)
	s_xor_b32 s2, s1, -1
	s_and_saveexec_b32 s3, s2
	s_delay_alu instid0(SALU_CYCLE_1)
	s_xor_b32 s2, exec_lo, s3
	s_cbranch_execz .LBB28_14
; %bb.13:
	v_lshl_add_u32 v12, v15, 2, v0
	ds_load_b32 v13, v12 offset:4
.LBB28_14:
	s_or_saveexec_b32 s2, s2
	v_mov_b32_e32 v16, v7
	s_xor_b32 exec_lo, exec_lo, s2
	s_cbranch_execz .LBB28_16
; %bb.15:
	v_lshl_add_u32 v12, v14, 2, v0
	s_waitcnt lgkmcnt(0)
	v_mov_b32_e32 v13, v6
	ds_load_b32 v16, v12 offset:4
.LBB28_16:
	s_or_b32 exec_lo, exec_lo, s2
	v_dual_cndmask_b32 v9, v8, v9 :: v_dual_and_b32 v12, 0x70, v2
	v_add_nc_u32_e32 v18, 1, v15
	v_add_nc_u32_e32 v19, 1, v14
	v_cndmask_b32_e64 v17, v6, v7, s1
	s_delay_alu instid0(VALU_DEP_4)
	v_or_b32_e32 v7, 8, v12
	v_add_nc_u32_e32 v6, 16, v12
	v_cndmask_b32_e64 v15, v18, v15, s1
	v_cndmask_b32_e64 v14, v14, v19, s1
	;; [unrolled: 1-line block ×3, first 2 shown]
	s_waitcnt lgkmcnt(0)
	v_cmp_lt_i32_e64 s0, v16, v13
	v_and_b32_e32 v10, 12, v2
	v_sub_nc_u32_e32 v18, v6, v7
	v_cmp_ge_i32_e64 s1, v15, v5
	v_cmp_lt_i32_e32 vcc_lo, v14, v3
	v_sub_nc_u32_e32 v5, v7, v12
	s_delay_alu instid0(VALU_DEP_4) | instskip(NEXT) | instid1(VALU_DEP_4)
	v_sub_nc_u32_e32 v15, v10, v18
	s_or_b32 s1, s1, s0
	v_cmp_ge_i32_e64 s0, v10, v18
	s_and_b32 vcc_lo, vcc_lo, s1
	v_min_i32_e32 v8, v10, v5
	v_cndmask_b32_e32 v13, v13, v16, vcc_lo
	v_lshl_add_u32 v5, v12, 2, v0
	v_cndmask_b32_e64 v3, 0, v15, s0
	s_mov_b32 s1, 0
	s_mov_b32 s0, exec_lo
	; wave barrier
	ds_store_2addr_b32 v1, v9, v11 offset1:1
	ds_store_2addr_b32 v1, v17, v13 offset0:2 offset1:3
	; wave barrier
	v_cmpx_lt_i32_e64 v3, v8
	s_cbranch_execz .LBB28_20
; %bb.17:
	v_lshlrev_b32_e32 v9, 2, v7
	v_lshlrev_b32_e32 v11, 2, v10
	s_delay_alu instid0(VALU_DEP_1)
	v_add3_u32 v9, v0, v9, v11
	.p2align	6
.LBB28_18:                              ; =>This Inner Loop Header: Depth=1
	v_sub_nc_u32_e32 v11, v8, v3
	s_delay_alu instid0(VALU_DEP_1) | instskip(NEXT) | instid1(VALU_DEP_1)
	v_lshrrev_b32_e32 v13, 31, v11
	v_add_nc_u32_e32 v11, v11, v13
	s_delay_alu instid0(VALU_DEP_1) | instskip(NEXT) | instid1(VALU_DEP_1)
	v_ashrrev_i32_e32 v11, 1, v11
	v_add_nc_u32_e32 v11, v11, v3
	s_delay_alu instid0(VALU_DEP_1) | instskip(SKIP_2) | instid1(VALU_DEP_3)
	v_not_b32_e32 v13, v11
	v_lshl_add_u32 v14, v11, 2, v5
	v_add_nc_u32_e32 v15, 1, v11
	v_lshl_add_u32 v13, v13, 2, v9
	ds_load_b32 v14, v14
	ds_load_b32 v13, v13
	s_waitcnt lgkmcnt(0)
	v_cmp_lt_i32_e32 vcc_lo, v13, v14
	v_cndmask_b32_e32 v8, v8, v11, vcc_lo
	v_cndmask_b32_e32 v3, v15, v3, vcc_lo
	s_delay_alu instid0(VALU_DEP_1) | instskip(SKIP_1) | instid1(SALU_CYCLE_1)
	v_cmp_ge_i32_e32 vcc_lo, v3, v8
	s_or_b32 s1, vcc_lo, s1
	s_and_not1_b32 exec_lo, exec_lo, s1
	s_cbranch_execnz .LBB28_18
; %bb.19:
	s_or_b32 exec_lo, exec_lo, s1
.LBB28_20:
	s_delay_alu instid0(SALU_CYCLE_1) | instskip(SKIP_2) | instid1(VALU_DEP_2)
	s_or_b32 exec_lo, exec_lo, s0
	v_add_nc_u32_e32 v8, v7, v10
	v_lshl_add_u32 v14, v3, 2, v5
                                        ; implicit-def: $vgpr10
                                        ; implicit-def: $vgpr11
	v_sub_nc_u32_e32 v13, v8, v3
	v_add_nc_u32_e32 v3, v3, v12
	s_delay_alu instid0(VALU_DEP_2) | instskip(NEXT) | instid1(VALU_DEP_2)
	v_lshl_add_u32 v5, v13, 2, v0
	v_cmp_le_i32_e32 vcc_lo, v7, v3
	v_cmp_gt_i32_e64 s1, v6, v13
	ds_load_b32 v8, v14
	ds_load_b32 v9, v5
	s_waitcnt lgkmcnt(0)
	v_cmp_lt_i32_e64 s0, v9, v8
	s_delay_alu instid0(VALU_DEP_1) | instskip(NEXT) | instid1(SALU_CYCLE_1)
	s_or_b32 s0, vcc_lo, s0
	s_and_b32 vcc_lo, s1, s0
	s_delay_alu instid0(SALU_CYCLE_1) | instskip(NEXT) | instid1(SALU_CYCLE_1)
	s_xor_b32 s0, vcc_lo, -1
	s_and_saveexec_b32 s1, s0
	s_delay_alu instid0(SALU_CYCLE_1)
	s_xor_b32 s0, exec_lo, s1
	s_cbranch_execz .LBB28_22
; %bb.21:
	ds_load_b32 v11, v14 offset:4
	v_mov_b32_e32 v10, v9
                                        ; implicit-def: $vgpr5
.LBB28_22:
	s_and_not1_saveexec_b32 s0, s0
	s_cbranch_execz .LBB28_24
; %bb.23:
	ds_load_b32 v10, v5 offset:4
	s_waitcnt lgkmcnt(1)
	v_mov_b32_e32 v11, v8
.LBB28_24:
	s_or_b32 exec_lo, exec_lo, s0
	v_add_nc_u32_e32 v12, 1, v13
	v_add_nc_u32_e32 v5, 1, v3
	s_waitcnt lgkmcnt(0)
	v_cmp_lt_i32_e64 s1, v10, v11
	s_delay_alu instid0(VALU_DEP_3) | instskip(NEXT) | instid1(VALU_DEP_3)
	v_cndmask_b32_e32 v12, v13, v12, vcc_lo
	v_cndmask_b32_e32 v14, v5, v3, vcc_lo
                                        ; implicit-def: $vgpr3
	s_delay_alu instid0(VALU_DEP_2) | instskip(NEXT) | instid1(VALU_DEP_2)
	v_cmp_lt_i32_e64 s2, v12, v6
	v_cmp_ge_i32_e64 s0, v14, v7
	s_delay_alu instid0(VALU_DEP_1)
	s_or_b32 s0, s0, s1
	s_delay_alu instid0(VALU_DEP_2) | instid1(SALU_CYCLE_1)
	s_and_b32 s0, s2, s0
	s_delay_alu instid0(SALU_CYCLE_1) | instskip(NEXT) | instid1(SALU_CYCLE_1)
	s_xor_b32 s1, s0, -1
	s_and_saveexec_b32 s2, s1
	s_delay_alu instid0(SALU_CYCLE_1)
	s_xor_b32 s1, exec_lo, s2
	s_cbranch_execz .LBB28_26
; %bb.25:
	v_lshl_add_u32 v3, v14, 2, v0
	ds_load_b32 v3, v3 offset:4
.LBB28_26:
	s_or_saveexec_b32 s1, s1
	v_mov_b32_e32 v5, v10
	s_xor_b32 exec_lo, exec_lo, s1
	s_cbranch_execz .LBB28_28
; %bb.27:
	s_waitcnt lgkmcnt(0)
	v_lshl_add_u32 v3, v12, 2, v0
	ds_load_b32 v5, v3 offset:4
	v_mov_b32_e32 v3, v11
.LBB28_28:
	s_or_b32 exec_lo, exec_lo, s1
	v_add_nc_u32_e32 v13, 1, v14
	v_add_nc_u32_e32 v16, 1, v12
	s_waitcnt lgkmcnt(0)
	v_cmp_lt_i32_e64 s2, v5, v3
	s_delay_alu instid0(VALU_DEP_3) | instskip(NEXT) | instid1(VALU_DEP_3)
	v_cndmask_b32_e64 v15, v13, v14, s0
	v_cndmask_b32_e64 v14, v12, v16, s0
                                        ; implicit-def: $vgpr13
	s_delay_alu instid0(VALU_DEP_2) | instskip(NEXT) | instid1(VALU_DEP_2)
	v_cmp_ge_i32_e64 s1, v15, v7
	v_cmp_lt_i32_e64 s3, v14, v6
	s_delay_alu instid0(VALU_DEP_2)
	s_or_b32 s1, s1, s2
	s_delay_alu instid0(VALU_DEP_1) | instid1(SALU_CYCLE_1)
	s_and_b32 s1, s3, s1
	s_delay_alu instid0(SALU_CYCLE_1) | instskip(NEXT) | instid1(SALU_CYCLE_1)
	s_xor_b32 s2, s1, -1
	s_and_saveexec_b32 s3, s2
	s_delay_alu instid0(SALU_CYCLE_1)
	s_xor_b32 s2, exec_lo, s3
	s_cbranch_execz .LBB28_30
; %bb.29:
	v_lshl_add_u32 v12, v15, 2, v0
	ds_load_b32 v13, v12 offset:4
.LBB28_30:
	s_or_saveexec_b32 s2, s2
	v_mov_b32_e32 v16, v5
	s_xor_b32 exec_lo, exec_lo, s2
	s_cbranch_execz .LBB28_32
; %bb.31:
	v_lshl_add_u32 v12, v14, 2, v0
	s_waitcnt lgkmcnt(0)
	v_mov_b32_e32 v13, v3
	ds_load_b32 v16, v12 offset:4
.LBB28_32:
	s_or_b32 exec_lo, exec_lo, s2
	v_dual_cndmask_b32 v9, v8, v9 :: v_dual_and_b32 v12, 0x60, v2
	v_add_nc_u32_e32 v18, 1, v15
	v_add_nc_u32_e32 v19, 1, v14
	v_cndmask_b32_e64 v17, v3, v5, s1
	s_delay_alu instid0(VALU_DEP_4)
	v_or_b32_e32 v5, 16, v12
	v_add_nc_u32_e32 v3, 32, v12
	v_cndmask_b32_e64 v15, v18, v15, s1
	v_cndmask_b32_e64 v14, v14, v19, s1
	;; [unrolled: 1-line block ×3, first 2 shown]
	s_waitcnt lgkmcnt(0)
	v_cmp_lt_i32_e64 s0, v16, v13
	v_and_b32_e32 v10, 28, v2
	v_sub_nc_u32_e32 v18, v3, v5
	v_cmp_ge_i32_e64 s1, v15, v7
	v_cmp_lt_i32_e32 vcc_lo, v14, v6
	v_sub_nc_u32_e32 v7, v5, v12
	s_delay_alu instid0(VALU_DEP_4) | instskip(NEXT) | instid1(VALU_DEP_4)
	v_sub_nc_u32_e32 v15, v10, v18
	s_or_b32 s1, s1, s0
	v_cmp_ge_i32_e64 s0, v10, v18
	s_and_b32 vcc_lo, vcc_lo, s1
	v_min_i32_e32 v8, v10, v7
	v_cndmask_b32_e32 v13, v13, v16, vcc_lo
	v_lshl_add_u32 v7, v12, 2, v0
	v_cndmask_b32_e64 v6, 0, v15, s0
	s_mov_b32 s1, 0
	s_mov_b32 s0, exec_lo
	; wave barrier
	ds_store_2addr_b32 v1, v9, v11 offset1:1
	ds_store_2addr_b32 v1, v17, v13 offset0:2 offset1:3
	; wave barrier
	v_cmpx_lt_i32_e64 v6, v8
	s_cbranch_execz .LBB28_36
; %bb.33:
	v_lshlrev_b32_e32 v9, 2, v5
	v_lshlrev_b32_e32 v11, 2, v10
	s_delay_alu instid0(VALU_DEP_1)
	v_add3_u32 v9, v0, v9, v11
	.p2align	6
.LBB28_34:                              ; =>This Inner Loop Header: Depth=1
	v_sub_nc_u32_e32 v11, v8, v6
	s_delay_alu instid0(VALU_DEP_1) | instskip(NEXT) | instid1(VALU_DEP_1)
	v_lshrrev_b32_e32 v13, 31, v11
	v_add_nc_u32_e32 v11, v11, v13
	s_delay_alu instid0(VALU_DEP_1) | instskip(NEXT) | instid1(VALU_DEP_1)
	v_ashrrev_i32_e32 v11, 1, v11
	v_add_nc_u32_e32 v11, v11, v6
	s_delay_alu instid0(VALU_DEP_1) | instskip(SKIP_2) | instid1(VALU_DEP_3)
	v_not_b32_e32 v13, v11
	v_lshl_add_u32 v14, v11, 2, v7
	v_add_nc_u32_e32 v15, 1, v11
	v_lshl_add_u32 v13, v13, 2, v9
	ds_load_b32 v14, v14
	ds_load_b32 v13, v13
	s_waitcnt lgkmcnt(0)
	v_cmp_lt_i32_e32 vcc_lo, v13, v14
	v_cndmask_b32_e32 v8, v8, v11, vcc_lo
	v_cndmask_b32_e32 v6, v15, v6, vcc_lo
	s_delay_alu instid0(VALU_DEP_1) | instskip(SKIP_1) | instid1(SALU_CYCLE_1)
	v_cmp_ge_i32_e32 vcc_lo, v6, v8
	s_or_b32 s1, vcc_lo, s1
	s_and_not1_b32 exec_lo, exec_lo, s1
	s_cbranch_execnz .LBB28_34
; %bb.35:
	s_or_b32 exec_lo, exec_lo, s1
.LBB28_36:
	s_delay_alu instid0(SALU_CYCLE_1) | instskip(SKIP_2) | instid1(VALU_DEP_2)
	s_or_b32 exec_lo, exec_lo, s0
	v_add_nc_u32_e32 v8, v5, v10
	v_lshl_add_u32 v14, v6, 2, v7
                                        ; implicit-def: $vgpr10
                                        ; implicit-def: $vgpr11
	v_sub_nc_u32_e32 v13, v8, v6
	v_add_nc_u32_e32 v6, v6, v12
	s_delay_alu instid0(VALU_DEP_2) | instskip(NEXT) | instid1(VALU_DEP_2)
	v_lshl_add_u32 v7, v13, 2, v0
	v_cmp_le_i32_e32 vcc_lo, v5, v6
	v_cmp_gt_i32_e64 s1, v3, v13
	ds_load_b32 v8, v14
	ds_load_b32 v9, v7
	s_waitcnt lgkmcnt(0)
	v_cmp_lt_i32_e64 s0, v9, v8
	s_delay_alu instid0(VALU_DEP_1) | instskip(NEXT) | instid1(SALU_CYCLE_1)
	s_or_b32 s0, vcc_lo, s0
	s_and_b32 vcc_lo, s1, s0
	s_delay_alu instid0(SALU_CYCLE_1) | instskip(NEXT) | instid1(SALU_CYCLE_1)
	s_xor_b32 s0, vcc_lo, -1
	s_and_saveexec_b32 s1, s0
	s_delay_alu instid0(SALU_CYCLE_1)
	s_xor_b32 s0, exec_lo, s1
	s_cbranch_execz .LBB28_38
; %bb.37:
	ds_load_b32 v11, v14 offset:4
	v_mov_b32_e32 v10, v9
                                        ; implicit-def: $vgpr7
.LBB28_38:
	s_and_not1_saveexec_b32 s0, s0
	s_cbranch_execz .LBB28_40
; %bb.39:
	ds_load_b32 v10, v7 offset:4
	s_waitcnt lgkmcnt(1)
	v_mov_b32_e32 v11, v8
.LBB28_40:
	s_or_b32 exec_lo, exec_lo, s0
	v_add_nc_u32_e32 v12, 1, v13
	v_add_nc_u32_e32 v7, 1, v6
	s_waitcnt lgkmcnt(0)
	v_cmp_lt_i32_e64 s1, v10, v11
	s_delay_alu instid0(VALU_DEP_3) | instskip(NEXT) | instid1(VALU_DEP_3)
	v_cndmask_b32_e32 v12, v13, v12, vcc_lo
	v_cndmask_b32_e32 v14, v7, v6, vcc_lo
                                        ; implicit-def: $vgpr6
	s_delay_alu instid0(VALU_DEP_2) | instskip(NEXT) | instid1(VALU_DEP_2)
	v_cmp_lt_i32_e64 s2, v12, v3
	v_cmp_ge_i32_e64 s0, v14, v5
	s_delay_alu instid0(VALU_DEP_1)
	s_or_b32 s0, s0, s1
	s_delay_alu instid0(VALU_DEP_2) | instid1(SALU_CYCLE_1)
	s_and_b32 s0, s2, s0
	s_delay_alu instid0(SALU_CYCLE_1) | instskip(NEXT) | instid1(SALU_CYCLE_1)
	s_xor_b32 s1, s0, -1
	s_and_saveexec_b32 s2, s1
	s_delay_alu instid0(SALU_CYCLE_1)
	s_xor_b32 s1, exec_lo, s2
	s_cbranch_execz .LBB28_42
; %bb.41:
	v_lshl_add_u32 v6, v14, 2, v0
	ds_load_b32 v6, v6 offset:4
.LBB28_42:
	s_or_saveexec_b32 s1, s1
	v_mov_b32_e32 v7, v10
	s_xor_b32 exec_lo, exec_lo, s1
	s_cbranch_execz .LBB28_44
; %bb.43:
	s_waitcnt lgkmcnt(0)
	v_lshl_add_u32 v6, v12, 2, v0
	ds_load_b32 v7, v6 offset:4
	v_mov_b32_e32 v6, v11
.LBB28_44:
	s_or_b32 exec_lo, exec_lo, s1
	v_add_nc_u32_e32 v13, 1, v14
	v_add_nc_u32_e32 v16, 1, v12
	s_waitcnt lgkmcnt(0)
	v_cmp_lt_i32_e64 s2, v7, v6
	s_delay_alu instid0(VALU_DEP_3) | instskip(NEXT) | instid1(VALU_DEP_3)
	v_cndmask_b32_e64 v15, v13, v14, s0
	v_cndmask_b32_e64 v14, v12, v16, s0
                                        ; implicit-def: $vgpr13
	s_delay_alu instid0(VALU_DEP_2) | instskip(NEXT) | instid1(VALU_DEP_2)
	v_cmp_ge_i32_e64 s1, v15, v5
	v_cmp_lt_i32_e64 s3, v14, v3
	s_delay_alu instid0(VALU_DEP_2)
	s_or_b32 s1, s1, s2
	s_delay_alu instid0(VALU_DEP_1) | instid1(SALU_CYCLE_1)
	s_and_b32 s1, s3, s1
	s_delay_alu instid0(SALU_CYCLE_1) | instskip(NEXT) | instid1(SALU_CYCLE_1)
	s_xor_b32 s2, s1, -1
	s_and_saveexec_b32 s3, s2
	s_delay_alu instid0(SALU_CYCLE_1)
	s_xor_b32 s2, exec_lo, s3
	s_cbranch_execz .LBB28_46
; %bb.45:
	v_lshl_add_u32 v12, v15, 2, v0
	ds_load_b32 v13, v12 offset:4
.LBB28_46:
	s_or_saveexec_b32 s2, s2
	v_mov_b32_e32 v16, v7
	s_xor_b32 exec_lo, exec_lo, s2
	s_cbranch_execz .LBB28_48
; %bb.47:
	v_lshl_add_u32 v12, v14, 2, v0
	s_waitcnt lgkmcnt(0)
	v_mov_b32_e32 v13, v6
	ds_load_b32 v16, v12 offset:4
.LBB28_48:
	s_or_b32 exec_lo, exec_lo, s2
	v_dual_cndmask_b32 v9, v8, v9 :: v_dual_and_b32 v12, 64, v2
	v_add_nc_u32_e32 v18, 1, v15
	v_add_nc_u32_e32 v19, 1, v14
	v_cndmask_b32_e64 v17, v6, v7, s1
	s_delay_alu instid0(VALU_DEP_4)
	v_or_b32_e32 v7, 32, v12
	v_add_nc_u32_e32 v6, 64, v12
	v_cndmask_b32_e64 v15, v18, v15, s1
	v_cndmask_b32_e64 v14, v14, v19, s1
	;; [unrolled: 1-line block ×3, first 2 shown]
	s_waitcnt lgkmcnt(0)
	v_cmp_lt_i32_e64 s0, v16, v13
	v_and_b32_e32 v10, 60, v2
	v_sub_nc_u32_e32 v18, v6, v7
	v_cmp_ge_i32_e64 s1, v15, v5
	v_cmp_lt_i32_e32 vcc_lo, v14, v3
	v_sub_nc_u32_e32 v5, v7, v12
	v_lshl_add_u32 v3, v12, 2, v0
	v_sub_nc_u32_e32 v8, v10, v18
	s_or_b32 s1, s1, s0
	v_cmp_ge_i32_e64 s0, v10, v18
	s_and_b32 vcc_lo, vcc_lo, s1
	v_min_i32_e32 v5, v10, v5
	v_cndmask_b32_e32 v13, v13, v16, vcc_lo
	s_mov_b32 s1, 0
	v_cndmask_b32_e64 v8, 0, v8, s0
	s_mov_b32 s0, exec_lo
	; wave barrier
	ds_store_2addr_b32 v1, v9, v11 offset1:1
	ds_store_2addr_b32 v1, v17, v13 offset0:2 offset1:3
	; wave barrier
	v_cmpx_lt_i32_e64 v8, v5
	s_cbranch_execz .LBB28_52
; %bb.49:
	v_lshlrev_b32_e32 v9, 2, v7
	v_lshlrev_b32_e32 v11, 2, v10
	s_delay_alu instid0(VALU_DEP_1)
	v_add3_u32 v9, v0, v9, v11
	.p2align	6
.LBB28_50:                              ; =>This Inner Loop Header: Depth=1
	v_sub_nc_u32_e32 v11, v5, v8
	s_delay_alu instid0(VALU_DEP_1) | instskip(NEXT) | instid1(VALU_DEP_1)
	v_lshrrev_b32_e32 v13, 31, v11
	v_add_nc_u32_e32 v11, v11, v13
	s_delay_alu instid0(VALU_DEP_1) | instskip(NEXT) | instid1(VALU_DEP_1)
	v_ashrrev_i32_e32 v11, 1, v11
	v_add_nc_u32_e32 v11, v11, v8
	s_delay_alu instid0(VALU_DEP_1) | instskip(SKIP_2) | instid1(VALU_DEP_3)
	v_not_b32_e32 v13, v11
	v_lshl_add_u32 v14, v11, 2, v3
	v_add_nc_u32_e32 v15, 1, v11
	v_lshl_add_u32 v13, v13, 2, v9
	ds_load_b32 v14, v14
	ds_load_b32 v13, v13
	s_waitcnt lgkmcnt(0)
	v_cmp_lt_i32_e32 vcc_lo, v13, v14
	v_dual_cndmask_b32 v5, v5, v11 :: v_dual_cndmask_b32 v8, v15, v8
	s_delay_alu instid0(VALU_DEP_1) | instskip(SKIP_1) | instid1(SALU_CYCLE_1)
	v_cmp_ge_i32_e32 vcc_lo, v8, v5
	s_or_b32 s1, vcc_lo, s1
	s_and_not1_b32 exec_lo, exec_lo, s1
	s_cbranch_execnz .LBB28_50
; %bb.51:
	s_or_b32 exec_lo, exec_lo, s1
.LBB28_52:
	s_delay_alu instid0(SALU_CYCLE_1) | instskip(SKIP_3) | instid1(VALU_DEP_3)
	s_or_b32 exec_lo, exec_lo, s0
	v_add_nc_u32_e32 v5, v7, v10
	v_lshl_add_u32 v14, v8, 2, v3
	v_add_nc_u32_e32 v11, v8, v12
                                        ; implicit-def: $vgpr9
	v_sub_nc_u32_e32 v10, v5, v8
                                        ; implicit-def: $vgpr8
	s_delay_alu instid0(VALU_DEP_2) | instskip(NEXT) | instid1(VALU_DEP_2)
	v_cmp_le_i32_e32 vcc_lo, v7, v11
	v_lshl_add_u32 v13, v10, 2, v0
	v_cmp_gt_i32_e64 s1, v6, v10
	ds_load_b32 v3, v14
	ds_load_b32 v5, v13
	s_waitcnt lgkmcnt(0)
	v_cmp_lt_i32_e64 s0, v5, v3
	s_delay_alu instid0(VALU_DEP_1) | instskip(NEXT) | instid1(SALU_CYCLE_1)
	s_or_b32 s0, vcc_lo, s0
	s_and_b32 vcc_lo, s1, s0
	s_delay_alu instid0(SALU_CYCLE_1) | instskip(NEXT) | instid1(SALU_CYCLE_1)
	s_xor_b32 s0, vcc_lo, -1
	s_and_saveexec_b32 s1, s0
	s_delay_alu instid0(SALU_CYCLE_1)
	s_xor_b32 s0, exec_lo, s1
	s_cbranch_execz .LBB28_54
; %bb.53:
	ds_load_b32 v9, v14 offset:4
	v_mov_b32_e32 v8, v5
                                        ; implicit-def: $vgpr13
.LBB28_54:
	s_and_not1_saveexec_b32 s0, s0
	s_cbranch_execz .LBB28_56
; %bb.55:
	ds_load_b32 v8, v13 offset:4
	s_waitcnt lgkmcnt(1)
	v_mov_b32_e32 v9, v3
.LBB28_56:
	s_or_b32 exec_lo, exec_lo, s0
	v_add_nc_u32_e32 v13, 1, v10
	v_add_nc_u32_e32 v12, 1, v11
	s_waitcnt lgkmcnt(0)
	v_cmp_lt_i32_e64 s1, v8, v9
	s_delay_alu instid0(VALU_DEP_2) | instskip(NEXT) | instid1(VALU_DEP_1)
	v_dual_cndmask_b32 v12, v12, v11 :: v_dual_cndmask_b32 v11, v10, v13
                                        ; implicit-def: $vgpr10
	v_cmp_ge_i32_e64 s0, v12, v7
	s_delay_alu instid0(VALU_DEP_2) | instskip(NEXT) | instid1(VALU_DEP_2)
	v_cmp_lt_i32_e64 s2, v11, v6
	s_or_b32 s0, s0, s1
	s_delay_alu instid0(VALU_DEP_1) | instid1(SALU_CYCLE_1)
	s_and_b32 s0, s2, s0
	s_delay_alu instid0(SALU_CYCLE_1) | instskip(NEXT) | instid1(SALU_CYCLE_1)
	s_xor_b32 s1, s0, -1
	s_and_saveexec_b32 s2, s1
	s_delay_alu instid0(SALU_CYCLE_1)
	s_xor_b32 s1, exec_lo, s2
	s_cbranch_execz .LBB28_58
; %bb.57:
	v_lshl_add_u32 v10, v12, 2, v0
	ds_load_b32 v10, v10 offset:4
.LBB28_58:
	s_or_saveexec_b32 s1, s1
	v_mov_b32_e32 v13, v8
	s_xor_b32 exec_lo, exec_lo, s1
	s_cbranch_execz .LBB28_60
; %bb.59:
	s_waitcnt lgkmcnt(0)
	v_lshl_add_u32 v10, v11, 2, v0
	ds_load_b32 v13, v10 offset:4
	v_mov_b32_e32 v10, v9
.LBB28_60:
	s_or_b32 exec_lo, exec_lo, s1
	v_add_nc_u32_e32 v14, 1, v12
	v_add_nc_u32_e32 v16, 1, v11
	s_waitcnt lgkmcnt(0)
	v_cmp_lt_i32_e64 s2, v13, v10
	s_delay_alu instid0(VALU_DEP_3) | instskip(NEXT) | instid1(VALU_DEP_3)
	v_cndmask_b32_e64 v15, v14, v12, s0
	v_cndmask_b32_e64 v11, v11, v16, s0
                                        ; implicit-def: $vgpr12
	s_delay_alu instid0(VALU_DEP_2) | instskip(NEXT) | instid1(VALU_DEP_2)
	v_cmp_ge_i32_e64 s1, v15, v7
	v_cmp_lt_i32_e64 s3, v11, v6
	s_delay_alu instid0(VALU_DEP_2)
	s_or_b32 s1, s1, s2
	s_delay_alu instid0(VALU_DEP_1) | instid1(SALU_CYCLE_1)
	s_and_b32 s1, s3, s1
	s_delay_alu instid0(SALU_CYCLE_1) | instskip(NEXT) | instid1(SALU_CYCLE_1)
	s_xor_b32 s2, s1, -1
	s_and_saveexec_b32 s3, s2
	s_delay_alu instid0(SALU_CYCLE_1)
	s_xor_b32 s2, exec_lo, s3
	s_cbranch_execz .LBB28_62
; %bb.61:
	v_lshl_add_u32 v12, v15, 2, v0
	ds_load_b32 v12, v12 offset:4
.LBB28_62:
	s_or_saveexec_b32 s2, s2
	v_mov_b32_e32 v14, v13
	s_xor_b32 exec_lo, exec_lo, s2
	s_cbranch_execz .LBB28_64
; %bb.63:
	s_waitcnt lgkmcnt(0)
	v_lshl_add_u32 v12, v11, 2, v0
	ds_load_b32 v14, v12 offset:4
	v_mov_b32_e32 v12, v10
.LBB28_64:
	s_or_b32 exec_lo, exec_lo, s2
	v_dual_cndmask_b32 v5, v3, v5 :: v_dual_add_nc_u32 v16, 1, v15
	v_add_nc_u32_e32 v17, 1, v11
	v_cndmask_b32_e64 v10, v10, v13, s1
	v_cndmask_b32_e64 v9, v9, v8, s0
	s_delay_alu instid0(VALU_DEP_4)
	v_cndmask_b32_e64 v13, v16, v15, s1
	v_and_b32_e32 v8, 0x7c, v2
	v_cndmask_b32_e64 v2, v11, v17, s1
	s_waitcnt lgkmcnt(0)
	v_cmp_lt_i32_e64 s0, v14, v12
	v_cmp_ge_i32_e64 s1, v13, v7
	v_subrev_nc_u32_e32 v7, 64, v8
	v_cmp_lt_i32_e32 vcc_lo, v2, v6
	v_min_i32_e32 v3, 64, v8
	; wave barrier
	s_delay_alu instid0(VALU_DEP_4)
	s_or_b32 s1, s1, s0
	v_cmp_lt_i32_e64 s0, 63, v8
	s_and_b32 vcc_lo, vcc_lo, s1
	v_cndmask_b32_e32 v6, v12, v14, vcc_lo
	ds_store_2addr_b32 v1, v5, v9 offset1:1
	ds_store_2addr_b32 v1, v10, v6 offset0:2 offset1:3
	v_cndmask_b32_e64 v2, 0, v7, s0
	s_mov_b32 s0, exec_lo
	; wave barrier
	s_delay_alu instid0(VALU_DEP_1)
	v_cmpx_lt_i32_e64 v2, v3
	s_cbranch_execz .LBB28_68
; %bb.65:
	v_lshlrev_b32_e32 v1, 2, v8
	s_mov_b32 s1, 0
	s_delay_alu instid0(VALU_DEP_1)
	v_add3_u32 v1, 0x100, v0, v1
	.p2align	6
.LBB28_66:                              ; =>This Inner Loop Header: Depth=1
	v_sub_nc_u32_e32 v5, v3, v2
	s_delay_alu instid0(VALU_DEP_1) | instskip(NEXT) | instid1(VALU_DEP_1)
	v_lshrrev_b32_e32 v6, 31, v5
	v_add_nc_u32_e32 v5, v5, v6
	s_delay_alu instid0(VALU_DEP_1) | instskip(NEXT) | instid1(VALU_DEP_1)
	v_ashrrev_i32_e32 v5, 1, v5
	v_add_nc_u32_e32 v5, v5, v2
	s_delay_alu instid0(VALU_DEP_1) | instskip(SKIP_2) | instid1(VALU_DEP_3)
	v_not_b32_e32 v6, v5
	v_lshl_add_u32 v7, v5, 2, v0
	v_add_nc_u32_e32 v9, 1, v5
	v_lshl_add_u32 v6, v6, 2, v1
	ds_load_b32 v7, v7
	ds_load_b32 v6, v6
	s_waitcnt lgkmcnt(0)
	v_cmp_lt_i32_e32 vcc_lo, v6, v7
	v_dual_cndmask_b32 v3, v3, v5 :: v_dual_cndmask_b32 v2, v9, v2
	s_delay_alu instid0(VALU_DEP_1) | instskip(SKIP_1) | instid1(SALU_CYCLE_1)
	v_cmp_ge_i32_e32 vcc_lo, v2, v3
	s_or_b32 s1, vcc_lo, s1
	s_and_not1_b32 exec_lo, exec_lo, s1
	s_cbranch_execnz .LBB28_66
; %bb.67:
	s_or_b32 exec_lo, exec_lo, s1
.LBB28_68:
	s_delay_alu instid0(SALU_CYCLE_1) | instskip(SKIP_3) | instid1(VALU_DEP_3)
	s_or_b32 exec_lo, exec_lo, s0
	v_add_nc_u32_e32 v1, 64, v8
	v_lshl_add_u32 v9, v2, 2, v0
	v_cmp_le_i32_e32 vcc_lo, 64, v2
                                        ; implicit-def: $vgpr6
	v_sub_nc_u32_e32 v7, v1, v2
                                        ; implicit-def: $vgpr1
	s_delay_alu instid0(VALU_DEP_1)
	v_lshl_add_u32 v8, v7, 2, v0
	v_cmp_gt_i32_e64 s1, 0x80, v7
	ds_load_b32 v3, v9
	ds_load_b32 v5, v8
	s_waitcnt lgkmcnt(0)
	v_cmp_lt_i32_e64 s0, v5, v3
	s_delay_alu instid0(VALU_DEP_1) | instskip(NEXT) | instid1(SALU_CYCLE_1)
	s_or_b32 s0, vcc_lo, s0
	s_and_b32 vcc_lo, s1, s0
	s_delay_alu instid0(SALU_CYCLE_1) | instskip(NEXT) | instid1(SALU_CYCLE_1)
	s_xor_b32 s0, vcc_lo, -1
	s_and_saveexec_b32 s1, s0
	s_delay_alu instid0(SALU_CYCLE_1)
	s_xor_b32 s0, exec_lo, s1
	s_cbranch_execz .LBB28_70
; %bb.69:
	ds_load_b32 v6, v9 offset:4
	v_mov_b32_e32 v1, v5
                                        ; implicit-def: $vgpr8
.LBB28_70:
	s_and_not1_saveexec_b32 s0, s0
	s_cbranch_execz .LBB28_72
; %bb.71:
	ds_load_b32 v1, v8 offset:4
	s_waitcnt lgkmcnt(1)
	v_mov_b32_e32 v6, v3
.LBB28_72:
	s_or_b32 exec_lo, exec_lo, s0
	v_add_nc_u32_e32 v8, 1, v2
	v_add_nc_u32_e32 v10, 1, v7
	s_waitcnt lgkmcnt(0)
	v_cmp_lt_i32_e64 s1, v1, v6
	s_delay_alu instid0(VALU_DEP_3) | instskip(NEXT) | instid1(VALU_DEP_3)
	v_cndmask_b32_e32 v9, v8, v2, vcc_lo
	v_cndmask_b32_e32 v2, v7, v10, vcc_lo
                                        ; implicit-def: $vgpr8
	s_delay_alu instid0(VALU_DEP_2) | instskip(NEXT) | instid1(VALU_DEP_2)
	v_cmp_le_i32_e64 s0, 64, v9
	v_cmp_gt_i32_e64 s2, 0x80, v2
	s_delay_alu instid0(VALU_DEP_2)
	s_or_b32 s0, s0, s1
	s_delay_alu instid0(VALU_DEP_1) | instid1(SALU_CYCLE_1)
	s_and_b32 s0, s2, s0
	s_delay_alu instid0(SALU_CYCLE_1) | instskip(NEXT) | instid1(SALU_CYCLE_1)
	s_xor_b32 s1, s0, -1
	s_and_saveexec_b32 s2, s1
	s_delay_alu instid0(SALU_CYCLE_1)
	s_xor_b32 s1, exec_lo, s2
	s_cbranch_execz .LBB28_74
; %bb.73:
	v_lshl_add_u32 v7, v9, 2, v0
	ds_load_b32 v8, v7 offset:4
.LBB28_74:
	s_or_saveexec_b32 s1, s1
	v_mov_b32_e32 v7, v1
	s_xor_b32 exec_lo, exec_lo, s1
	s_cbranch_execz .LBB28_76
; %bb.75:
	v_lshl_add_u32 v7, v2, 2, v0
	s_waitcnt lgkmcnt(0)
	v_mov_b32_e32 v8, v6
	ds_load_b32 v7, v7 offset:4
.LBB28_76:
	s_or_b32 exec_lo, exec_lo, s1
	v_add_nc_u32_e32 v10, 1, v9
	v_add_nc_u32_e32 v12, 1, v2
	s_waitcnt lgkmcnt(0)
	v_cmp_ge_i32_e64 s2, v7, v8
	s_delay_alu instid0(VALU_DEP_3) | instskip(NEXT) | instid1(VALU_DEP_3)
	v_cndmask_b32_e64 v11, v10, v9, s0
	v_cndmask_b32_e64 v9, v2, v12, s0
                                        ; implicit-def: $vgpr10
                                        ; implicit-def: $vgpr12
	s_delay_alu instid0(VALU_DEP_2) | instskip(NEXT) | instid1(VALU_DEP_2)
	v_cmp_gt_i32_e64 s1, 64, v11
	v_cmp_le_i32_e64 s3, 0x80, v9
	s_delay_alu instid0(VALU_DEP_2)
	s_and_b32 s1, s1, s2
	s_delay_alu instid0(VALU_DEP_1) | instid1(SALU_CYCLE_1)
	s_or_b32 s1, s3, s1
	s_delay_alu instid0(SALU_CYCLE_1) | instskip(NEXT) | instid1(SALU_CYCLE_1)
	s_and_saveexec_b32 s2, s1
	s_xor_b32 s1, exec_lo, s2
	s_cbranch_execz .LBB28_78
; %bb.77:
	v_lshl_add_u32 v0, v11, 2, v0
	v_add_nc_u32_e32 v12, 1, v11
                                        ; implicit-def: $vgpr11
	ds_load_b32 v10, v0 offset:4
                                        ; implicit-def: $vgpr0
.LBB28_78:
	s_or_saveexec_b32 s1, s1
	v_mov_b32_e32 v2, v8
	s_xor_b32 exec_lo, exec_lo, s1
	s_cbranch_execz .LBB28_80
; %bb.79:
	v_lshl_add_u32 v0, v9, 2, v0
	v_dual_mov_b32 v2, v7 :: v_dual_add_nc_u32 v9, 1, v9
	s_waitcnt lgkmcnt(0)
	v_mov_b32_e32 v10, v8
	ds_load_b32 v0, v0 offset:4
	s_waitcnt lgkmcnt(0)
	v_dual_mov_b32 v12, v11 :: v_dual_mov_b32 v7, v0
.LBB28_80:
	s_or_b32 exec_lo, exec_lo, s1
	s_delay_alu instid0(VALU_DEP_1) | instskip(SKIP_1) | instid1(VALU_DEP_2)
	v_cmp_le_i32_e64 s1, 64, v12
	s_waitcnt lgkmcnt(0)
	v_cmp_lt_i32_e64 s2, v7, v10
	v_cmp_gt_i32_e64 s3, 0x80, v9
	v_cndmask_b32_e64 v1, v6, v1, s0
	v_cndmask_b32_e32 v0, v3, v5, vcc_lo
	v_lshlrev_b32_e32 v4, 2, v4
	s_or_b32 s0, s1, s2
	s_delay_alu instid0(SALU_CYCLE_1)
	s_and_b32 vcc_lo, s3, s0
	s_add_u32 s0, s6, s8
	v_cndmask_b32_e32 v3, v10, v7, vcc_lo
	s_addc_u32 s1, s7, s9
	global_store_b128 v4, v[0:3], s[0:1]
	s_nop 0
	s_sendmsg sendmsg(MSG_DEALLOC_VGPRS)
	s_endpgm
	.section	.rodata,"a",@progbits
	.p2align	6, 0x0
	.amdhsa_kernel _Z9sort_keysILj256ELj32ELj4EiN10test_utils4lessEEvPKT2_PS2_T3_
		.amdhsa_group_segment_fixed_size 4128
		.amdhsa_private_segment_fixed_size 0
		.amdhsa_kernarg_size 20
		.amdhsa_user_sgpr_count 15
		.amdhsa_user_sgpr_dispatch_ptr 0
		.amdhsa_user_sgpr_queue_ptr 0
		.amdhsa_user_sgpr_kernarg_segment_ptr 1
		.amdhsa_user_sgpr_dispatch_id 0
		.amdhsa_user_sgpr_private_segment_size 0
		.amdhsa_wavefront_size32 1
		.amdhsa_uses_dynamic_stack 0
		.amdhsa_enable_private_segment 0
		.amdhsa_system_sgpr_workgroup_id_x 1
		.amdhsa_system_sgpr_workgroup_id_y 0
		.amdhsa_system_sgpr_workgroup_id_z 0
		.amdhsa_system_sgpr_workgroup_info 0
		.amdhsa_system_vgpr_workitem_id 0
		.amdhsa_next_free_vgpr 21
		.amdhsa_next_free_sgpr 16
		.amdhsa_reserve_vcc 1
		.amdhsa_float_round_mode_32 0
		.amdhsa_float_round_mode_16_64 0
		.amdhsa_float_denorm_mode_32 3
		.amdhsa_float_denorm_mode_16_64 3
		.amdhsa_dx10_clamp 1
		.amdhsa_ieee_mode 1
		.amdhsa_fp16_overflow 0
		.amdhsa_workgroup_processor_mode 1
		.amdhsa_memory_ordered 1
		.amdhsa_forward_progress 0
		.amdhsa_shared_vgpr_count 0
		.amdhsa_exception_fp_ieee_invalid_op 0
		.amdhsa_exception_fp_denorm_src 0
		.amdhsa_exception_fp_ieee_div_zero 0
		.amdhsa_exception_fp_ieee_overflow 0
		.amdhsa_exception_fp_ieee_underflow 0
		.amdhsa_exception_fp_ieee_inexact 0
		.amdhsa_exception_int_div_zero 0
	.end_amdhsa_kernel
	.section	.text._Z9sort_keysILj256ELj32ELj4EiN10test_utils4lessEEvPKT2_PS2_T3_,"axG",@progbits,_Z9sort_keysILj256ELj32ELj4EiN10test_utils4lessEEvPKT2_PS2_T3_,comdat
.Lfunc_end28:
	.size	_Z9sort_keysILj256ELj32ELj4EiN10test_utils4lessEEvPKT2_PS2_T3_, .Lfunc_end28-_Z9sort_keysILj256ELj32ELj4EiN10test_utils4lessEEvPKT2_PS2_T3_
                                        ; -- End function
	.section	.AMDGPU.csdata,"",@progbits
; Kernel info:
; codeLenInByte = 4188
; NumSgprs: 18
; NumVgprs: 21
; ScratchSize: 0
; MemoryBound: 0
; FloatMode: 240
; IeeeMode: 1
; LDSByteSize: 4128 bytes/workgroup (compile time only)
; SGPRBlocks: 2
; VGPRBlocks: 2
; NumSGPRsForWavesPerEU: 18
; NumVGPRsForWavesPerEU: 21
; Occupancy: 16
; WaveLimiterHint : 0
; COMPUTE_PGM_RSRC2:SCRATCH_EN: 0
; COMPUTE_PGM_RSRC2:USER_SGPR: 15
; COMPUTE_PGM_RSRC2:TRAP_HANDLER: 0
; COMPUTE_PGM_RSRC2:TGID_X_EN: 1
; COMPUTE_PGM_RSRC2:TGID_Y_EN: 0
; COMPUTE_PGM_RSRC2:TGID_Z_EN: 0
; COMPUTE_PGM_RSRC2:TIDIG_COMP_CNT: 0
	.section	.text._Z10sort_pairsILj256ELj32ELj4EiN10test_utils4lessEEvPKT2_PS2_T3_,"axG",@progbits,_Z10sort_pairsILj256ELj32ELj4EiN10test_utils4lessEEvPKT2_PS2_T3_,comdat
	.protected	_Z10sort_pairsILj256ELj32ELj4EiN10test_utils4lessEEvPKT2_PS2_T3_ ; -- Begin function _Z10sort_pairsILj256ELj32ELj4EiN10test_utils4lessEEvPKT2_PS2_T3_
	.globl	_Z10sort_pairsILj256ELj32ELj4EiN10test_utils4lessEEvPKT2_PS2_T3_
	.p2align	8
	.type	_Z10sort_pairsILj256ELj32ELj4EiN10test_utils4lessEEvPKT2_PS2_T3_,@function
_Z10sort_pairsILj256ELj32ELj4EiN10test_utils4lessEEvPKT2_PS2_T3_: ; @_Z10sort_pairsILj256ELj32ELj4EiN10test_utils4lessEEvPKT2_PS2_T3_
; %bb.0:
	s_load_b128 s[8:11], s[0:1], 0x0
	s_mov_b32 s7, 0
	s_lshl_b32 s6, s15, 10
	v_lshlrev_b32_e32 v1, 4, v0
	s_lshl_b64 s[12:13], s[6:7], 2
	v_mbcnt_lo_u32_b32 v5, -1, 0
	v_lshrrev_b32_e32 v11, 5, v0
	s_mov_b32 s6, exec_lo
	s_delay_alu instid0(VALU_DEP_2) | instskip(NEXT) | instid1(VALU_DEP_1)
	v_lshlrev_b32_e32 v7, 2, v5
	v_and_b32_e32 v12, 0x78, v7
	v_and_b32_e32 v10, 4, v7
	s_delay_alu instid0(VALU_DEP_2)
	v_or_b32_e32 v8, 4, v12
	s_waitcnt lgkmcnt(0)
	s_add_u32 s0, s8, s12
	s_addc_u32 s1, s9, s13
	v_add_nc_u32_e32 v9, 8, v12
	global_load_b128 v[1:4], v1, s[0:1]
	v_lshlrev_b32_e32 v19, 2, v12
	; wave barrier
	s_waitcnt vmcnt(0)
	v_cmp_lt_i32_e32 vcc_lo, v2, v1
	v_lshlrev_b32_e32 v0, 2, v0
	v_min_i32_e32 v14, v4, v3
	v_cmp_lt_i32_e64 s1, v4, v3
	v_dual_cndmask_b32 v13, v1, v2 :: v_dual_lshlrev_b32 v6, 4, v5
	v_cndmask_b32_e32 v15, v2, v1, vcc_lo
	v_mul_u32_u24_e32 v5, 0x204, v11
	s_delay_alu instid0(VALU_DEP_4)
	v_cndmask_b32_e64 v17, v3, v4, s1
	v_cndmask_b32_e64 v16, v4, v3, s1
	v_mad_u32_u24 v6, 0x204, v11, v6
	v_cmp_lt_i32_e64 s3, v14, v15
	v_min_i32_e32 v18, v14, v15
	v_mad_u32_u24 v11, 0x204, v11, v19
	s_delay_alu instid0(VALU_DEP_3) | instskip(SKIP_1) | instid1(VALU_DEP_4)
	v_cndmask_b32_e64 v17, v17, v15, s3
	v_cndmask_b32_e64 v14, v15, v14, s3
	v_cmp_lt_i32_e64 s0, v18, v13
	v_sub_nc_u32_e32 v15, v9, v8
	s_delay_alu instid0(VALU_DEP_4) | instskip(SKIP_1) | instid1(VALU_DEP_4)
	v_min_i32_e32 v20, v16, v17
	v_cmp_lt_i32_e64 s2, v16, v17
	v_cndmask_b32_e64 v21, v14, v13, s0
	v_cndmask_b32_e64 v18, v13, v18, s0
	v_sub_nc_u32_e32 v13, v8, v12
	v_sub_nc_u32_e32 v22, v10, v15
	v_cndmask_b32_e64 v23, v16, v17, s2
	v_cndmask_b32_e64 v16, v17, v16, s2
	v_cmp_lt_i32_e64 s4, v20, v21
	v_cmp_ge_i32_e64 s5, v10, v15
	v_min_i32_e32 v14, v10, v13
	s_delay_alu instid0(VALU_DEP_3) | instskip(NEXT) | instid1(VALU_DEP_3)
	v_cndmask_b32_e64 v15, v16, v21, s4
	v_cndmask_b32_e64 v13, 0, v22, s5
	;; [unrolled: 1-line block ×3, first 2 shown]
	ds_store_2addr_b32 v6, v18, v16 offset1:1
	ds_store_2addr_b32 v6, v15, v23 offset0:2 offset1:3
	; wave barrier
	v_cmpx_lt_i32_e64 v13, v14
	s_cbranch_execz .LBB29_4
; %bb.1:
	v_lshlrev_b32_e32 v15, 2, v8
	v_lshlrev_b32_e32 v16, 2, v10
	s_delay_alu instid0(VALU_DEP_1)
	v_add3_u32 v15, v5, v15, v16
	.p2align	6
.LBB29_2:                               ; =>This Inner Loop Header: Depth=1
	v_sub_nc_u32_e32 v16, v14, v13
	s_delay_alu instid0(VALU_DEP_1) | instskip(NEXT) | instid1(VALU_DEP_1)
	v_lshrrev_b32_e32 v17, 31, v16
	v_add_nc_u32_e32 v16, v16, v17
	s_delay_alu instid0(VALU_DEP_1) | instskip(NEXT) | instid1(VALU_DEP_1)
	v_ashrrev_i32_e32 v16, 1, v16
	v_add_nc_u32_e32 v16, v16, v13
	s_delay_alu instid0(VALU_DEP_1) | instskip(SKIP_2) | instid1(VALU_DEP_3)
	v_not_b32_e32 v17, v16
	v_lshl_add_u32 v18, v16, 2, v11
	v_add_nc_u32_e32 v19, 1, v16
	v_lshl_add_u32 v17, v17, 2, v15
	ds_load_b32 v18, v18
	ds_load_b32 v17, v17
	s_waitcnt lgkmcnt(0)
	v_cmp_lt_i32_e64 s5, v17, v18
	s_delay_alu instid0(VALU_DEP_1) | instskip(SKIP_1) | instid1(VALU_DEP_1)
	v_cndmask_b32_e64 v14, v14, v16, s5
	v_cndmask_b32_e64 v13, v19, v13, s5
	v_cmp_ge_i32_e64 s5, v13, v14
	s_delay_alu instid0(VALU_DEP_1) | instskip(NEXT) | instid1(SALU_CYCLE_1)
	s_or_b32 s7, s5, s7
	s_and_not1_b32 exec_lo, exec_lo, s7
	s_cbranch_execnz .LBB29_2
; %bb.3:
	s_or_b32 exec_lo, exec_lo, s7
.LBB29_4:
	s_delay_alu instid0(SALU_CYCLE_1) | instskip(SKIP_3) | instid1(VALU_DEP_3)
	s_or_b32 exec_lo, exec_lo, s6
	v_add_nc_u32_e32 v10, v8, v10
	v_lshl_add_u32 v17, v13, 2, v11
	v_add_nc_u32_e32 v16, v13, v12
                                        ; implicit-def: $vgpr12
	v_sub_nc_u32_e32 v14, v10, v13
                                        ; implicit-def: $vgpr13
	s_delay_alu instid0(VALU_DEP_2) | instskip(NEXT) | instid1(VALU_DEP_2)
	v_cmp_le_i32_e64 s5, v8, v16
	v_lshl_add_u32 v15, v14, 2, v5
	v_cmp_gt_i32_e64 s7, v9, v14
	ds_load_b32 v10, v17
	ds_load_b32 v11, v15
	s_waitcnt lgkmcnt(0)
	v_cmp_lt_i32_e64 s6, v11, v10
	s_delay_alu instid0(VALU_DEP_1) | instskip(NEXT) | instid1(SALU_CYCLE_1)
	s_or_b32 s5, s5, s6
	s_and_b32 s5, s7, s5
	s_delay_alu instid0(SALU_CYCLE_1) | instskip(NEXT) | instid1(SALU_CYCLE_1)
	s_xor_b32 s6, s5, -1
	s_and_saveexec_b32 s7, s6
	s_delay_alu instid0(SALU_CYCLE_1)
	s_xor_b32 s6, exec_lo, s7
	s_cbranch_execz .LBB29_6
; %bb.5:
	ds_load_b32 v13, v17 offset:4
	v_mov_b32_e32 v12, v11
                                        ; implicit-def: $vgpr15
.LBB29_6:
	s_and_not1_saveexec_b32 s6, s6
	s_cbranch_execz .LBB29_8
; %bb.7:
	ds_load_b32 v12, v15 offset:4
	s_waitcnt lgkmcnt(1)
	v_mov_b32_e32 v13, v10
.LBB29_8:
	s_or_b32 exec_lo, exec_lo, s6
	v_add_nc_u32_e32 v15, 1, v16
	v_add_nc_u32_e32 v17, 1, v14
	s_waitcnt lgkmcnt(0)
	v_cmp_lt_i32_e64 s7, v12, v13
	s_delay_alu instid0(VALU_DEP_3) | instskip(NEXT) | instid1(VALU_DEP_3)
	v_cndmask_b32_e64 v18, v15, v16, s5
	v_cndmask_b32_e64 v19, v14, v17, s5
                                        ; implicit-def: $vgpr15
	s_delay_alu instid0(VALU_DEP_2) | instskip(NEXT) | instid1(VALU_DEP_2)
	v_cmp_ge_i32_e64 s6, v18, v8
	v_cmp_lt_i32_e64 s8, v19, v9
	s_delay_alu instid0(VALU_DEP_2)
	s_or_b32 s6, s6, s7
	s_delay_alu instid0(VALU_DEP_1) | instid1(SALU_CYCLE_1)
	s_and_b32 s6, s8, s6
	s_delay_alu instid0(SALU_CYCLE_1) | instskip(NEXT) | instid1(SALU_CYCLE_1)
	s_xor_b32 s7, s6, -1
	s_and_saveexec_b32 s8, s7
	s_delay_alu instid0(SALU_CYCLE_1)
	s_xor_b32 s7, exec_lo, s8
	s_cbranch_execz .LBB29_10
; %bb.9:
	v_lshl_add_u32 v15, v18, 2, v5
	ds_load_b32 v15, v15 offset:4
.LBB29_10:
	s_or_saveexec_b32 s7, s7
	v_mov_b32_e32 v17, v12
	s_xor_b32 exec_lo, exec_lo, s7
	s_cbranch_execz .LBB29_12
; %bb.11:
	s_waitcnt lgkmcnt(0)
	v_lshl_add_u32 v15, v19, 2, v5
	ds_load_b32 v17, v15 offset:4
	v_mov_b32_e32 v15, v13
.LBB29_12:
	s_or_b32 exec_lo, exec_lo, s7
	v_add_nc_u32_e32 v20, 1, v18
	v_add_nc_u32_e32 v22, 1, v19
	s_waitcnt lgkmcnt(0)
	v_cmp_lt_i32_e64 s8, v17, v15
	s_delay_alu instid0(VALU_DEP_3) | instskip(NEXT) | instid1(VALU_DEP_3)
	v_cndmask_b32_e64 v21, v20, v18, s6
	v_cndmask_b32_e64 v22, v19, v22, s6
                                        ; implicit-def: $vgpr20
	s_delay_alu instid0(VALU_DEP_2) | instskip(NEXT) | instid1(VALU_DEP_2)
	v_cmp_ge_i32_e64 s7, v21, v8
	v_cmp_lt_i32_e64 s9, v22, v9
	s_delay_alu instid0(VALU_DEP_2)
	s_or_b32 s7, s7, s8
	s_delay_alu instid0(VALU_DEP_1) | instid1(SALU_CYCLE_1)
	s_and_b32 s7, s9, s7
	s_delay_alu instid0(SALU_CYCLE_1) | instskip(NEXT) | instid1(SALU_CYCLE_1)
	s_xor_b32 s8, s7, -1
	s_and_saveexec_b32 s9, s8
	s_delay_alu instid0(SALU_CYCLE_1)
	s_xor_b32 s8, exec_lo, s9
	s_cbranch_execz .LBB29_14
; %bb.13:
	v_lshl_add_u32 v20, v21, 2, v5
	ds_load_b32 v20, v20 offset:4
.LBB29_14:
	s_or_saveexec_b32 s8, s8
	v_mov_b32_e32 v23, v17
	s_xor_b32 exec_lo, exec_lo, s8
	s_cbranch_execz .LBB29_16
; %bb.15:
	s_waitcnt lgkmcnt(0)
	v_lshl_add_u32 v20, v22, 2, v5
	ds_load_b32 v23, v20 offset:4
	v_mov_b32_e32 v20, v15
.LBB29_16:
	s_or_b32 exec_lo, exec_lo, s8
	v_add_nc_u32_e32 v24, 1, v22
	v_add_nc_u32_e32 v25, 1, v21
	;; [unrolled: 1-line block ×3, first 2 shown]
	v_cndmask_b32_e64 v18, v18, v19, s6
	v_cndmask_b32_e64 v14, v16, v14, s5
	;; [unrolled: 1-line block ×4, first 2 shown]
	v_add_nc_u32_e32 v1, 1, v1
	v_add_nc_u32_e32 v3, 1, v3
	;; [unrolled: 1-line block ×3, first 2 shown]
	v_cndmask_b32_e64 v21, v21, v22, s7
	s_delay_alu instid0(VALU_DEP_4) | instskip(NEXT) | instid1(VALU_DEP_3)
	v_dual_cndmask_b32 v26, v2, v1 :: v_dual_cndmask_b32 v1, v1, v2
	v_cndmask_b32_e64 v27, v3, v4, s1
	v_cndmask_b32_e64 v2, v4, v3, s1
	v_cmp_ge_i32_e32 vcc_lo, v25, v8
	s_waitcnt lgkmcnt(0)
	v_cmp_lt_i32_e64 s1, v23, v20
	; wave barrier
	v_cndmask_b32_e64 v3, v26, v27, s3
	v_cndmask_b32_e64 v4, v27, v26, s3
	;; [unrolled: 1-line block ×3, first 2 shown]
	s_delay_alu instid0(VALU_DEP_4)
	s_or_b32 s1, vcc_lo, s1
	v_cndmask_b32_e64 v17, v13, v12, s6
	v_cndmask_b32_e64 v16, v3, v1, s0
	;; [unrolled: 1-line block ×4, first 2 shown]
	v_cmp_lt_i32_e64 s0, v24, v9
	v_cndmask_b32_e64 v2, v2, v4, s2
	v_lshl_add_u32 v9, v21, 2, v5
	v_cndmask_b32_e64 v4, v16, v19, s4
	v_cndmask_b32_e64 v3, v19, v16, s4
	s_and_b32 vcc_lo, s0, s1
	ds_store_2addr_b32 v6, v1, v4 offset1:1
	ds_store_2addr_b32 v6, v3, v2 offset0:2 offset1:3
	v_cndmask_b32_e32 v8, v25, v24, vcc_lo
	v_lshl_add_u32 v3, v14, 2, v5
	v_lshl_add_u32 v4, v18, 2, v5
	v_and_b32_e32 v16, 0x70, v7
	s_delay_alu instid0(VALU_DEP_4)
	v_lshl_add_u32 v18, v8, 2, v5
	; wave barrier
	ds_load_b32 v3, v3
	ds_load_b32 v4, v4
	;; [unrolled: 1-line block ×4, first 2 shown]
	v_or_b32_e32 v1, 8, v16
	v_dual_cndmask_b32 v19, v20, v23 :: v_dual_add_nc_u32 v2, 16, v16
	v_and_b32_e32 v14, 12, v7
	v_cndmask_b32_e64 v11, v10, v11, s5
	s_delay_alu instid0(VALU_DEP_4) | instskip(NEXT) | instid1(VALU_DEP_4)
	v_sub_nc_u32_e32 v21, v1, v16
	v_sub_nc_u32_e32 v20, v2, v1
	v_lshl_add_u32 v10, v16, 2, v5
	s_mov_b32 s1, 0
	s_mov_b32 s0, exec_lo
	v_min_i32_e32 v13, v14, v21
	v_sub_nc_u32_e32 v18, v14, v20
	v_cmp_ge_i32_e32 vcc_lo, v14, v20
	; wave barrier
	ds_store_2addr_b32 v6, v11, v17 offset1:1
	ds_store_2addr_b32 v6, v15, v19 offset0:2 offset1:3
	v_cndmask_b32_e32 v12, 0, v18, vcc_lo
	; wave barrier
	s_delay_alu instid0(VALU_DEP_1)
	v_cmpx_lt_i32_e64 v12, v13
	s_cbranch_execz .LBB29_20
; %bb.17:
	v_lshlrev_b32_e32 v11, 2, v1
	v_lshlrev_b32_e32 v15, 2, v14
	s_delay_alu instid0(VALU_DEP_1)
	v_add3_u32 v11, v5, v11, v15
	.p2align	6
.LBB29_18:                              ; =>This Inner Loop Header: Depth=1
	v_sub_nc_u32_e32 v15, v13, v12
	s_delay_alu instid0(VALU_DEP_1) | instskip(NEXT) | instid1(VALU_DEP_1)
	v_lshrrev_b32_e32 v17, 31, v15
	v_add_nc_u32_e32 v15, v15, v17
	s_delay_alu instid0(VALU_DEP_1) | instskip(NEXT) | instid1(VALU_DEP_1)
	v_ashrrev_i32_e32 v15, 1, v15
	v_add_nc_u32_e32 v15, v15, v12
	s_delay_alu instid0(VALU_DEP_1) | instskip(SKIP_2) | instid1(VALU_DEP_3)
	v_not_b32_e32 v17, v15
	v_lshl_add_u32 v18, v15, 2, v10
	v_add_nc_u32_e32 v19, 1, v15
	v_lshl_add_u32 v17, v17, 2, v11
	ds_load_b32 v18, v18
	ds_load_b32 v17, v17
	s_waitcnt lgkmcnt(0)
	v_cmp_lt_i32_e32 vcc_lo, v17, v18
	v_dual_cndmask_b32 v13, v13, v15 :: v_dual_cndmask_b32 v12, v19, v12
	s_delay_alu instid0(VALU_DEP_1) | instskip(SKIP_1) | instid1(SALU_CYCLE_1)
	v_cmp_ge_i32_e32 vcc_lo, v12, v13
	s_or_b32 s1, vcc_lo, s1
	s_and_not1_b32 exec_lo, exec_lo, s1
	s_cbranch_execnz .LBB29_18
; %bb.19:
	s_or_b32 exec_lo, exec_lo, s1
.LBB29_20:
	s_delay_alu instid0(SALU_CYCLE_1) | instskip(SKIP_3) | instid1(VALU_DEP_3)
	s_or_b32 exec_lo, exec_lo, s0
	v_add_nc_u32_e32 v11, v1, v14
	v_lshl_add_u32 v18, v12, 2, v10
	v_add_nc_u32_e32 v15, v12, v16
                                        ; implicit-def: $vgpr13
	v_sub_nc_u32_e32 v14, v11, v12
                                        ; implicit-def: $vgpr12
	s_delay_alu instid0(VALU_DEP_2) | instskip(NEXT) | instid1(VALU_DEP_2)
	v_cmp_le_i32_e32 vcc_lo, v1, v15
	v_lshl_add_u32 v17, v14, 2, v5
	v_cmp_gt_i32_e64 s1, v2, v14
	ds_load_b32 v10, v18
	ds_load_b32 v11, v17
	s_waitcnt lgkmcnt(0)
	v_cmp_lt_i32_e64 s0, v11, v10
	s_delay_alu instid0(VALU_DEP_1) | instskip(NEXT) | instid1(SALU_CYCLE_1)
	s_or_b32 s0, vcc_lo, s0
	s_and_b32 vcc_lo, s1, s0
	s_delay_alu instid0(SALU_CYCLE_1) | instskip(NEXT) | instid1(SALU_CYCLE_1)
	s_xor_b32 s0, vcc_lo, -1
	s_and_saveexec_b32 s1, s0
	s_delay_alu instid0(SALU_CYCLE_1)
	s_xor_b32 s0, exec_lo, s1
	s_cbranch_execz .LBB29_22
; %bb.21:
	ds_load_b32 v13, v18 offset:4
	v_mov_b32_e32 v12, v11
                                        ; implicit-def: $vgpr17
.LBB29_22:
	s_and_not1_saveexec_b32 s0, s0
	s_cbranch_execz .LBB29_24
; %bb.23:
	ds_load_b32 v12, v17 offset:4
	s_waitcnt lgkmcnt(1)
	v_mov_b32_e32 v13, v10
.LBB29_24:
	s_or_b32 exec_lo, exec_lo, s0
	v_add_nc_u32_e32 v17, 1, v14
	v_add_nc_u32_e32 v16, 1, v15
	s_waitcnt lgkmcnt(0)
	v_cmp_lt_i32_e64 s1, v12, v13
	s_delay_alu instid0(VALU_DEP_2) | instskip(NEXT) | instid1(VALU_DEP_1)
	v_dual_cndmask_b32 v19, v14, v17 :: v_dual_cndmask_b32 v18, v16, v15
                                        ; implicit-def: $vgpr16
	v_cmp_lt_i32_e64 s2, v19, v2
	s_delay_alu instid0(VALU_DEP_2) | instskip(NEXT) | instid1(VALU_DEP_1)
	v_cmp_ge_i32_e64 s0, v18, v1
	s_or_b32 s0, s0, s1
	s_delay_alu instid0(VALU_DEP_2) | instid1(SALU_CYCLE_1)
	s_and_b32 s0, s2, s0
	s_delay_alu instid0(SALU_CYCLE_1) | instskip(NEXT) | instid1(SALU_CYCLE_1)
	s_xor_b32 s1, s0, -1
	s_and_saveexec_b32 s2, s1
	s_delay_alu instid0(SALU_CYCLE_1)
	s_xor_b32 s1, exec_lo, s2
	s_cbranch_execz .LBB29_26
; %bb.25:
	v_lshl_add_u32 v16, v18, 2, v5
	ds_load_b32 v16, v16 offset:4
.LBB29_26:
	s_or_saveexec_b32 s1, s1
	v_mov_b32_e32 v17, v12
	s_xor_b32 exec_lo, exec_lo, s1
	s_cbranch_execz .LBB29_28
; %bb.27:
	s_waitcnt lgkmcnt(0)
	v_lshl_add_u32 v16, v19, 2, v5
	ds_load_b32 v17, v16 offset:4
	v_mov_b32_e32 v16, v13
.LBB29_28:
	s_or_b32 exec_lo, exec_lo, s1
	v_add_nc_u32_e32 v20, 1, v18
	v_add_nc_u32_e32 v21, 1, v19
	s_waitcnt lgkmcnt(0)
	v_cmp_lt_i32_e64 s2, v17, v16
	s_delay_alu instid0(VALU_DEP_3) | instskip(NEXT) | instid1(VALU_DEP_3)
	v_cndmask_b32_e64 v23, v20, v18, s0
	v_cndmask_b32_e64 v22, v19, v21, s0
                                        ; implicit-def: $vgpr20
	s_delay_alu instid0(VALU_DEP_2) | instskip(NEXT) | instid1(VALU_DEP_2)
	v_cmp_ge_i32_e64 s1, v23, v1
	v_cmp_lt_i32_e64 s3, v22, v2
	s_delay_alu instid0(VALU_DEP_2)
	s_or_b32 s1, s1, s2
	s_delay_alu instid0(VALU_DEP_1) | instid1(SALU_CYCLE_1)
	s_and_b32 s1, s3, s1
	s_delay_alu instid0(SALU_CYCLE_1) | instskip(NEXT) | instid1(SALU_CYCLE_1)
	s_xor_b32 s2, s1, -1
	s_and_saveexec_b32 s3, s2
	s_delay_alu instid0(SALU_CYCLE_1)
	s_xor_b32 s2, exec_lo, s3
	s_cbranch_execz .LBB29_30
; %bb.29:
	v_lshl_add_u32 v20, v23, 2, v5
	ds_load_b32 v20, v20 offset:4
.LBB29_30:
	s_or_saveexec_b32 s2, s2
	v_mov_b32_e32 v21, v17
	s_xor_b32 exec_lo, exec_lo, s2
	s_cbranch_execz .LBB29_32
; %bb.31:
	s_waitcnt lgkmcnt(0)
	v_lshl_add_u32 v20, v22, 2, v5
	ds_load_b32 v21, v20 offset:4
	v_mov_b32_e32 v20, v16
.LBB29_32:
	s_or_b32 exec_lo, exec_lo, s2
	v_add_nc_u32_e32 v24, 1, v23
	v_add_nc_u32_e32 v25, 1, v22
	v_cndmask_b32_e64 v18, v18, v19, s0
	v_cndmask_b32_e64 v26, v23, v22, s1
	s_waitcnt lgkmcnt(0)
	v_cmp_lt_i32_e64 s2, v21, v20
	v_cndmask_b32_e64 v19, v24, v23, s1
	v_cndmask_b32_e64 v22, v22, v25, s1
	v_dual_cndmask_b32 v14, v15, v14 :: v_dual_and_b32 v15, 0x60, v7
	s_delay_alu instid0(VALU_DEP_3) | instskip(NEXT) | instid1(VALU_DEP_3)
	v_cmp_ge_i32_e64 s3, v19, v1
	v_cmp_lt_i32_e64 s4, v22, v2
	; wave barrier
	ds_store_2addr_b32 v6, v3, v4 offset1:1
	ds_store_2addr_b32 v6, v8, v9 offset0:2 offset1:3
	v_lshl_add_u32 v4, v14, 2, v5
	s_or_b32 s2, s3, s2
	v_lshl_add_u32 v8, v18, 2, v5
	s_and_b32 s2, s4, s2
	v_lshl_add_u32 v9, v26, 2, v5
	v_cndmask_b32_e64 v3, v19, v22, s2
	; wave barrier
	v_or_b32_e32 v1, 16, v15
	v_add_nc_u32_e32 v2, 32, v15
	s_delay_alu instid0(VALU_DEP_3)
	v_lshl_add_u32 v18, v3, 2, v5
	v_and_b32_e32 v14, 28, v7
	ds_load_b32 v3, v4
	ds_load_b32 v4, v8
	;; [unrolled: 1-line block ×4, first 2 shown]
	v_cndmask_b32_e64 v20, v20, v21, s2
	v_sub_nc_u32_e32 v19, v2, v1
	v_sub_nc_u32_e32 v21, v1, v15
	v_cndmask_b32_e64 v16, v16, v17, s1
	v_cndmask_b32_e64 v17, v13, v12, s0
	v_cndmask_b32_e32 v11, v10, v11, vcc_lo
	v_sub_nc_u32_e32 v18, v14, v19
	v_cmp_ge_i32_e64 s0, v14, v19
	v_min_i32_e32 v13, v14, v21
	v_lshl_add_u32 v10, v15, 2, v5
	s_mov_b32 s1, 0
	s_delay_alu instid0(VALU_DEP_3)
	v_cndmask_b32_e64 v12, 0, v18, s0
	s_mov_b32 s0, exec_lo
	; wave barrier
	ds_store_2addr_b32 v6, v11, v17 offset1:1
	ds_store_2addr_b32 v6, v16, v20 offset0:2 offset1:3
	; wave barrier
	v_cmpx_lt_i32_e64 v12, v13
	s_cbranch_execz .LBB29_36
; %bb.33:
	v_lshlrev_b32_e32 v11, 2, v1
	v_lshlrev_b32_e32 v16, 2, v14
	s_delay_alu instid0(VALU_DEP_1)
	v_add3_u32 v11, v5, v11, v16
	.p2align	6
.LBB29_34:                              ; =>This Inner Loop Header: Depth=1
	v_sub_nc_u32_e32 v16, v13, v12
	s_delay_alu instid0(VALU_DEP_1) | instskip(NEXT) | instid1(VALU_DEP_1)
	v_lshrrev_b32_e32 v17, 31, v16
	v_add_nc_u32_e32 v16, v16, v17
	s_delay_alu instid0(VALU_DEP_1) | instskip(NEXT) | instid1(VALU_DEP_1)
	v_ashrrev_i32_e32 v16, 1, v16
	v_add_nc_u32_e32 v16, v16, v12
	s_delay_alu instid0(VALU_DEP_1) | instskip(SKIP_2) | instid1(VALU_DEP_3)
	v_not_b32_e32 v17, v16
	v_lshl_add_u32 v18, v16, 2, v10
	v_add_nc_u32_e32 v19, 1, v16
	v_lshl_add_u32 v17, v17, 2, v11
	ds_load_b32 v18, v18
	ds_load_b32 v17, v17
	s_waitcnt lgkmcnt(0)
	v_cmp_lt_i32_e32 vcc_lo, v17, v18
	v_cndmask_b32_e32 v13, v13, v16, vcc_lo
	v_cndmask_b32_e32 v12, v19, v12, vcc_lo
	s_delay_alu instid0(VALU_DEP_1) | instskip(SKIP_1) | instid1(SALU_CYCLE_1)
	v_cmp_ge_i32_e32 vcc_lo, v12, v13
	s_or_b32 s1, vcc_lo, s1
	s_and_not1_b32 exec_lo, exec_lo, s1
	s_cbranch_execnz .LBB29_34
; %bb.35:
	s_or_b32 exec_lo, exec_lo, s1
.LBB29_36:
	s_delay_alu instid0(SALU_CYCLE_1) | instskip(SKIP_3) | instid1(VALU_DEP_3)
	s_or_b32 exec_lo, exec_lo, s0
	v_add_nc_u32_e32 v11, v1, v14
	v_lshl_add_u32 v17, v12, 2, v10
	v_add_nc_u32_e32 v15, v12, v15
                                        ; implicit-def: $vgpr13
	v_sub_nc_u32_e32 v14, v11, v12
                                        ; implicit-def: $vgpr12
	s_delay_alu instid0(VALU_DEP_2) | instskip(NEXT) | instid1(VALU_DEP_2)
	v_cmp_le_i32_e32 vcc_lo, v1, v15
	v_lshl_add_u32 v16, v14, 2, v5
	v_cmp_gt_i32_e64 s1, v2, v14
	ds_load_b32 v10, v17
	ds_load_b32 v11, v16
	s_waitcnt lgkmcnt(0)
	v_cmp_lt_i32_e64 s0, v11, v10
	s_delay_alu instid0(VALU_DEP_1) | instskip(NEXT) | instid1(SALU_CYCLE_1)
	s_or_b32 s0, vcc_lo, s0
	s_and_b32 vcc_lo, s1, s0
	s_delay_alu instid0(SALU_CYCLE_1) | instskip(NEXT) | instid1(SALU_CYCLE_1)
	s_xor_b32 s0, vcc_lo, -1
	s_and_saveexec_b32 s1, s0
	s_delay_alu instid0(SALU_CYCLE_1)
	s_xor_b32 s0, exec_lo, s1
	s_cbranch_execz .LBB29_38
; %bb.37:
	ds_load_b32 v13, v17 offset:4
	v_mov_b32_e32 v12, v11
                                        ; implicit-def: $vgpr16
.LBB29_38:
	s_and_not1_saveexec_b32 s0, s0
	s_cbranch_execz .LBB29_40
; %bb.39:
	ds_load_b32 v12, v16 offset:4
	s_waitcnt lgkmcnt(1)
	v_mov_b32_e32 v13, v10
.LBB29_40:
	s_or_b32 exec_lo, exec_lo, s0
	v_add_nc_u32_e32 v17, 1, v14
	v_add_nc_u32_e32 v16, 1, v15
	s_waitcnt lgkmcnt(0)
	v_cmp_lt_i32_e64 s1, v12, v13
	s_delay_alu instid0(VALU_DEP_2) | instskip(NEXT) | instid1(VALU_DEP_1)
	v_dual_cndmask_b32 v19, v14, v17 :: v_dual_cndmask_b32 v18, v16, v15
                                        ; implicit-def: $vgpr16
	v_cmp_lt_i32_e64 s2, v19, v2
	s_delay_alu instid0(VALU_DEP_2) | instskip(NEXT) | instid1(VALU_DEP_1)
	v_cmp_ge_i32_e64 s0, v18, v1
	s_or_b32 s0, s0, s1
	s_delay_alu instid0(VALU_DEP_2) | instid1(SALU_CYCLE_1)
	s_and_b32 s0, s2, s0
	s_delay_alu instid0(SALU_CYCLE_1) | instskip(NEXT) | instid1(SALU_CYCLE_1)
	s_xor_b32 s1, s0, -1
	s_and_saveexec_b32 s2, s1
	s_delay_alu instid0(SALU_CYCLE_1)
	s_xor_b32 s1, exec_lo, s2
	s_cbranch_execz .LBB29_42
; %bb.41:
	v_lshl_add_u32 v16, v18, 2, v5
	ds_load_b32 v16, v16 offset:4
.LBB29_42:
	s_or_saveexec_b32 s1, s1
	v_mov_b32_e32 v17, v12
	s_xor_b32 exec_lo, exec_lo, s1
	s_cbranch_execz .LBB29_44
; %bb.43:
	s_waitcnt lgkmcnt(0)
	v_lshl_add_u32 v16, v19, 2, v5
	ds_load_b32 v17, v16 offset:4
	v_mov_b32_e32 v16, v13
.LBB29_44:
	s_or_b32 exec_lo, exec_lo, s1
	v_add_nc_u32_e32 v20, 1, v18
	v_add_nc_u32_e32 v21, 1, v19
	s_waitcnt lgkmcnt(0)
	v_cmp_lt_i32_e64 s2, v17, v16
	s_delay_alu instid0(VALU_DEP_3) | instskip(NEXT) | instid1(VALU_DEP_3)
	v_cndmask_b32_e64 v23, v20, v18, s0
	v_cndmask_b32_e64 v22, v19, v21, s0
                                        ; implicit-def: $vgpr20
	s_delay_alu instid0(VALU_DEP_2) | instskip(NEXT) | instid1(VALU_DEP_2)
	v_cmp_ge_i32_e64 s1, v23, v1
	v_cmp_lt_i32_e64 s3, v22, v2
	s_delay_alu instid0(VALU_DEP_2)
	s_or_b32 s1, s1, s2
	s_delay_alu instid0(VALU_DEP_1) | instid1(SALU_CYCLE_1)
	s_and_b32 s1, s3, s1
	s_delay_alu instid0(SALU_CYCLE_1) | instskip(NEXT) | instid1(SALU_CYCLE_1)
	s_xor_b32 s2, s1, -1
	s_and_saveexec_b32 s3, s2
	s_delay_alu instid0(SALU_CYCLE_1)
	s_xor_b32 s2, exec_lo, s3
	s_cbranch_execz .LBB29_46
; %bb.45:
	v_lshl_add_u32 v20, v23, 2, v5
	ds_load_b32 v20, v20 offset:4
.LBB29_46:
	s_or_saveexec_b32 s2, s2
	v_mov_b32_e32 v21, v17
	s_xor_b32 exec_lo, exec_lo, s2
	s_cbranch_execz .LBB29_48
; %bb.47:
	s_waitcnt lgkmcnt(0)
	v_lshl_add_u32 v20, v22, 2, v5
	ds_load_b32 v21, v20 offset:4
	v_mov_b32_e32 v20, v16
.LBB29_48:
	s_or_b32 exec_lo, exec_lo, s2
	v_add_nc_u32_e32 v24, 1, v23
	v_add_nc_u32_e32 v25, 1, v22
	v_cndmask_b32_e64 v18, v18, v19, s0
	v_cndmask_b32_e64 v26, v23, v22, s1
	s_waitcnt lgkmcnt(0)
	v_cmp_lt_i32_e64 s2, v21, v20
	v_cndmask_b32_e64 v19, v24, v23, s1
	v_cndmask_b32_e64 v22, v22, v25, s1
	v_dual_cndmask_b32 v14, v15, v14 :: v_dual_and_b32 v15, 64, v7
	s_delay_alu instid0(VALU_DEP_3) | instskip(NEXT) | instid1(VALU_DEP_3)
	v_cmp_ge_i32_e64 s3, v19, v1
	v_cmp_lt_i32_e64 s4, v22, v2
	; wave barrier
	ds_store_2addr_b32 v6, v3, v4 offset1:1
	ds_store_2addr_b32 v6, v8, v9 offset0:2 offset1:3
	v_lshl_add_u32 v3, v14, 2, v5
	s_or_b32 s2, s3, s2
	v_lshl_add_u32 v4, v18, 2, v5
	s_and_b32 s2, s4, s2
	v_lshl_add_u32 v8, v26, 2, v5
	v_cndmask_b32_e64 v2, v19, v22, s2
	; wave barrier
	v_or_b32_e32 v9, 32, v15
	v_add_nc_u32_e32 v1, 64, v15
	s_delay_alu instid0(VALU_DEP_3)
	v_lshl_add_u32 v18, v2, 2, v5
	v_and_b32_e32 v14, 60, v7
	ds_load_b32 v2, v3
	ds_load_b32 v3, v4
	;; [unrolled: 1-line block ×4, first 2 shown]
	v_cndmask_b32_e64 v20, v20, v21, s2
	v_sub_nc_u32_e32 v19, v1, v9
	v_sub_nc_u32_e32 v21, v9, v15
	v_cndmask_b32_e64 v16, v16, v17, s1
	v_cndmask_b32_e64 v17, v13, v12, s0
	v_cndmask_b32_e32 v11, v10, v11, vcc_lo
	v_sub_nc_u32_e32 v18, v14, v19
	v_cmp_ge_i32_e64 s0, v14, v19
	v_min_i32_e32 v13, v14, v21
	v_lshl_add_u32 v10, v15, 2, v5
	s_mov_b32 s1, 0
	s_delay_alu instid0(VALU_DEP_3)
	v_cndmask_b32_e64 v12, 0, v18, s0
	s_mov_b32 s0, exec_lo
	; wave barrier
	ds_store_2addr_b32 v6, v11, v17 offset1:1
	ds_store_2addr_b32 v6, v16, v20 offset0:2 offset1:3
	; wave barrier
	v_cmpx_lt_i32_e64 v12, v13
	s_cbranch_execz .LBB29_52
; %bb.49:
	v_lshlrev_b32_e32 v11, 2, v9
	v_lshlrev_b32_e32 v16, 2, v14
	s_delay_alu instid0(VALU_DEP_1)
	v_add3_u32 v11, v5, v11, v16
	.p2align	6
.LBB29_50:                              ; =>This Inner Loop Header: Depth=1
	v_sub_nc_u32_e32 v16, v13, v12
	s_delay_alu instid0(VALU_DEP_1) | instskip(NEXT) | instid1(VALU_DEP_1)
	v_lshrrev_b32_e32 v17, 31, v16
	v_add_nc_u32_e32 v16, v16, v17
	s_delay_alu instid0(VALU_DEP_1) | instskip(NEXT) | instid1(VALU_DEP_1)
	v_ashrrev_i32_e32 v16, 1, v16
	v_add_nc_u32_e32 v16, v16, v12
	s_delay_alu instid0(VALU_DEP_1) | instskip(SKIP_2) | instid1(VALU_DEP_3)
	v_not_b32_e32 v17, v16
	v_lshl_add_u32 v18, v16, 2, v10
	v_add_nc_u32_e32 v19, 1, v16
	v_lshl_add_u32 v17, v17, 2, v11
	ds_load_b32 v18, v18
	ds_load_b32 v17, v17
	s_waitcnt lgkmcnt(0)
	v_cmp_lt_i32_e32 vcc_lo, v17, v18
	v_cndmask_b32_e32 v13, v13, v16, vcc_lo
	v_cndmask_b32_e32 v12, v19, v12, vcc_lo
	s_delay_alu instid0(VALU_DEP_1) | instskip(SKIP_1) | instid1(SALU_CYCLE_1)
	v_cmp_ge_i32_e32 vcc_lo, v12, v13
	s_or_b32 s1, vcc_lo, s1
	s_and_not1_b32 exec_lo, exec_lo, s1
	s_cbranch_execnz .LBB29_50
; %bb.51:
	s_or_b32 exec_lo, exec_lo, s1
.LBB29_52:
	s_delay_alu instid0(SALU_CYCLE_1) | instskip(SKIP_3) | instid1(VALU_DEP_3)
	s_or_b32 exec_lo, exec_lo, s0
	v_add_nc_u32_e32 v11, v9, v14
	v_lshl_add_u32 v17, v12, 2, v10
	v_add_nc_u32_e32 v15, v12, v15
                                        ; implicit-def: $vgpr13
	v_sub_nc_u32_e32 v14, v11, v12
                                        ; implicit-def: $vgpr12
	s_delay_alu instid0(VALU_DEP_2) | instskip(NEXT) | instid1(VALU_DEP_2)
	v_cmp_le_i32_e32 vcc_lo, v9, v15
	v_lshl_add_u32 v16, v14, 2, v5
	v_cmp_gt_i32_e64 s1, v1, v14
	ds_load_b32 v10, v17
	ds_load_b32 v11, v16
	s_waitcnt lgkmcnt(0)
	v_cmp_lt_i32_e64 s0, v11, v10
	s_delay_alu instid0(VALU_DEP_1) | instskip(NEXT) | instid1(SALU_CYCLE_1)
	s_or_b32 s0, vcc_lo, s0
	s_and_b32 vcc_lo, s1, s0
	s_delay_alu instid0(SALU_CYCLE_1) | instskip(NEXT) | instid1(SALU_CYCLE_1)
	s_xor_b32 s0, vcc_lo, -1
	s_and_saveexec_b32 s1, s0
	s_delay_alu instid0(SALU_CYCLE_1)
	s_xor_b32 s0, exec_lo, s1
	s_cbranch_execz .LBB29_54
; %bb.53:
	ds_load_b32 v13, v17 offset:4
	v_mov_b32_e32 v12, v11
                                        ; implicit-def: $vgpr16
.LBB29_54:
	s_and_not1_saveexec_b32 s0, s0
	s_cbranch_execz .LBB29_56
; %bb.55:
	ds_load_b32 v12, v16 offset:4
	s_waitcnt lgkmcnt(1)
	v_mov_b32_e32 v13, v10
.LBB29_56:
	s_or_b32 exec_lo, exec_lo, s0
	v_add_nc_u32_e32 v17, 1, v14
	v_add_nc_u32_e32 v16, 1, v15
	s_waitcnt lgkmcnt(0)
	v_cmp_lt_i32_e64 s1, v12, v13
	s_delay_alu instid0(VALU_DEP_2) | instskip(NEXT) | instid1(VALU_DEP_1)
	v_dual_cndmask_b32 v19, v14, v17 :: v_dual_cndmask_b32 v18, v16, v15
                                        ; implicit-def: $vgpr16
	v_cmp_lt_i32_e64 s2, v19, v1
	s_delay_alu instid0(VALU_DEP_2) | instskip(NEXT) | instid1(VALU_DEP_1)
	v_cmp_ge_i32_e64 s0, v18, v9
	s_or_b32 s0, s0, s1
	s_delay_alu instid0(VALU_DEP_2) | instid1(SALU_CYCLE_1)
	s_and_b32 s0, s2, s0
	s_delay_alu instid0(SALU_CYCLE_1) | instskip(NEXT) | instid1(SALU_CYCLE_1)
	s_xor_b32 s1, s0, -1
	s_and_saveexec_b32 s2, s1
	s_delay_alu instid0(SALU_CYCLE_1)
	s_xor_b32 s1, exec_lo, s2
	s_cbranch_execz .LBB29_58
; %bb.57:
	v_lshl_add_u32 v16, v18, 2, v5
	ds_load_b32 v16, v16 offset:4
.LBB29_58:
	s_or_saveexec_b32 s1, s1
	v_mov_b32_e32 v17, v12
	s_xor_b32 exec_lo, exec_lo, s1
	s_cbranch_execz .LBB29_60
; %bb.59:
	s_waitcnt lgkmcnt(0)
	v_lshl_add_u32 v16, v19, 2, v5
	ds_load_b32 v17, v16 offset:4
	v_mov_b32_e32 v16, v13
.LBB29_60:
	s_or_b32 exec_lo, exec_lo, s1
	v_add_nc_u32_e32 v20, 1, v18
	v_add_nc_u32_e32 v21, 1, v19
	s_waitcnt lgkmcnt(0)
	v_cmp_lt_i32_e64 s2, v17, v16
	s_delay_alu instid0(VALU_DEP_3) | instskip(NEXT) | instid1(VALU_DEP_3)
	v_cndmask_b32_e64 v22, v20, v18, s0
	v_cndmask_b32_e64 v21, v19, v21, s0
                                        ; implicit-def: $vgpr20
	s_delay_alu instid0(VALU_DEP_2) | instskip(NEXT) | instid1(VALU_DEP_2)
	v_cmp_ge_i32_e64 s1, v22, v9
	v_cmp_lt_i32_e64 s3, v21, v1
	s_delay_alu instid0(VALU_DEP_2)
	s_or_b32 s1, s1, s2
	s_delay_alu instid0(VALU_DEP_1) | instid1(SALU_CYCLE_1)
	s_and_b32 s1, s3, s1
	s_delay_alu instid0(SALU_CYCLE_1) | instskip(NEXT) | instid1(SALU_CYCLE_1)
	s_xor_b32 s2, s1, -1
	s_and_saveexec_b32 s3, s2
	s_delay_alu instid0(SALU_CYCLE_1)
	s_xor_b32 s2, exec_lo, s3
	s_cbranch_execz .LBB29_62
; %bb.61:
	v_lshl_add_u32 v20, v22, 2, v5
	ds_load_b32 v20, v20 offset:4
.LBB29_62:
	s_or_saveexec_b32 s2, s2
	v_mov_b32_e32 v23, v17
	s_xor_b32 exec_lo, exec_lo, s2
	s_cbranch_execz .LBB29_64
; %bb.63:
	s_waitcnt lgkmcnt(0)
	v_lshl_add_u32 v20, v21, 2, v5
	ds_load_b32 v23, v20 offset:4
	v_mov_b32_e32 v20, v16
.LBB29_64:
	s_or_b32 exec_lo, exec_lo, s2
	v_add_nc_u32_e32 v24, 1, v22
	v_dual_cndmask_b32 v10, v10, v11 :: v_dual_add_nc_u32 v25, 1, v21
	v_cndmask_b32_e64 v18, v18, v19, s0
	s_waitcnt lgkmcnt(0)
	v_cmp_lt_i32_e64 s2, v23, v20
	v_cndmask_b32_e64 v24, v24, v22, s1
	v_cndmask_b32_e64 v19, v21, v25, s1
	;; [unrolled: 1-line block ×3, first 2 shown]
	; wave barrier
	s_delay_alu instid0(VALU_DEP_3) | instskip(NEXT) | instid1(VALU_DEP_3)
	v_cmp_ge_i32_e64 s3, v24, v9
	v_cmp_lt_i32_e64 s4, v19, v1
	v_cndmask_b32_e32 v9, v15, v14, vcc_lo
	ds_store_2addr_b32 v6, v2, v3 offset1:1
	ds_store_2addr_b32 v6, v4, v8 offset0:2 offset1:3
	v_and_b32_e32 v8, 0x7c, v7
	s_or_b32 s2, s3, s2
	v_lshl_add_u32 v3, v18, 2, v5
	s_and_b32 s2, s4, s2
	v_lshl_add_u32 v2, v9, 2, v5
	v_cndmask_b32_e64 v1, v24, v19, s2
	v_lshl_add_u32 v4, v22, 2, v5
	; wave barrier
	v_subrev_nc_u32_e32 v7, 64, v8
	s_delay_alu instid0(VALU_DEP_3)
	v_lshl_add_u32 v9, v1, 2, v5
	v_cndmask_b32_e64 v12, v13, v12, s0
	ds_load_b32 v1, v2
	ds_load_b32 v2, v3
	;; [unrolled: 1-line block ×4, first 2 shown]
	v_cmp_lt_i32_e64 s0, 63, v8
	v_min_i32_e32 v9, 64, v8
	v_cndmask_b32_e64 v14, v20, v23, s2
	v_cndmask_b32_e64 v11, v16, v17, s1
	s_delay_alu instid0(VALU_DEP_4)
	v_cndmask_b32_e64 v7, 0, v7, s0
	s_mov_b32 s0, exec_lo
	; wave barrier
	ds_store_2addr_b32 v6, v10, v12 offset1:1
	ds_store_2addr_b32 v6, v11, v14 offset0:2 offset1:3
	; wave barrier
	v_cmpx_lt_i32_e64 v7, v9
	s_cbranch_execz .LBB29_68
; %bb.65:
	v_lshlrev_b32_e32 v10, 2, v8
	s_mov_b32 s1, 0
	s_delay_alu instid0(VALU_DEP_1)
	v_add3_u32 v10, 0x100, v5, v10
	.p2align	6
.LBB29_66:                              ; =>This Inner Loop Header: Depth=1
	v_sub_nc_u32_e32 v11, v9, v7
	s_delay_alu instid0(VALU_DEP_1) | instskip(NEXT) | instid1(VALU_DEP_1)
	v_lshrrev_b32_e32 v12, 31, v11
	v_add_nc_u32_e32 v11, v11, v12
	s_delay_alu instid0(VALU_DEP_1) | instskip(NEXT) | instid1(VALU_DEP_1)
	v_ashrrev_i32_e32 v11, 1, v11
	v_add_nc_u32_e32 v11, v11, v7
	s_delay_alu instid0(VALU_DEP_1) | instskip(SKIP_2) | instid1(VALU_DEP_3)
	v_not_b32_e32 v12, v11
	v_lshl_add_u32 v13, v11, 2, v5
	v_add_nc_u32_e32 v14, 1, v11
	v_lshl_add_u32 v12, v12, 2, v10
	ds_load_b32 v13, v13
	ds_load_b32 v12, v12
	s_waitcnt lgkmcnt(0)
	v_cmp_lt_i32_e32 vcc_lo, v12, v13
	v_cndmask_b32_e32 v9, v9, v11, vcc_lo
	v_cndmask_b32_e32 v7, v14, v7, vcc_lo
	s_delay_alu instid0(VALU_DEP_1) | instskip(SKIP_1) | instid1(SALU_CYCLE_1)
	v_cmp_ge_i32_e32 vcc_lo, v7, v9
	s_or_b32 s1, vcc_lo, s1
	s_and_not1_b32 exec_lo, exec_lo, s1
	s_cbranch_execnz .LBB29_66
; %bb.67:
	s_or_b32 exec_lo, exec_lo, s1
.LBB29_68:
	s_delay_alu instid0(SALU_CYCLE_1) | instskip(SKIP_3) | instid1(VALU_DEP_3)
	s_or_b32 exec_lo, exec_lo, s0
	v_add_nc_u32_e32 v8, 64, v8
	v_lshl_add_u32 v14, v7, 2, v5
	v_cmp_le_i32_e32 vcc_lo, 64, v7
                                        ; implicit-def: $vgpr10
                                        ; implicit-def: $vgpr11
	v_sub_nc_u32_e32 v12, v8, v7
	s_delay_alu instid0(VALU_DEP_1)
	v_lshl_add_u32 v13, v12, 2, v5
	v_cmp_gt_i32_e64 s1, 0x80, v12
	ds_load_b32 v8, v14
	ds_load_b32 v9, v13
	s_waitcnt lgkmcnt(0)
	v_cmp_lt_i32_e64 s0, v9, v8
	s_delay_alu instid0(VALU_DEP_1) | instskip(NEXT) | instid1(SALU_CYCLE_1)
	s_or_b32 s0, vcc_lo, s0
	s_and_b32 vcc_lo, s1, s0
	s_delay_alu instid0(SALU_CYCLE_1) | instskip(NEXT) | instid1(SALU_CYCLE_1)
	s_xor_b32 s0, vcc_lo, -1
	s_and_saveexec_b32 s1, s0
	s_delay_alu instid0(SALU_CYCLE_1)
	s_xor_b32 s0, exec_lo, s1
	s_cbranch_execz .LBB29_70
; %bb.69:
	ds_load_b32 v11, v14 offset:4
	v_mov_b32_e32 v10, v9
                                        ; implicit-def: $vgpr13
.LBB29_70:
	s_and_not1_saveexec_b32 s0, s0
	s_cbranch_execz .LBB29_72
; %bb.71:
	ds_load_b32 v10, v13 offset:4
	s_waitcnt lgkmcnt(1)
	v_mov_b32_e32 v11, v8
.LBB29_72:
	s_or_b32 exec_lo, exec_lo, s0
	v_add_nc_u32_e32 v14, 1, v12
	v_add_nc_u32_e32 v13, 1, v7
	s_waitcnt lgkmcnt(0)
	v_cmp_lt_i32_e64 s1, v10, v11
                                        ; implicit-def: $vgpr16
	s_delay_alu instid0(VALU_DEP_2) | instskip(NEXT) | instid1(VALU_DEP_1)
	v_dual_cndmask_b32 v14, v12, v14 :: v_dual_cndmask_b32 v13, v13, v7
	v_cmp_gt_i32_e64 s2, 0x80, v14
	s_delay_alu instid0(VALU_DEP_2) | instskip(NEXT) | instid1(VALU_DEP_1)
	v_cmp_le_i32_e64 s0, 64, v13
	s_or_b32 s0, s0, s1
	s_delay_alu instid0(VALU_DEP_2) | instid1(SALU_CYCLE_1)
	s_and_b32 s0, s2, s0
	s_delay_alu instid0(SALU_CYCLE_1) | instskip(NEXT) | instid1(SALU_CYCLE_1)
	s_xor_b32 s1, s0, -1
	s_and_saveexec_b32 s2, s1
	s_delay_alu instid0(SALU_CYCLE_1)
	s_xor_b32 s1, exec_lo, s2
	s_cbranch_execz .LBB29_74
; %bb.73:
	v_lshl_add_u32 v15, v13, 2, v5
	ds_load_b32 v16, v15 offset:4
.LBB29_74:
	s_or_saveexec_b32 s1, s1
	v_mov_b32_e32 v15, v10
	s_xor_b32 exec_lo, exec_lo, s1
	s_cbranch_execz .LBB29_76
; %bb.75:
	v_lshl_add_u32 v15, v14, 2, v5
	s_waitcnt lgkmcnt(0)
	v_mov_b32_e32 v16, v11
	ds_load_b32 v15, v15 offset:4
.LBB29_76:
	s_or_b32 exec_lo, exec_lo, s1
	v_add_nc_u32_e32 v17, 1, v13
	v_add_nc_u32_e32 v18, 1, v14
	s_waitcnt lgkmcnt(0)
	v_cmp_ge_i32_e64 s2, v15, v16
                                        ; implicit-def: $vgpr20
                                        ; implicit-def: $vgpr19
	s_delay_alu instid0(VALU_DEP_3) | instskip(NEXT) | instid1(VALU_DEP_3)
	v_cndmask_b32_e64 v21, v17, v13, s0
	v_cndmask_b32_e64 v17, v14, v18, s0
	s_delay_alu instid0(VALU_DEP_2) | instskip(NEXT) | instid1(VALU_DEP_2)
	v_cmp_gt_i32_e64 s1, 64, v21
	v_cmp_le_i32_e64 s3, 0x80, v17
	s_delay_alu instid0(VALU_DEP_2)
	s_and_b32 s1, s1, s2
	s_delay_alu instid0(VALU_DEP_1) | instid1(SALU_CYCLE_1)
	s_or_b32 s1, s3, s1
	s_delay_alu instid0(SALU_CYCLE_1) | instskip(NEXT) | instid1(SALU_CYCLE_1)
	s_and_saveexec_b32 s2, s1
	s_xor_b32 s1, exec_lo, s2
	s_cbranch_execz .LBB29_78
; %bb.77:
	v_lshl_add_u32 v18, v21, 2, v5
	v_add_nc_u32_e32 v19, 1, v21
	ds_load_b32 v20, v18 offset:4
.LBB29_78:
	s_or_saveexec_b32 s1, s1
	v_mov_b32_e32 v18, v16
	v_mov_b32_e32 v22, v21
	s_xor_b32 exec_lo, exec_lo, s1
	s_cbranch_execz .LBB29_80
; %bb.79:
	v_lshl_add_u32 v18, v17, 2, v5
	s_waitcnt lgkmcnt(0)
	v_dual_mov_b32 v19, v21 :: v_dual_add_nc_u32 v20, 1, v17
	ds_load_b32 v23, v18 offset:4
	v_mov_b32_e32 v18, v15
	v_dual_mov_b32 v22, v17 :: v_dual_mov_b32 v17, v20
	s_waitcnt lgkmcnt(0)
	v_dual_mov_b32 v20, v16 :: v_dual_mov_b32 v15, v23
.LBB29_80:
	s_or_b32 exec_lo, exec_lo, s1
	v_cmp_le_i32_e64 s1, 64, v19
	s_waitcnt lgkmcnt(0)
	s_delay_alu instid0(VALU_DEP_2)
	v_cmp_lt_i32_e64 s2, v15, v20
	v_cmp_gt_i32_e64 s3, 0x80, v17
	; wave barrier
	ds_store_2addr_b32 v6, v1, v2 offset1:1
	ds_store_2addr_b32 v6, v3, v4 offset0:2 offset1:3
	s_or_b32 s1, s1, s2
	v_cndmask_b32_e64 v6, v11, v10, s0
	v_cndmask_b32_e32 v7, v7, v12, vcc_lo
	v_cndmask_b32_e64 v13, v13, v14, s0
	s_and_b32 s1, s3, s1
	v_lshl_add_u32 v3, v22, 2, v5
	v_cndmask_b32_e64 v14, v19, v17, s1
	v_lshl_add_u32 v1, v7, 2, v5
	v_lshl_add_u32 v2, v13, 2, v5
	; wave barrier
	s_delay_alu instid0(VALU_DEP_3)
	v_lshl_add_u32 v4, v14, 2, v5
	ds_load_b32 v1, v1
	ds_load_b32 v2, v2
	;; [unrolled: 1-line block ×4, first 2 shown]
	v_cndmask_b32_e64 v12, v20, v15, s1
	v_dual_cndmask_b32 v5, v8, v9 :: v_dual_lshlrev_b32 v0, 2, v0
	s_add_u32 s0, s10, s12
	s_addc_u32 s1, s11, s13
	s_waitcnt lgkmcnt(3)
	s_delay_alu instid0(VALU_DEP_1)
	v_add_nc_u32_e32 v1, v1, v5
	s_waitcnt lgkmcnt(2)
	v_add_nc_u32_e32 v2, v2, v6
	s_waitcnt lgkmcnt(1)
	;; [unrolled: 2-line block ×3, first 2 shown]
	v_add_nc_u32_e32 v4, v4, v12
	global_store_b128 v0, v[1:4], s[0:1]
	s_nop 0
	s_sendmsg sendmsg(MSG_DEALLOC_VGPRS)
	s_endpgm
	.section	.rodata,"a",@progbits
	.p2align	6, 0x0
	.amdhsa_kernel _Z10sort_pairsILj256ELj32ELj4EiN10test_utils4lessEEvPKT2_PS2_T3_
		.amdhsa_group_segment_fixed_size 4128
		.amdhsa_private_segment_fixed_size 0
		.amdhsa_kernarg_size 20
		.amdhsa_user_sgpr_count 15
		.amdhsa_user_sgpr_dispatch_ptr 0
		.amdhsa_user_sgpr_queue_ptr 0
		.amdhsa_user_sgpr_kernarg_segment_ptr 1
		.amdhsa_user_sgpr_dispatch_id 0
		.amdhsa_user_sgpr_private_segment_size 0
		.amdhsa_wavefront_size32 1
		.amdhsa_uses_dynamic_stack 0
		.amdhsa_enable_private_segment 0
		.amdhsa_system_sgpr_workgroup_id_x 1
		.amdhsa_system_sgpr_workgroup_id_y 0
		.amdhsa_system_sgpr_workgroup_id_z 0
		.amdhsa_system_sgpr_workgroup_info 0
		.amdhsa_system_vgpr_workitem_id 0
		.amdhsa_next_free_vgpr 28
		.amdhsa_next_free_sgpr 16
		.amdhsa_reserve_vcc 1
		.amdhsa_float_round_mode_32 0
		.amdhsa_float_round_mode_16_64 0
		.amdhsa_float_denorm_mode_32 3
		.amdhsa_float_denorm_mode_16_64 3
		.amdhsa_dx10_clamp 1
		.amdhsa_ieee_mode 1
		.amdhsa_fp16_overflow 0
		.amdhsa_workgroup_processor_mode 1
		.amdhsa_memory_ordered 1
		.amdhsa_forward_progress 0
		.amdhsa_shared_vgpr_count 0
		.amdhsa_exception_fp_ieee_invalid_op 0
		.amdhsa_exception_fp_denorm_src 0
		.amdhsa_exception_fp_ieee_div_zero 0
		.amdhsa_exception_fp_ieee_overflow 0
		.amdhsa_exception_fp_ieee_underflow 0
		.amdhsa_exception_fp_ieee_inexact 0
		.amdhsa_exception_int_div_zero 0
	.end_amdhsa_kernel
	.section	.text._Z10sort_pairsILj256ELj32ELj4EiN10test_utils4lessEEvPKT2_PS2_T3_,"axG",@progbits,_Z10sort_pairsILj256ELj32ELj4EiN10test_utils4lessEEvPKT2_PS2_T3_,comdat
.Lfunc_end29:
	.size	_Z10sort_pairsILj256ELj32ELj4EiN10test_utils4lessEEvPKT2_PS2_T3_, .Lfunc_end29-_Z10sort_pairsILj256ELj32ELj4EiN10test_utils4lessEEvPKT2_PS2_T3_
                                        ; -- End function
	.section	.AMDGPU.csdata,"",@progbits
; Kernel info:
; codeLenInByte = 4932
; NumSgprs: 18
; NumVgprs: 28
; ScratchSize: 0
; MemoryBound: 0
; FloatMode: 240
; IeeeMode: 1
; LDSByteSize: 4128 bytes/workgroup (compile time only)
; SGPRBlocks: 2
; VGPRBlocks: 3
; NumSGPRsForWavesPerEU: 18
; NumVGPRsForWavesPerEU: 28
; Occupancy: 16
; WaveLimiterHint : 0
; COMPUTE_PGM_RSRC2:SCRATCH_EN: 0
; COMPUTE_PGM_RSRC2:USER_SGPR: 15
; COMPUTE_PGM_RSRC2:TRAP_HANDLER: 0
; COMPUTE_PGM_RSRC2:TGID_X_EN: 1
; COMPUTE_PGM_RSRC2:TGID_Y_EN: 0
; COMPUTE_PGM_RSRC2:TGID_Z_EN: 0
; COMPUTE_PGM_RSRC2:TIDIG_COMP_CNT: 0
	.section	.text._Z19sort_keys_segmentedILj256ELj32ELj4EiN10test_utils4lessEEvPKT2_PS2_PKjT3_,"axG",@progbits,_Z19sort_keys_segmentedILj256ELj32ELj4EiN10test_utils4lessEEvPKT2_PS2_PKjT3_,comdat
	.protected	_Z19sort_keys_segmentedILj256ELj32ELj4EiN10test_utils4lessEEvPKT2_PS2_PKjT3_ ; -- Begin function _Z19sort_keys_segmentedILj256ELj32ELj4EiN10test_utils4lessEEvPKT2_PS2_PKjT3_
	.globl	_Z19sort_keys_segmentedILj256ELj32ELj4EiN10test_utils4lessEEvPKT2_PS2_PKjT3_
	.p2align	8
	.type	_Z19sort_keys_segmentedILj256ELj32ELj4EiN10test_utils4lessEEvPKT2_PS2_PKjT3_,@function
_Z19sort_keys_segmentedILj256ELj32ELj4EiN10test_utils4lessEEvPKT2_PS2_PKjT3_: ; @_Z19sort_keys_segmentedILj256ELj32ELj4EiN10test_utils4lessEEvPKT2_PS2_PKjT3_
; %bb.0:
	s_clause 0x1
	s_load_b64 s[2:3], s[0:1], 0x10
	s_load_b128 s[8:11], s[0:1], 0x0
	v_lshrrev_b32_e32 v13, 5, v0
	s_delay_alu instid0(VALU_DEP_1) | instskip(SKIP_1) | instid1(VALU_DEP_1)
	v_lshl_or_b32 v0, s15, 3, v13
	v_mov_b32_e32 v1, 0
	v_lshlrev_b64 v[2:3], 2, v[0:1]
	v_lshlrev_b32_e32 v0, 7, v0
	s_delay_alu instid0(VALU_DEP_1) | instskip(SKIP_1) | instid1(VALU_DEP_3)
	v_lshlrev_b64 v[4:5], 2, v[0:1]
	s_waitcnt lgkmcnt(0)
	v_add_co_u32 v2, vcc_lo, s2, v2
	s_delay_alu instid0(VALU_DEP_4) | instskip(NEXT) | instid1(VALU_DEP_3)
	v_add_co_ci_u32_e32 v3, vcc_lo, s3, v3, vcc_lo
	v_add_co_u32 v1, vcc_lo, s8, v4
	global_load_b32 v8, v[2:3], off
	v_mbcnt_lo_u32_b32 v2, -1, 0
	v_add_co_ci_u32_e32 v3, vcc_lo, s9, v5, vcc_lo
	s_delay_alu instid0(VALU_DEP_2) | instskip(SKIP_1) | instid1(VALU_DEP_2)
	v_lshlrev_b32_e32 v0, 4, v2
	v_lshlrev_b32_e32 v9, 2, v2
	v_add_co_u32 v6, vcc_lo, v1, v0
	s_delay_alu instid0(VALU_DEP_4) | instskip(SKIP_1) | instid1(VALU_DEP_3)
	v_add_co_ci_u32_e32 v7, vcc_lo, 0, v3, vcc_lo
                                        ; implicit-def: $vgpr0_vgpr1_vgpr2_vgpr3
	s_waitcnt vmcnt(0)
	v_cmp_lt_u32_e32 vcc_lo, v9, v8
	s_and_saveexec_b32 s0, vcc_lo
	s_cbranch_execz .LBB30_2
; %bb.1:
	global_load_b32 v0, v[6:7], off
.LBB30_2:
	s_or_b32 exec_lo, exec_lo, s0
	v_or_b32_e32 v10, 1, v9
	s_delay_alu instid0(VALU_DEP_1) | instskip(NEXT) | instid1(VALU_DEP_1)
	v_cmp_lt_u32_e64 s0, v10, v8
	s_and_saveexec_b32 s1, s0
	s_cbranch_execz .LBB30_4
; %bb.3:
	global_load_b32 v1, v[6:7], off offset:4
.LBB30_4:
	s_or_b32 exec_lo, exec_lo, s1
	v_or_b32_e32 v11, 2, v9
	s_delay_alu instid0(VALU_DEP_1) | instskip(NEXT) | instid1(VALU_DEP_1)
	v_cmp_lt_u32_e64 s1, v11, v8
	s_and_saveexec_b32 s2, s1
	s_cbranch_execz .LBB30_6
; %bb.5:
	global_load_b32 v2, v[6:7], off offset:8
.LBB30_6:
	s_or_b32 exec_lo, exec_lo, s2
	v_or_b32_e32 v12, 3, v9
	s_delay_alu instid0(VALU_DEP_1) | instskip(NEXT) | instid1(VALU_DEP_1)
	v_cmp_lt_u32_e64 s2, v12, v8
	s_and_saveexec_b32 s3, s2
	s_cbranch_execz .LBB30_8
; %bb.7:
	global_load_b32 v3, v[6:7], off offset:12
.LBB30_8:
	s_or_b32 exec_lo, exec_lo, s3
	v_cmp_lt_i32_e64 s3, v11, v8
	v_cmp_lt_i32_e64 s4, v12, v8
	;; [unrolled: 1-line block ×3, first 2 shown]
	s_mov_b32 s6, exec_lo
	s_delay_alu instid0(VALU_DEP_2) | instskip(SKIP_4) | instid1(SALU_CYCLE_1)
	s_or_b32 s3, s4, s3
	s_waitcnt vmcnt(0)
	v_cndmask_b32_e64 v3, 0x7fffffff, v3, s4
	v_cndmask_b32_e64 v2, 0x7fffffff, v2, s3
	s_or_b32 s3, s3, s5
	v_cndmask_b32_e64 v1, 0x7fffffff, v1, s3
	v_cmpx_lt_i32_e64 v9, v8
	s_cbranch_execz .LBB30_10
; %bb.9:
	v_cmp_lt_i32_e64 s3, v3, v2
	s_delay_alu instid0(VALU_DEP_3) | instskip(SKIP_2) | instid1(VALU_DEP_4)
	v_cmp_lt_i32_e64 s4, v1, v0
	v_max_i32_e32 v7, v1, v0
	v_min_i32_e32 v11, v3, v2
	v_cndmask_b32_e64 v10, v3, v2, s3
	s_delay_alu instid0(VALU_DEP_4)
	v_cndmask_b32_e64 v6, v0, v1, s4
	v_cndmask_b32_e64 v12, v2, v3, s3
	;; [unrolled: 1-line block ×3, first 2 shown]
	v_min_i32_e32 v1, v1, v0
	v_max_i32_e32 v2, v3, v2
	v_cmp_lt_i32_e64 s3, v11, v7
	v_min_i32_e32 v3, v11, v7
	v_max_i32_e32 v15, v11, v7
	v_cmp_lt_i32_e64 s4, v11, v1
	v_cmp_gt_i32_e64 s5, v7, v2
	v_cndmask_b32_e64 v12, v12, v7, s3
	v_cndmask_b32_e64 v7, v14, v11, s3
	s_delay_alu instid0(VALU_DEP_4)
	v_cndmask_b32_e64 v0, v6, v3, s4
	v_cndmask_b32_e64 v6, v3, v1, s4
	;; [unrolled: 1-line block ×6, first 2 shown]
	s_delay_alu instid0(VALU_DEP_3) | instskip(NEXT) | instid1(VALU_DEP_1)
	v_cmp_lt_i32_e64 s3, v10, v6
	v_cndmask_b32_e64 v2, v2, v6, s3
	s_delay_alu instid0(VALU_DEP_4)
	v_cndmask_b32_e64 v1, v1, v10, s3
.LBB30_10:
	s_or_b32 exec_lo, exec_lo, s6
	v_and_b32_e32 v6, 0x78, v9
	v_and_b32_e32 v7, 4, v9
	s_mov_b32 s5, 0
	s_mov_b32 s4, exec_lo
	s_delay_alu instid0(VALU_DEP_2) | instskip(NEXT) | instid1(VALU_DEP_2)
	v_min_i32_e32 v14, v8, v6
	v_min_i32_e32 v15, v8, v7
	v_mul_u32_u24_e32 v7, 0x204, v13
	; wave barrier
	s_delay_alu instid0(VALU_DEP_3) | instskip(SKIP_1) | instid1(VALU_DEP_2)
	v_add_nc_u32_e32 v6, 4, v14
	v_lshlrev_b32_e32 v19, 2, v14
	v_min_i32_e32 v12, v8, v6
	s_delay_alu instid0(VALU_DEP_1) | instskip(SKIP_1) | instid1(VALU_DEP_2)
	v_add_nc_u32_e32 v6, 4, v12
	v_sub_nc_u32_e32 v16, v12, v14
	v_min_i32_e32 v11, v8, v6
	v_lshlrev_b32_e32 v6, 2, v9
	s_delay_alu instid0(VALU_DEP_3) | instskip(NEXT) | instid1(VALU_DEP_3)
	v_min_i32_e32 v17, v15, v16
	v_sub_nc_u32_e32 v10, v11, v12
	s_delay_alu instid0(VALU_DEP_1)
	v_sub_nc_u32_e32 v18, v15, v10
	v_cmp_ge_i32_e64 s3, v15, v10
	v_mad_u32_u24 v10, 0x204, v13, v6
	v_mad_u32_u24 v13, 0x204, v13, v19
	ds_store_2addr_b32 v10, v0, v1 offset1:1
	ds_store_2addr_b32 v10, v2, v3 offset0:2 offset1:3
	v_cndmask_b32_e64 v16, 0, v18, s3
	; wave barrier
	s_delay_alu instid0(VALU_DEP_1)
	v_cmpx_lt_i32_e64 v16, v17
	s_cbranch_execz .LBB30_14
; %bb.11:
	v_lshlrev_b32_e32 v0, 2, v12
	v_lshlrev_b32_e32 v1, 2, v15
	s_delay_alu instid0(VALU_DEP_1)
	v_add3_u32 v0, v7, v0, v1
	.p2align	6
.LBB30_12:                              ; =>This Inner Loop Header: Depth=1
	v_sub_nc_u32_e32 v1, v17, v16
	s_delay_alu instid0(VALU_DEP_1) | instskip(NEXT) | instid1(VALU_DEP_1)
	v_lshrrev_b32_e32 v2, 31, v1
	v_add_nc_u32_e32 v1, v1, v2
	s_delay_alu instid0(VALU_DEP_1) | instskip(NEXT) | instid1(VALU_DEP_1)
	v_ashrrev_i32_e32 v1, 1, v1
	v_add_nc_u32_e32 v1, v1, v16
	s_delay_alu instid0(VALU_DEP_1) | instskip(SKIP_2) | instid1(VALU_DEP_3)
	v_not_b32_e32 v2, v1
	v_lshl_add_u32 v3, v1, 2, v13
	v_add_nc_u32_e32 v18, 1, v1
	v_lshl_add_u32 v2, v2, 2, v0
	ds_load_b32 v3, v3
	ds_load_b32 v2, v2
	s_waitcnt lgkmcnt(0)
	v_cmp_lt_i32_e64 s3, v2, v3
	s_delay_alu instid0(VALU_DEP_1) | instskip(SKIP_1) | instid1(VALU_DEP_1)
	v_cndmask_b32_e64 v17, v17, v1, s3
	v_cndmask_b32_e64 v16, v18, v16, s3
	v_cmp_ge_i32_e64 s3, v16, v17
	s_delay_alu instid0(VALU_DEP_1) | instskip(NEXT) | instid1(SALU_CYCLE_1)
	s_or_b32 s5, s3, s5
	s_and_not1_b32 exec_lo, exec_lo, s5
	s_cbranch_execnz .LBB30_12
; %bb.13:
	s_or_b32 exec_lo, exec_lo, s5
.LBB30_14:
	s_delay_alu instid0(SALU_CYCLE_1) | instskip(SKIP_3) | instid1(VALU_DEP_3)
	s_or_b32 exec_lo, exec_lo, s4
	v_add_nc_u32_e32 v0, v12, v15
	v_lshl_add_u32 v17, v16, 2, v13
	v_add_nc_u32_e32 v14, v16, v14
                                        ; implicit-def: $vgpr2
                                        ; implicit-def: $vgpr13
	v_sub_nc_u32_e32 v0, v0, v16
	s_delay_alu instid0(VALU_DEP_2) | instskip(NEXT) | instid1(VALU_DEP_2)
	v_cmp_le_i32_e64 s3, v12, v14
	v_lshl_add_u32 v15, v0, 2, v7
	v_cmp_gt_i32_e64 s5, v11, v0
	ds_load_b32 v1, v17
	ds_load_b32 v3, v15
	s_waitcnt lgkmcnt(0)
	v_cmp_lt_i32_e64 s4, v3, v1
	s_delay_alu instid0(VALU_DEP_1) | instskip(NEXT) | instid1(SALU_CYCLE_1)
	s_or_b32 s3, s3, s4
	s_and_b32 s3, s5, s3
	s_delay_alu instid0(SALU_CYCLE_1) | instskip(NEXT) | instid1(SALU_CYCLE_1)
	s_xor_b32 s4, s3, -1
	s_and_saveexec_b32 s5, s4
	s_delay_alu instid0(SALU_CYCLE_1)
	s_xor_b32 s4, exec_lo, s5
	s_cbranch_execz .LBB30_16
; %bb.15:
	ds_load_b32 v13, v17 offset:4
	v_mov_b32_e32 v2, v3
                                        ; implicit-def: $vgpr15
.LBB30_16:
	s_and_not1_saveexec_b32 s4, s4
	s_cbranch_execz .LBB30_18
; %bb.17:
	ds_load_b32 v2, v15 offset:4
	s_waitcnt lgkmcnt(1)
	v_mov_b32_e32 v13, v1
.LBB30_18:
	s_or_b32 exec_lo, exec_lo, s4
	v_add_nc_u32_e32 v15, 1, v14
	v_add_nc_u32_e32 v16, 1, v0
	s_waitcnt lgkmcnt(0)
	v_cmp_lt_i32_e64 s5, v2, v13
	s_delay_alu instid0(VALU_DEP_3) | instskip(NEXT) | instid1(VALU_DEP_3)
	v_cndmask_b32_e64 v14, v15, v14, s3
	v_cndmask_b32_e64 v0, v0, v16, s3
                                        ; implicit-def: $vgpr15
	s_delay_alu instid0(VALU_DEP_2) | instskip(NEXT) | instid1(VALU_DEP_2)
	v_cmp_ge_i32_e64 s4, v14, v12
	v_cmp_lt_i32_e64 s6, v0, v11
	s_delay_alu instid0(VALU_DEP_2)
	s_or_b32 s4, s4, s5
	s_delay_alu instid0(VALU_DEP_1) | instid1(SALU_CYCLE_1)
	s_and_b32 s4, s6, s4
	s_delay_alu instid0(SALU_CYCLE_1) | instskip(NEXT) | instid1(SALU_CYCLE_1)
	s_xor_b32 s5, s4, -1
	s_and_saveexec_b32 s6, s5
	s_delay_alu instid0(SALU_CYCLE_1)
	s_xor_b32 s5, exec_lo, s6
	s_cbranch_execz .LBB30_20
; %bb.19:
	v_lshl_add_u32 v15, v14, 2, v7
	ds_load_b32 v15, v15 offset:4
.LBB30_20:
	s_or_saveexec_b32 s5, s5
	v_mov_b32_e32 v16, v2
	s_xor_b32 exec_lo, exec_lo, s5
	s_cbranch_execz .LBB30_22
; %bb.21:
	s_waitcnt lgkmcnt(0)
	v_lshl_add_u32 v15, v0, 2, v7
	ds_load_b32 v16, v15 offset:4
	v_mov_b32_e32 v15, v13
.LBB30_22:
	s_or_b32 exec_lo, exec_lo, s5
	v_add_nc_u32_e32 v17, 1, v14
	v_add_nc_u32_e32 v18, 1, v0
	s_waitcnt lgkmcnt(0)
	v_cmp_lt_i32_e64 s6, v16, v15
	s_delay_alu instid0(VALU_DEP_3) | instskip(NEXT) | instid1(VALU_DEP_3)
	v_cndmask_b32_e64 v19, v17, v14, s4
	v_cndmask_b32_e64 v18, v0, v18, s4
                                        ; implicit-def: $vgpr17
	s_delay_alu instid0(VALU_DEP_2) | instskip(NEXT) | instid1(VALU_DEP_2)
	v_cmp_ge_i32_e64 s5, v19, v12
	v_cmp_lt_i32_e64 s7, v18, v11
	s_delay_alu instid0(VALU_DEP_2)
	s_or_b32 s5, s5, s6
	s_delay_alu instid0(VALU_DEP_1) | instid1(SALU_CYCLE_1)
	s_and_b32 s5, s7, s5
	s_delay_alu instid0(SALU_CYCLE_1) | instskip(NEXT) | instid1(SALU_CYCLE_1)
	s_xor_b32 s6, s5, -1
	s_and_saveexec_b32 s7, s6
	s_delay_alu instid0(SALU_CYCLE_1)
	s_xor_b32 s6, exec_lo, s7
	s_cbranch_execz .LBB30_24
; %bb.23:
	v_lshl_add_u32 v0, v19, 2, v7
	ds_load_b32 v17, v0 offset:4
.LBB30_24:
	s_or_saveexec_b32 s6, s6
	v_mov_b32_e32 v20, v16
	s_xor_b32 exec_lo, exec_lo, s6
	s_cbranch_execz .LBB30_26
; %bb.25:
	v_lshl_add_u32 v0, v18, 2, v7
	s_waitcnt lgkmcnt(0)
	v_mov_b32_e32 v17, v15
	ds_load_b32 v20, v0 offset:4
.LBB30_26:
	s_or_b32 exec_lo, exec_lo, s6
	v_and_b32_e32 v0, 0x70, v9
	v_cndmask_b32_e64 v15, v15, v16, s5
	v_add_nc_u32_e32 v22, 1, v19
	v_add_nc_u32_e32 v21, 1, v18
	v_cndmask_b32_e64 v13, v13, v2, s4
	v_min_i32_e32 v14, v8, v0
	v_and_b32_e32 v23, 12, v9
	s_delay_alu instid0(VALU_DEP_4) | instskip(NEXT) | instid1(VALU_DEP_3)
	v_cndmask_b32_e64 v18, v18, v21, s5
	; wave barrier
	v_add_nc_u32_e32 v0, 8, v14
	s_delay_alu instid0(VALU_DEP_1) | instskip(NEXT) | instid1(VALU_DEP_1)
	v_min_i32_e32 v0, v8, v0
	v_add_nc_u32_e32 v16, 8, v0
	s_delay_alu instid0(VALU_DEP_1)
	v_min_i32_e32 v2, v8, v16
	v_cndmask_b32_e64 v16, v1, v3, s3
	v_cndmask_b32_e64 v3, v22, v19, s5
	s_waitcnt lgkmcnt(0)
	v_cmp_lt_i32_e64 s3, v20, v17
	v_min_i32_e32 v1, v8, v23
	v_sub_nc_u32_e32 v19, v2, v0
	v_cmp_lt_i32_e64 s5, v18, v11
	v_cmp_ge_i32_e64 s4, v3, v12
	v_sub_nc_u32_e32 v3, v0, v14
	v_lshl_add_u32 v11, v14, 2, v7
	v_sub_nc_u32_e32 v21, v1, v19
	s_delay_alu instid0(VALU_DEP_4) | instskip(SKIP_2) | instid1(VALU_DEP_2)
	s_or_b32 s4, s4, s3
	v_cmp_ge_i32_e64 s3, v1, v19
	v_min_i32_e32 v12, v1, v3
	v_cndmask_b32_e64 v3, 0, v21, s3
	s_and_b32 s3, s5, s4
	s_mov_b32 s5, 0
	v_cndmask_b32_e64 v17, v17, v20, s3
	s_mov_b32 s4, exec_lo
	ds_store_2addr_b32 v10, v16, v13 offset1:1
	ds_store_2addr_b32 v10, v15, v17 offset0:2 offset1:3
	; wave barrier
	v_cmpx_lt_i32_e64 v3, v12
	s_cbranch_execz .LBB30_30
; %bb.27:
	v_lshlrev_b32_e32 v13, 2, v0
	v_lshlrev_b32_e32 v15, 2, v1
	s_delay_alu instid0(VALU_DEP_1)
	v_add3_u32 v13, v7, v13, v15
	.p2align	6
.LBB30_28:                              ; =>This Inner Loop Header: Depth=1
	v_sub_nc_u32_e32 v15, v12, v3
	s_delay_alu instid0(VALU_DEP_1) | instskip(NEXT) | instid1(VALU_DEP_1)
	v_lshrrev_b32_e32 v16, 31, v15
	v_add_nc_u32_e32 v15, v15, v16
	s_delay_alu instid0(VALU_DEP_1) | instskip(NEXT) | instid1(VALU_DEP_1)
	v_ashrrev_i32_e32 v15, 1, v15
	v_add_nc_u32_e32 v15, v15, v3
	s_delay_alu instid0(VALU_DEP_1) | instskip(SKIP_2) | instid1(VALU_DEP_3)
	v_not_b32_e32 v16, v15
	v_lshl_add_u32 v17, v15, 2, v11
	v_add_nc_u32_e32 v18, 1, v15
	v_lshl_add_u32 v16, v16, 2, v13
	ds_load_b32 v17, v17
	ds_load_b32 v16, v16
	s_waitcnt lgkmcnt(0)
	v_cmp_lt_i32_e64 s3, v16, v17
	s_delay_alu instid0(VALU_DEP_1) | instskip(SKIP_1) | instid1(VALU_DEP_1)
	v_cndmask_b32_e64 v12, v12, v15, s3
	v_cndmask_b32_e64 v3, v18, v3, s3
	v_cmp_ge_i32_e64 s3, v3, v12
	s_delay_alu instid0(VALU_DEP_1) | instskip(NEXT) | instid1(SALU_CYCLE_1)
	s_or_b32 s5, s3, s5
	s_and_not1_b32 exec_lo, exec_lo, s5
	s_cbranch_execnz .LBB30_28
; %bb.29:
	s_or_b32 exec_lo, exec_lo, s5
.LBB30_30:
	s_delay_alu instid0(SALU_CYCLE_1) | instskip(SKIP_3) | instid1(VALU_DEP_3)
	s_or_b32 exec_lo, exec_lo, s4
	v_add_nc_u32_e32 v1, v0, v1
	v_lshl_add_u32 v16, v3, 2, v11
	v_add_nc_u32_e32 v14, v3, v14
                                        ; implicit-def: $vgpr13
	v_sub_nc_u32_e32 v1, v1, v3
                                        ; implicit-def: $vgpr3
	s_delay_alu instid0(VALU_DEP_2) | instskip(NEXT) | instid1(VALU_DEP_2)
	v_cmp_le_i32_e64 s3, v0, v14
	v_lshl_add_u32 v15, v1, 2, v7
	v_cmp_gt_i32_e64 s5, v2, v1
	ds_load_b32 v11, v16
	ds_load_b32 v12, v15
	s_waitcnt lgkmcnt(0)
	v_cmp_lt_i32_e64 s4, v12, v11
	s_delay_alu instid0(VALU_DEP_1) | instskip(NEXT) | instid1(SALU_CYCLE_1)
	s_or_b32 s3, s3, s4
	s_and_b32 s3, s5, s3
	s_delay_alu instid0(SALU_CYCLE_1) | instskip(NEXT) | instid1(SALU_CYCLE_1)
	s_xor_b32 s4, s3, -1
	s_and_saveexec_b32 s5, s4
	s_delay_alu instid0(SALU_CYCLE_1)
	s_xor_b32 s4, exec_lo, s5
	s_cbranch_execz .LBB30_32
; %bb.31:
	ds_load_b32 v13, v16 offset:4
	v_mov_b32_e32 v3, v12
                                        ; implicit-def: $vgpr15
.LBB30_32:
	s_and_not1_saveexec_b32 s4, s4
	s_cbranch_execz .LBB30_34
; %bb.33:
	ds_load_b32 v3, v15 offset:4
	s_waitcnt lgkmcnt(1)
	v_mov_b32_e32 v13, v11
.LBB30_34:
	s_or_b32 exec_lo, exec_lo, s4
	v_add_nc_u32_e32 v15, 1, v14
	v_add_nc_u32_e32 v16, 1, v1
	s_waitcnt lgkmcnt(0)
	v_cmp_lt_i32_e64 s5, v3, v13
	s_delay_alu instid0(VALU_DEP_3) | instskip(NEXT) | instid1(VALU_DEP_3)
	v_cndmask_b32_e64 v14, v15, v14, s3
	v_cndmask_b32_e64 v1, v1, v16, s3
                                        ; implicit-def: $vgpr15
	s_delay_alu instid0(VALU_DEP_2) | instskip(NEXT) | instid1(VALU_DEP_2)
	v_cmp_ge_i32_e64 s4, v14, v0
	v_cmp_lt_i32_e64 s6, v1, v2
	s_delay_alu instid0(VALU_DEP_2)
	s_or_b32 s4, s4, s5
	s_delay_alu instid0(VALU_DEP_1) | instid1(SALU_CYCLE_1)
	s_and_b32 s4, s6, s4
	s_delay_alu instid0(SALU_CYCLE_1) | instskip(NEXT) | instid1(SALU_CYCLE_1)
	s_xor_b32 s5, s4, -1
	s_and_saveexec_b32 s6, s5
	s_delay_alu instid0(SALU_CYCLE_1)
	s_xor_b32 s5, exec_lo, s6
	s_cbranch_execz .LBB30_36
; %bb.35:
	v_lshl_add_u32 v15, v14, 2, v7
	ds_load_b32 v15, v15 offset:4
.LBB30_36:
	s_or_saveexec_b32 s5, s5
	v_mov_b32_e32 v16, v3
	s_xor_b32 exec_lo, exec_lo, s5
	s_cbranch_execz .LBB30_38
; %bb.37:
	s_waitcnt lgkmcnt(0)
	v_lshl_add_u32 v15, v1, 2, v7
	ds_load_b32 v16, v15 offset:4
	v_mov_b32_e32 v15, v13
.LBB30_38:
	s_or_b32 exec_lo, exec_lo, s5
	v_add_nc_u32_e32 v17, 1, v14
	v_add_nc_u32_e32 v18, 1, v1
	s_waitcnt lgkmcnt(0)
	v_cmp_lt_i32_e64 s6, v16, v15
	s_delay_alu instid0(VALU_DEP_3) | instskip(NEXT) | instid1(VALU_DEP_3)
	v_cndmask_b32_e64 v19, v17, v14, s4
	v_cndmask_b32_e64 v18, v1, v18, s4
                                        ; implicit-def: $vgpr17
	s_delay_alu instid0(VALU_DEP_2) | instskip(NEXT) | instid1(VALU_DEP_2)
	v_cmp_ge_i32_e64 s5, v19, v0
	v_cmp_lt_i32_e64 s7, v18, v2
	s_delay_alu instid0(VALU_DEP_2)
	s_or_b32 s5, s5, s6
	s_delay_alu instid0(VALU_DEP_1) | instid1(SALU_CYCLE_1)
	s_and_b32 s5, s7, s5
	s_delay_alu instid0(SALU_CYCLE_1) | instskip(NEXT) | instid1(SALU_CYCLE_1)
	s_xor_b32 s6, s5, -1
	s_and_saveexec_b32 s7, s6
	s_delay_alu instid0(SALU_CYCLE_1)
	s_xor_b32 s6, exec_lo, s7
	s_cbranch_execz .LBB30_40
; %bb.39:
	v_lshl_add_u32 v1, v19, 2, v7
	ds_load_b32 v17, v1 offset:4
.LBB30_40:
	s_or_saveexec_b32 s6, s6
	v_mov_b32_e32 v20, v16
	s_xor_b32 exec_lo, exec_lo, s6
	s_cbranch_execz .LBB30_42
; %bb.41:
	v_lshl_add_u32 v1, v18, 2, v7
	s_waitcnt lgkmcnt(0)
	v_mov_b32_e32 v17, v15
	ds_load_b32 v20, v1 offset:4
.LBB30_42:
	s_or_b32 exec_lo, exec_lo, s6
	v_and_b32_e32 v1, 0x60, v9
	v_cndmask_b32_e64 v15, v15, v16, s5
	v_add_nc_u32_e32 v22, 1, v19
	v_add_nc_u32_e32 v21, 1, v18
	v_cndmask_b32_e64 v13, v13, v3, s4
	v_min_i32_e32 v14, v8, v1
	v_and_b32_e32 v23, 28, v9
	s_delay_alu instid0(VALU_DEP_4) | instskip(NEXT) | instid1(VALU_DEP_3)
	v_cndmask_b32_e64 v18, v18, v21, s5
	; wave barrier
	v_add_nc_u32_e32 v1, 16, v14
	s_delay_alu instid0(VALU_DEP_1) | instskip(NEXT) | instid1(VALU_DEP_1)
	v_min_i32_e32 v1, v8, v1
	v_add_nc_u32_e32 v16, 16, v1
	s_delay_alu instid0(VALU_DEP_1)
	v_min_i32_e32 v3, v8, v16
	v_cndmask_b32_e64 v16, v11, v12, s3
	v_cndmask_b32_e64 v12, v22, v19, s5
	s_waitcnt lgkmcnt(0)
	v_cmp_lt_i32_e64 s3, v20, v17
	v_min_i32_e32 v11, v8, v23
	v_sub_nc_u32_e32 v19, v3, v1
	v_cmp_lt_i32_e64 s5, v18, v2
	v_cmp_ge_i32_e64 s4, v12, v0
	v_sub_nc_u32_e32 v0, v1, v14
	v_lshl_add_u32 v2, v14, 2, v7
	v_sub_nc_u32_e32 v21, v11, v19
	s_delay_alu instid0(VALU_DEP_4) | instskip(SKIP_2) | instid1(VALU_DEP_2)
	s_or_b32 s4, s4, s3
	v_cmp_ge_i32_e64 s3, v11, v19
	v_min_i32_e32 v12, v11, v0
	v_cndmask_b32_e64 v0, 0, v21, s3
	s_and_b32 s3, s5, s4
	s_mov_b32 s5, 0
	v_cndmask_b32_e64 v17, v17, v20, s3
	s_mov_b32 s4, exec_lo
	ds_store_2addr_b32 v10, v16, v13 offset1:1
	ds_store_2addr_b32 v10, v15, v17 offset0:2 offset1:3
	; wave barrier
	v_cmpx_lt_i32_e64 v0, v12
	s_cbranch_execz .LBB30_46
; %bb.43:
	v_lshlrev_b32_e32 v13, 2, v1
	v_lshlrev_b32_e32 v15, 2, v11
	s_delay_alu instid0(VALU_DEP_1)
	v_add3_u32 v13, v7, v13, v15
	.p2align	6
.LBB30_44:                              ; =>This Inner Loop Header: Depth=1
	v_sub_nc_u32_e32 v15, v12, v0
	s_delay_alu instid0(VALU_DEP_1) | instskip(NEXT) | instid1(VALU_DEP_1)
	v_lshrrev_b32_e32 v16, 31, v15
	v_add_nc_u32_e32 v15, v15, v16
	s_delay_alu instid0(VALU_DEP_1) | instskip(NEXT) | instid1(VALU_DEP_1)
	v_ashrrev_i32_e32 v15, 1, v15
	v_add_nc_u32_e32 v15, v15, v0
	s_delay_alu instid0(VALU_DEP_1) | instskip(SKIP_2) | instid1(VALU_DEP_3)
	v_not_b32_e32 v16, v15
	v_lshl_add_u32 v17, v15, 2, v2
	v_add_nc_u32_e32 v18, 1, v15
	v_lshl_add_u32 v16, v16, 2, v13
	ds_load_b32 v17, v17
	ds_load_b32 v16, v16
	s_waitcnt lgkmcnt(0)
	v_cmp_lt_i32_e64 s3, v16, v17
	s_delay_alu instid0(VALU_DEP_1) | instskip(SKIP_1) | instid1(VALU_DEP_1)
	v_cndmask_b32_e64 v12, v12, v15, s3
	v_cndmask_b32_e64 v0, v18, v0, s3
	v_cmp_ge_i32_e64 s3, v0, v12
	s_delay_alu instid0(VALU_DEP_1) | instskip(NEXT) | instid1(SALU_CYCLE_1)
	s_or_b32 s5, s3, s5
	s_and_not1_b32 exec_lo, exec_lo, s5
	s_cbranch_execnz .LBB30_44
; %bb.45:
	s_or_b32 exec_lo, exec_lo, s5
.LBB30_46:
	s_delay_alu instid0(SALU_CYCLE_1) | instskip(SKIP_2) | instid1(VALU_DEP_2)
	s_or_b32 exec_lo, exec_lo, s4
	v_add_nc_u32_e32 v11, v1, v11
	v_lshl_add_u32 v17, v0, 2, v2
                                        ; implicit-def: $vgpr13
	v_sub_nc_u32_e32 v15, v11, v0
	v_add_nc_u32_e32 v0, v0, v14
                                        ; implicit-def: $vgpr11
	s_delay_alu instid0(VALU_DEP_2) | instskip(NEXT) | instid1(VALU_DEP_2)
	v_lshl_add_u32 v16, v15, 2, v7
	v_cmp_le_i32_e64 s3, v1, v0
	v_cmp_gt_i32_e64 s5, v3, v15
	ds_load_b32 v2, v17
	ds_load_b32 v12, v16
	s_waitcnt lgkmcnt(0)
	v_cmp_lt_i32_e64 s4, v12, v2
	s_delay_alu instid0(VALU_DEP_1) | instskip(NEXT) | instid1(SALU_CYCLE_1)
	s_or_b32 s3, s3, s4
	s_and_b32 s3, s5, s3
	s_delay_alu instid0(SALU_CYCLE_1) | instskip(NEXT) | instid1(SALU_CYCLE_1)
	s_xor_b32 s4, s3, -1
	s_and_saveexec_b32 s5, s4
	s_delay_alu instid0(SALU_CYCLE_1)
	s_xor_b32 s4, exec_lo, s5
	s_cbranch_execz .LBB30_48
; %bb.47:
	ds_load_b32 v13, v17 offset:4
	v_mov_b32_e32 v11, v12
                                        ; implicit-def: $vgpr16
.LBB30_48:
	s_and_not1_saveexec_b32 s4, s4
	s_cbranch_execz .LBB30_50
; %bb.49:
	ds_load_b32 v11, v16 offset:4
	s_waitcnt lgkmcnt(1)
	v_mov_b32_e32 v13, v2
.LBB30_50:
	s_or_b32 exec_lo, exec_lo, s4
	v_add_nc_u32_e32 v14, 1, v0
	v_add_nc_u32_e32 v16, 1, v15
	s_waitcnt lgkmcnt(0)
	v_cmp_lt_i32_e64 s5, v11, v13
	s_delay_alu instid0(VALU_DEP_3) | instskip(NEXT) | instid1(VALU_DEP_3)
	v_cndmask_b32_e64 v14, v14, v0, s3
	v_cndmask_b32_e64 v0, v15, v16, s3
                                        ; implicit-def: $vgpr15
	s_delay_alu instid0(VALU_DEP_2) | instskip(NEXT) | instid1(VALU_DEP_2)
	v_cmp_ge_i32_e64 s4, v14, v1
	v_cmp_lt_i32_e64 s6, v0, v3
	s_delay_alu instid0(VALU_DEP_2)
	s_or_b32 s4, s4, s5
	s_delay_alu instid0(VALU_DEP_1) | instid1(SALU_CYCLE_1)
	s_and_b32 s4, s6, s4
	s_delay_alu instid0(SALU_CYCLE_1) | instskip(NEXT) | instid1(SALU_CYCLE_1)
	s_xor_b32 s5, s4, -1
	s_and_saveexec_b32 s6, s5
	s_delay_alu instid0(SALU_CYCLE_1)
	s_xor_b32 s5, exec_lo, s6
	s_cbranch_execz .LBB30_52
; %bb.51:
	v_lshl_add_u32 v15, v14, 2, v7
	ds_load_b32 v15, v15 offset:4
.LBB30_52:
	s_or_saveexec_b32 s5, s5
	v_mov_b32_e32 v16, v11
	s_xor_b32 exec_lo, exec_lo, s5
	s_cbranch_execz .LBB30_54
; %bb.53:
	s_waitcnt lgkmcnt(0)
	v_lshl_add_u32 v15, v0, 2, v7
	ds_load_b32 v16, v15 offset:4
	v_mov_b32_e32 v15, v13
.LBB30_54:
	s_or_b32 exec_lo, exec_lo, s5
	v_add_nc_u32_e32 v17, 1, v14
	v_add_nc_u32_e32 v18, 1, v0
	s_waitcnt lgkmcnt(0)
	v_cmp_lt_i32_e64 s6, v16, v15
	s_delay_alu instid0(VALU_DEP_3) | instskip(NEXT) | instid1(VALU_DEP_3)
	v_cndmask_b32_e64 v19, v17, v14, s4
	v_cndmask_b32_e64 v18, v0, v18, s4
                                        ; implicit-def: $vgpr17
	s_delay_alu instid0(VALU_DEP_2) | instskip(NEXT) | instid1(VALU_DEP_2)
	v_cmp_ge_i32_e64 s5, v19, v1
	v_cmp_lt_i32_e64 s7, v18, v3
	s_delay_alu instid0(VALU_DEP_2)
	s_or_b32 s5, s5, s6
	s_delay_alu instid0(VALU_DEP_1) | instid1(SALU_CYCLE_1)
	s_and_b32 s5, s7, s5
	s_delay_alu instid0(SALU_CYCLE_1) | instskip(NEXT) | instid1(SALU_CYCLE_1)
	s_xor_b32 s6, s5, -1
	s_and_saveexec_b32 s7, s6
	s_delay_alu instid0(SALU_CYCLE_1)
	s_xor_b32 s6, exec_lo, s7
	s_cbranch_execz .LBB30_56
; %bb.55:
	v_lshl_add_u32 v0, v19, 2, v7
	ds_load_b32 v17, v0 offset:4
.LBB30_56:
	s_or_saveexec_b32 s6, s6
	v_mov_b32_e32 v20, v16
	s_xor_b32 exec_lo, exec_lo, s6
	s_cbranch_execz .LBB30_58
; %bb.57:
	v_lshl_add_u32 v0, v18, 2, v7
	s_waitcnt lgkmcnt(0)
	v_mov_b32_e32 v17, v15
	ds_load_b32 v20, v0 offset:4
.LBB30_58:
	s_or_b32 exec_lo, exec_lo, s6
	v_and_b32_e32 v0, 64, v9
	v_cndmask_b32_e64 v15, v15, v16, s5
	v_add_nc_u32_e32 v22, 1, v19
	v_add_nc_u32_e32 v21, 1, v18
	v_cndmask_b32_e64 v13, v13, v11, s4
	v_min_i32_e32 v14, v8, v0
	v_and_b32_e32 v23, 60, v9
	s_delay_alu instid0(VALU_DEP_4) | instskip(NEXT) | instid1(VALU_DEP_3)
	v_cndmask_b32_e64 v18, v18, v21, s5
	; wave barrier
	v_add_nc_u32_e32 v0, 32, v14
	s_delay_alu instid0(VALU_DEP_1) | instskip(NEXT) | instid1(VALU_DEP_1)
	v_min_i32_e32 v0, v8, v0
	v_add_nc_u32_e32 v16, 32, v0
	s_delay_alu instid0(VALU_DEP_1)
	v_min_i32_e32 v11, v8, v16
	v_cndmask_b32_e64 v16, v2, v12, s3
	v_cndmask_b32_e64 v12, v22, v19, s5
	s_waitcnt lgkmcnt(0)
	v_cmp_lt_i32_e64 s3, v20, v17
	v_min_i32_e32 v2, v8, v23
	v_sub_nc_u32_e32 v19, v11, v0
	v_cmp_lt_i32_e64 s5, v18, v3
	v_cmp_ge_i32_e64 s4, v12, v1
	v_sub_nc_u32_e32 v1, v0, v14
	s_delay_alu instid0(VALU_DEP_4) | instskip(NEXT) | instid1(VALU_DEP_3)
	v_sub_nc_u32_e32 v21, v2, v19
	s_or_b32 s4, s4, s3
	v_cmp_ge_i32_e64 s3, v2, v19
	s_delay_alu instid0(VALU_DEP_3) | instskip(SKIP_1) | instid1(VALU_DEP_3)
	v_min_i32_e32 v12, v2, v1
	v_lshl_add_u32 v1, v14, 2, v7
	v_cndmask_b32_e64 v3, 0, v21, s3
	s_and_b32 s3, s5, s4
	s_mov_b32 s5, 0
	v_cndmask_b32_e64 v17, v17, v20, s3
	s_mov_b32 s4, exec_lo
	ds_store_2addr_b32 v10, v16, v13 offset1:1
	ds_store_2addr_b32 v10, v15, v17 offset0:2 offset1:3
	; wave barrier
	v_cmpx_lt_i32_e64 v3, v12
	s_cbranch_execz .LBB30_62
; %bb.59:
	v_lshlrev_b32_e32 v13, 2, v0
	v_lshlrev_b32_e32 v15, 2, v2
	s_delay_alu instid0(VALU_DEP_1)
	v_add3_u32 v13, v7, v13, v15
	.p2align	6
.LBB30_60:                              ; =>This Inner Loop Header: Depth=1
	v_sub_nc_u32_e32 v15, v12, v3
	s_delay_alu instid0(VALU_DEP_1) | instskip(NEXT) | instid1(VALU_DEP_1)
	v_lshrrev_b32_e32 v16, 31, v15
	v_add_nc_u32_e32 v15, v15, v16
	s_delay_alu instid0(VALU_DEP_1) | instskip(NEXT) | instid1(VALU_DEP_1)
	v_ashrrev_i32_e32 v15, 1, v15
	v_add_nc_u32_e32 v15, v15, v3
	s_delay_alu instid0(VALU_DEP_1) | instskip(SKIP_2) | instid1(VALU_DEP_3)
	v_not_b32_e32 v16, v15
	v_lshl_add_u32 v17, v15, 2, v1
	v_add_nc_u32_e32 v18, 1, v15
	v_lshl_add_u32 v16, v16, 2, v13
	ds_load_b32 v17, v17
	ds_load_b32 v16, v16
	s_waitcnt lgkmcnt(0)
	v_cmp_lt_i32_e64 s3, v16, v17
	s_delay_alu instid0(VALU_DEP_1) | instskip(SKIP_1) | instid1(VALU_DEP_1)
	v_cndmask_b32_e64 v12, v12, v15, s3
	v_cndmask_b32_e64 v3, v18, v3, s3
	v_cmp_ge_i32_e64 s3, v3, v12
	s_delay_alu instid0(VALU_DEP_1) | instskip(NEXT) | instid1(SALU_CYCLE_1)
	s_or_b32 s5, s3, s5
	s_and_not1_b32 exec_lo, exec_lo, s5
	s_cbranch_execnz .LBB30_60
; %bb.61:
	s_or_b32 exec_lo, exec_lo, s5
.LBB30_62:
	s_delay_alu instid0(SALU_CYCLE_1) | instskip(SKIP_3) | instid1(VALU_DEP_3)
	s_or_b32 exec_lo, exec_lo, s4
	v_add_nc_u32_e32 v2, v0, v2
	v_lshl_add_u32 v16, v3, 2, v1
	v_add_nc_u32_e32 v14, v3, v14
                                        ; implicit-def: $vgpr13
	v_sub_nc_u32_e32 v2, v2, v3
                                        ; implicit-def: $vgpr3
	s_delay_alu instid0(VALU_DEP_2) | instskip(NEXT) | instid1(VALU_DEP_2)
	v_cmp_le_i32_e64 s3, v0, v14
	v_lshl_add_u32 v15, v2, 2, v7
	v_cmp_gt_i32_e64 s5, v11, v2
	ds_load_b32 v1, v16
	ds_load_b32 v12, v15
	s_waitcnt lgkmcnt(0)
	v_cmp_lt_i32_e64 s4, v12, v1
	s_delay_alu instid0(VALU_DEP_1) | instskip(NEXT) | instid1(SALU_CYCLE_1)
	s_or_b32 s3, s3, s4
	s_and_b32 s3, s5, s3
	s_delay_alu instid0(SALU_CYCLE_1) | instskip(NEXT) | instid1(SALU_CYCLE_1)
	s_xor_b32 s4, s3, -1
	s_and_saveexec_b32 s5, s4
	s_delay_alu instid0(SALU_CYCLE_1)
	s_xor_b32 s4, exec_lo, s5
	s_cbranch_execz .LBB30_64
; %bb.63:
	ds_load_b32 v13, v16 offset:4
	v_mov_b32_e32 v3, v12
                                        ; implicit-def: $vgpr15
.LBB30_64:
	s_and_not1_saveexec_b32 s4, s4
	s_cbranch_execz .LBB30_66
; %bb.65:
	ds_load_b32 v3, v15 offset:4
	s_waitcnt lgkmcnt(1)
	v_mov_b32_e32 v13, v1
.LBB30_66:
	s_or_b32 exec_lo, exec_lo, s4
	v_add_nc_u32_e32 v15, 1, v14
	v_add_nc_u32_e32 v16, 1, v2
	s_waitcnt lgkmcnt(0)
	v_cmp_lt_i32_e64 s5, v3, v13
	s_delay_alu instid0(VALU_DEP_3) | instskip(NEXT) | instid1(VALU_DEP_3)
	v_cndmask_b32_e64 v14, v15, v14, s3
	v_cndmask_b32_e64 v2, v2, v16, s3
                                        ; implicit-def: $vgpr15
	s_delay_alu instid0(VALU_DEP_2) | instskip(NEXT) | instid1(VALU_DEP_2)
	v_cmp_ge_i32_e64 s4, v14, v0
	v_cmp_lt_i32_e64 s6, v2, v11
	s_delay_alu instid0(VALU_DEP_2)
	s_or_b32 s4, s4, s5
	s_delay_alu instid0(VALU_DEP_1) | instid1(SALU_CYCLE_1)
	s_and_b32 s4, s6, s4
	s_delay_alu instid0(SALU_CYCLE_1) | instskip(NEXT) | instid1(SALU_CYCLE_1)
	s_xor_b32 s5, s4, -1
	s_and_saveexec_b32 s6, s5
	s_delay_alu instid0(SALU_CYCLE_1)
	s_xor_b32 s5, exec_lo, s6
	s_cbranch_execz .LBB30_68
; %bb.67:
	v_lshl_add_u32 v15, v14, 2, v7
	ds_load_b32 v15, v15 offset:4
.LBB30_68:
	s_or_saveexec_b32 s5, s5
	v_mov_b32_e32 v16, v3
	s_xor_b32 exec_lo, exec_lo, s5
	s_cbranch_execz .LBB30_70
; %bb.69:
	s_waitcnt lgkmcnt(0)
	v_lshl_add_u32 v15, v2, 2, v7
	ds_load_b32 v16, v15 offset:4
	v_mov_b32_e32 v15, v13
.LBB30_70:
	s_or_b32 exec_lo, exec_lo, s5
	v_add_nc_u32_e32 v17, 1, v14
	v_add_nc_u32_e32 v18, 1, v2
	s_waitcnt lgkmcnt(0)
	v_cmp_lt_i32_e64 s6, v16, v15
	s_delay_alu instid0(VALU_DEP_3) | instskip(NEXT) | instid1(VALU_DEP_3)
	v_cndmask_b32_e64 v19, v17, v14, s4
	v_cndmask_b32_e64 v18, v2, v18, s4
                                        ; implicit-def: $vgpr17
	s_delay_alu instid0(VALU_DEP_2) | instskip(NEXT) | instid1(VALU_DEP_2)
	v_cmp_ge_i32_e64 s5, v19, v0
	v_cmp_lt_i32_e64 s7, v18, v11
	s_delay_alu instid0(VALU_DEP_2)
	s_or_b32 s5, s5, s6
	s_delay_alu instid0(VALU_DEP_1) | instid1(SALU_CYCLE_1)
	s_and_b32 s5, s7, s5
	s_delay_alu instid0(SALU_CYCLE_1) | instskip(NEXT) | instid1(SALU_CYCLE_1)
	s_xor_b32 s6, s5, -1
	s_and_saveexec_b32 s7, s6
	s_delay_alu instid0(SALU_CYCLE_1)
	s_xor_b32 s6, exec_lo, s7
	s_cbranch_execz .LBB30_72
; %bb.71:
	v_lshl_add_u32 v2, v19, 2, v7
	ds_load_b32 v17, v2 offset:4
.LBB30_72:
	s_or_saveexec_b32 s6, s6
	v_mov_b32_e32 v20, v16
	s_xor_b32 exec_lo, exec_lo, s6
	s_cbranch_execz .LBB30_74
; %bb.73:
	v_lshl_add_u32 v2, v18, 2, v7
	s_waitcnt lgkmcnt(0)
	v_mov_b32_e32 v17, v15
	ds_load_b32 v20, v2 offset:4
.LBB30_74:
	s_or_b32 exec_lo, exec_lo, s6
	v_min_i32_e32 v14, 0, v8
	v_cndmask_b32_e64 v15, v15, v16, s5
	v_add_nc_u32_e32 v22, 1, v19
	v_add_nc_u32_e32 v21, 1, v18
	v_cndmask_b32_e64 v13, v13, v3, s4
	v_add_nc_u32_e32 v2, 64, v14
	v_and_b32_e32 v9, 0x7c, v9
	v_cndmask_b32_e64 v12, v1, v12, s3
	s_waitcnt lgkmcnt(0)
	v_cmp_lt_i32_e64 s3, v20, v17
	v_min_i32_e32 v2, v8, v2
	v_min_i32_e32 v1, v8, v9
	v_cndmask_b32_e64 v9, v18, v21, s5
	; wave barrier
	s_delay_alu instid0(VALU_DEP_3) | instskip(NEXT) | instid1(VALU_DEP_1)
	v_add_nc_u32_e32 v16, 64, v2
	v_min_i32_e32 v3, v8, v16
	v_cndmask_b32_e64 v16, v22, v19, s5
	s_delay_alu instid0(VALU_DEP_4) | instskip(NEXT) | instid1(VALU_DEP_3)
	v_cmp_lt_i32_e64 s5, v9, v11
	v_sub_nc_u32_e32 v8, v3, v2
	s_delay_alu instid0(VALU_DEP_3) | instskip(SKIP_1) | instid1(VALU_DEP_3)
	v_cmp_ge_i32_e64 s4, v16, v0
	v_sub_nc_u32_e32 v0, v2, v14
	v_sub_nc_u32_e32 v16, v1, v8
	s_delay_alu instid0(VALU_DEP_3) | instskip(SKIP_1) | instid1(VALU_DEP_3)
	s_or_b32 s4, s4, s3
	v_cmp_ge_i32_e64 s3, v1, v8
	v_min_i32_e32 v9, v1, v0
	v_lshl_add_u32 v8, v14, 2, v7
	s_delay_alu instid0(VALU_DEP_3)
	v_cndmask_b32_e64 v0, 0, v16, s3
	s_and_b32 s3, s5, s4
	s_mov_b32 s5, 0
	v_cndmask_b32_e64 v11, v17, v20, s3
	s_mov_b32 s4, exec_lo
	ds_store_2addr_b32 v10, v12, v13 offset1:1
	ds_store_2addr_b32 v10, v15, v11 offset0:2 offset1:3
	; wave barrier
	v_cmpx_lt_i32_e64 v0, v9
	s_cbranch_execz .LBB30_78
; %bb.75:
	v_lshlrev_b32_e32 v10, 2, v2
	v_lshlrev_b32_e32 v11, 2, v1
	s_delay_alu instid0(VALU_DEP_1)
	v_add3_u32 v10, v7, v10, v11
	.p2align	6
.LBB30_76:                              ; =>This Inner Loop Header: Depth=1
	v_sub_nc_u32_e32 v11, v9, v0
	s_delay_alu instid0(VALU_DEP_1) | instskip(NEXT) | instid1(VALU_DEP_1)
	v_lshrrev_b32_e32 v12, 31, v11
	v_add_nc_u32_e32 v11, v11, v12
	s_delay_alu instid0(VALU_DEP_1) | instskip(NEXT) | instid1(VALU_DEP_1)
	v_ashrrev_i32_e32 v11, 1, v11
	v_add_nc_u32_e32 v11, v11, v0
	s_delay_alu instid0(VALU_DEP_1) | instskip(SKIP_2) | instid1(VALU_DEP_3)
	v_not_b32_e32 v12, v11
	v_lshl_add_u32 v13, v11, 2, v8
	v_add_nc_u32_e32 v15, 1, v11
	v_lshl_add_u32 v12, v12, 2, v10
	ds_load_b32 v13, v13
	ds_load_b32 v12, v12
	s_waitcnt lgkmcnt(0)
	v_cmp_lt_i32_e64 s3, v12, v13
	s_delay_alu instid0(VALU_DEP_1) | instskip(SKIP_1) | instid1(VALU_DEP_1)
	v_cndmask_b32_e64 v9, v9, v11, s3
	v_cndmask_b32_e64 v0, v15, v0, s3
	v_cmp_ge_i32_e64 s3, v0, v9
	s_delay_alu instid0(VALU_DEP_1) | instskip(NEXT) | instid1(SALU_CYCLE_1)
	s_or_b32 s5, s3, s5
	s_and_not1_b32 exec_lo, exec_lo, s5
	s_cbranch_execnz .LBB30_76
; %bb.77:
	s_or_b32 exec_lo, exec_lo, s5
.LBB30_78:
	s_delay_alu instid0(SALU_CYCLE_1) | instskip(SKIP_2) | instid1(VALU_DEP_2)
	s_or_b32 exec_lo, exec_lo, s4
	v_add_nc_u32_e32 v1, v2, v1
	v_lshl_add_u32 v13, v0, 2, v8
                                        ; implicit-def: $vgpr10
                                        ; implicit-def: $vgpr11
	v_sub_nc_u32_e32 v1, v1, v0
	v_add_nc_u32_e32 v0, v0, v14
	s_delay_alu instid0(VALU_DEP_2) | instskip(NEXT) | instid1(VALU_DEP_2)
	v_lshl_add_u32 v12, v1, 2, v7
	v_cmp_le_i32_e64 s3, v2, v0
	v_cmp_gt_i32_e64 s5, v3, v1
	ds_load_b32 v8, v13
	ds_load_b32 v9, v12
	s_waitcnt lgkmcnt(0)
	v_cmp_lt_i32_e64 s4, v9, v8
	s_delay_alu instid0(VALU_DEP_1) | instskip(NEXT) | instid1(SALU_CYCLE_1)
	s_or_b32 s3, s3, s4
	s_and_b32 s3, s5, s3
	s_delay_alu instid0(SALU_CYCLE_1) | instskip(NEXT) | instid1(SALU_CYCLE_1)
	s_xor_b32 s4, s3, -1
	s_and_saveexec_b32 s5, s4
	s_delay_alu instid0(SALU_CYCLE_1)
	s_xor_b32 s4, exec_lo, s5
	s_cbranch_execz .LBB30_80
; %bb.79:
	ds_load_b32 v11, v13 offset:4
	v_mov_b32_e32 v10, v9
                                        ; implicit-def: $vgpr12
.LBB30_80:
	s_and_not1_saveexec_b32 s4, s4
	s_cbranch_execz .LBB30_82
; %bb.81:
	ds_load_b32 v10, v12 offset:4
	s_waitcnt lgkmcnt(1)
	v_mov_b32_e32 v11, v8
.LBB30_82:
	s_or_b32 exec_lo, exec_lo, s4
	v_add_nc_u32_e32 v12, 1, v0
	v_add_nc_u32_e32 v13, 1, v1
	s_waitcnt lgkmcnt(0)
	v_cmp_lt_i32_e64 s5, v10, v11
	s_delay_alu instid0(VALU_DEP_3) | instskip(NEXT) | instid1(VALU_DEP_3)
	v_cndmask_b32_e64 v0, v12, v0, s3
	v_cndmask_b32_e64 v1, v1, v13, s3
                                        ; implicit-def: $vgpr12
	s_delay_alu instid0(VALU_DEP_2) | instskip(NEXT) | instid1(VALU_DEP_2)
	v_cmp_ge_i32_e64 s4, v0, v2
	v_cmp_lt_i32_e64 s6, v1, v3
	s_delay_alu instid0(VALU_DEP_2)
	s_or_b32 s4, s4, s5
	s_delay_alu instid0(VALU_DEP_1) | instid1(SALU_CYCLE_1)
	s_and_b32 s4, s6, s4
	s_delay_alu instid0(SALU_CYCLE_1) | instskip(NEXT) | instid1(SALU_CYCLE_1)
	s_xor_b32 s5, s4, -1
	s_and_saveexec_b32 s6, s5
	s_delay_alu instid0(SALU_CYCLE_1)
	s_xor_b32 s5, exec_lo, s6
	s_cbranch_execz .LBB30_84
; %bb.83:
	v_lshl_add_u32 v12, v0, 2, v7
	ds_load_b32 v12, v12 offset:4
.LBB30_84:
	s_or_saveexec_b32 s5, s5
	v_mov_b32_e32 v13, v10
	s_xor_b32 exec_lo, exec_lo, s5
	s_cbranch_execz .LBB30_86
; %bb.85:
	s_waitcnt lgkmcnt(0)
	v_lshl_add_u32 v12, v1, 2, v7
	ds_load_b32 v13, v12 offset:4
	v_mov_b32_e32 v12, v11
.LBB30_86:
	s_or_b32 exec_lo, exec_lo, s5
	v_add_nc_u32_e32 v14, 1, v0
	v_add_nc_u32_e32 v15, 1, v1
	s_waitcnt lgkmcnt(0)
	v_cmp_lt_i32_e64 s6, v13, v12
                                        ; implicit-def: $vgpr16
	s_delay_alu instid0(VALU_DEP_3) | instskip(NEXT) | instid1(VALU_DEP_3)
	v_cndmask_b32_e64 v0, v14, v0, s4
	v_cndmask_b32_e64 v14, v1, v15, s4
                                        ; implicit-def: $vgpr15
	s_delay_alu instid0(VALU_DEP_2) | instskip(NEXT) | instid1(VALU_DEP_2)
	v_cmp_ge_i32_e64 s5, v0, v2
	v_cmp_lt_i32_e64 s7, v14, v3
	s_delay_alu instid0(VALU_DEP_2)
	s_or_b32 s5, s5, s6
	s_delay_alu instid0(VALU_DEP_1) | instid1(SALU_CYCLE_1)
	s_and_b32 s5, s7, s5
	s_delay_alu instid0(SALU_CYCLE_1) | instskip(NEXT) | instid1(SALU_CYCLE_1)
	s_xor_b32 s6, s5, -1
	s_and_saveexec_b32 s7, s6
	s_delay_alu instid0(SALU_CYCLE_1)
	s_xor_b32 s6, exec_lo, s7
	s_cbranch_execz .LBB30_88
; %bb.87:
	v_lshl_add_u32 v1, v0, 2, v7
	v_add_nc_u32_e32 v16, 1, v0
                                        ; implicit-def: $vgpr0
                                        ; implicit-def: $vgpr7
	ds_load_b32 v15, v1 offset:4
.LBB30_88:
	s_or_saveexec_b32 s6, s6
	v_mov_b32_e32 v17, v13
	s_xor_b32 exec_lo, exec_lo, s6
	s_cbranch_execz .LBB30_90
; %bb.89:
	v_lshl_add_u32 v1, v14, 2, v7
	s_waitcnt lgkmcnt(0)
	v_dual_mov_b32 v15, v12 :: v_dual_add_nc_u32 v14, 1, v14
	v_mov_b32_e32 v16, v0
	ds_load_b32 v17, v1 offset:4
.LBB30_90:
	s_or_b32 exec_lo, exec_lo, s6
	v_add_co_u32 v0, s6, s10, v4
	s_delay_alu instid0(VALU_DEP_1) | instskip(NEXT) | instid1(VALU_DEP_2)
	v_add_co_ci_u32_e64 v1, s6, s11, v5, s6
	v_add_co_u32 v0, s6, v0, v6
	s_delay_alu instid0(VALU_DEP_1)
	v_add_co_ci_u32_e64 v1, s6, 0, v1, s6
	s_and_saveexec_b32 s6, vcc_lo
	s_cbranch_execnz .LBB30_95
; %bb.91:
	s_or_b32 exec_lo, exec_lo, s6
	s_and_saveexec_b32 s3, s0
	s_cbranch_execnz .LBB30_96
.LBB30_92:
	s_or_b32 exec_lo, exec_lo, s3
	s_and_saveexec_b32 s0, s1
	s_cbranch_execnz .LBB30_97
.LBB30_93:
	s_or_b32 exec_lo, exec_lo, s0
	s_and_saveexec_b32 s0, s2
	s_cbranch_execnz .LBB30_98
.LBB30_94:
	s_nop 0
	s_sendmsg sendmsg(MSG_DEALLOC_VGPRS)
	s_endpgm
.LBB30_95:
	v_cndmask_b32_e64 v4, v8, v9, s3
	global_store_b32 v[0:1], v4, off
	s_or_b32 exec_lo, exec_lo, s6
	s_and_saveexec_b32 s3, s0
	s_cbranch_execz .LBB30_92
.LBB30_96:
	v_cndmask_b32_e64 v4, v11, v10, s4
	global_store_b32 v[0:1], v4, off offset:4
	s_or_b32 exec_lo, exec_lo, s3
	s_and_saveexec_b32 s0, s1
	s_cbranch_execz .LBB30_93
.LBB30_97:
	v_cndmask_b32_e64 v4, v12, v13, s5
	global_store_b32 v[0:1], v4, off offset:8
	s_or_b32 exec_lo, exec_lo, s0
	s_and_saveexec_b32 s0, s2
	s_cbranch_execz .LBB30_94
.LBB30_98:
	v_cmp_ge_i32_e32 vcc_lo, v16, v2
	s_waitcnt lgkmcnt(0)
	v_cmp_lt_i32_e64 s0, v17, v15
	v_cmp_lt_i32_e64 s1, v14, v3
	s_delay_alu instid0(VALU_DEP_2)
	s_or_b32 s0, vcc_lo, s0
	s_delay_alu instid0(VALU_DEP_1) | instid1(SALU_CYCLE_1)
	s_and_b32 vcc_lo, s1, s0
	v_cndmask_b32_e32 v2, v15, v17, vcc_lo
	global_store_b32 v[0:1], v2, off offset:12
	s_nop 0
	s_sendmsg sendmsg(MSG_DEALLOC_VGPRS)
	s_endpgm
	.section	.rodata,"a",@progbits
	.p2align	6, 0x0
	.amdhsa_kernel _Z19sort_keys_segmentedILj256ELj32ELj4EiN10test_utils4lessEEvPKT2_PS2_PKjT3_
		.amdhsa_group_segment_fixed_size 4128
		.amdhsa_private_segment_fixed_size 0
		.amdhsa_kernarg_size 28
		.amdhsa_user_sgpr_count 15
		.amdhsa_user_sgpr_dispatch_ptr 0
		.amdhsa_user_sgpr_queue_ptr 0
		.amdhsa_user_sgpr_kernarg_segment_ptr 1
		.amdhsa_user_sgpr_dispatch_id 0
		.amdhsa_user_sgpr_private_segment_size 0
		.amdhsa_wavefront_size32 1
		.amdhsa_uses_dynamic_stack 0
		.amdhsa_enable_private_segment 0
		.amdhsa_system_sgpr_workgroup_id_x 1
		.amdhsa_system_sgpr_workgroup_id_y 0
		.amdhsa_system_sgpr_workgroup_id_z 0
		.amdhsa_system_sgpr_workgroup_info 0
		.amdhsa_system_vgpr_workitem_id 0
		.amdhsa_next_free_vgpr 24
		.amdhsa_next_free_sgpr 16
		.amdhsa_reserve_vcc 1
		.amdhsa_float_round_mode_32 0
		.amdhsa_float_round_mode_16_64 0
		.amdhsa_float_denorm_mode_32 3
		.amdhsa_float_denorm_mode_16_64 3
		.amdhsa_dx10_clamp 1
		.amdhsa_ieee_mode 1
		.amdhsa_fp16_overflow 0
		.amdhsa_workgroup_processor_mode 1
		.amdhsa_memory_ordered 1
		.amdhsa_forward_progress 0
		.amdhsa_shared_vgpr_count 0
		.amdhsa_exception_fp_ieee_invalid_op 0
		.amdhsa_exception_fp_denorm_src 0
		.amdhsa_exception_fp_ieee_div_zero 0
		.amdhsa_exception_fp_ieee_overflow 0
		.amdhsa_exception_fp_ieee_underflow 0
		.amdhsa_exception_fp_ieee_inexact 0
		.amdhsa_exception_int_div_zero 0
	.end_amdhsa_kernel
	.section	.text._Z19sort_keys_segmentedILj256ELj32ELj4EiN10test_utils4lessEEvPKT2_PS2_PKjT3_,"axG",@progbits,_Z19sort_keys_segmentedILj256ELj32ELj4EiN10test_utils4lessEEvPKT2_PS2_PKjT3_,comdat
.Lfunc_end30:
	.size	_Z19sort_keys_segmentedILj256ELj32ELj4EiN10test_utils4lessEEvPKT2_PS2_PKjT3_, .Lfunc_end30-_Z19sort_keys_segmentedILj256ELj32ELj4EiN10test_utils4lessEEvPKT2_PS2_PKjT3_
                                        ; -- End function
	.section	.AMDGPU.csdata,"",@progbits
; Kernel info:
; codeLenInByte = 5040
; NumSgprs: 18
; NumVgprs: 24
; ScratchSize: 0
; MemoryBound: 0
; FloatMode: 240
; IeeeMode: 1
; LDSByteSize: 4128 bytes/workgroup (compile time only)
; SGPRBlocks: 2
; VGPRBlocks: 2
; NumSGPRsForWavesPerEU: 18
; NumVGPRsForWavesPerEU: 24
; Occupancy: 16
; WaveLimiterHint : 0
; COMPUTE_PGM_RSRC2:SCRATCH_EN: 0
; COMPUTE_PGM_RSRC2:USER_SGPR: 15
; COMPUTE_PGM_RSRC2:TRAP_HANDLER: 0
; COMPUTE_PGM_RSRC2:TGID_X_EN: 1
; COMPUTE_PGM_RSRC2:TGID_Y_EN: 0
; COMPUTE_PGM_RSRC2:TGID_Z_EN: 0
; COMPUTE_PGM_RSRC2:TIDIG_COMP_CNT: 0
	.section	.text._Z20sort_pairs_segmentedILj256ELj32ELj4EiN10test_utils4lessEEvPKT2_PS2_PKjT3_,"axG",@progbits,_Z20sort_pairs_segmentedILj256ELj32ELj4EiN10test_utils4lessEEvPKT2_PS2_PKjT3_,comdat
	.protected	_Z20sort_pairs_segmentedILj256ELj32ELj4EiN10test_utils4lessEEvPKT2_PS2_PKjT3_ ; -- Begin function _Z20sort_pairs_segmentedILj256ELj32ELj4EiN10test_utils4lessEEvPKT2_PS2_PKjT3_
	.globl	_Z20sort_pairs_segmentedILj256ELj32ELj4EiN10test_utils4lessEEvPKT2_PS2_PKjT3_
	.p2align	8
	.type	_Z20sort_pairs_segmentedILj256ELj32ELj4EiN10test_utils4lessEEvPKT2_PS2_PKjT3_,@function
_Z20sort_pairs_segmentedILj256ELj32ELj4EiN10test_utils4lessEEvPKT2_PS2_PKjT3_: ; @_Z20sort_pairs_segmentedILj256ELj32ELj4EiN10test_utils4lessEEvPKT2_PS2_PKjT3_
; %bb.0:
	s_clause 0x1
	s_load_b64 s[2:3], s[0:1], 0x10
	s_load_b128 s[8:11], s[0:1], 0x0
	v_lshrrev_b32_e32 v17, 5, v0
	s_delay_alu instid0(VALU_DEP_1) | instskip(SKIP_1) | instid1(VALU_DEP_1)
	v_lshl_or_b32 v0, s15, 3, v17
	v_mov_b32_e32 v1, 0
	v_lshlrev_b64 v[2:3], 2, v[0:1]
	v_lshlrev_b32_e32 v0, 7, v0
	s_delay_alu instid0(VALU_DEP_1) | instskip(SKIP_1) | instid1(VALU_DEP_3)
	v_lshlrev_b64 v[4:5], 2, v[0:1]
	s_waitcnt lgkmcnt(0)
	v_add_co_u32 v2, vcc_lo, s2, v2
	s_delay_alu instid0(VALU_DEP_4) | instskip(NEXT) | instid1(VALU_DEP_3)
	v_add_co_ci_u32_e32 v3, vcc_lo, s3, v3, vcc_lo
	v_add_co_u32 v1, vcc_lo, s8, v4
	global_load_b32 v9, v[2:3], off
	v_mbcnt_lo_u32_b32 v2, -1, 0
	v_add_co_ci_u32_e32 v3, vcc_lo, s9, v5, vcc_lo
	s_delay_alu instid0(VALU_DEP_2) | instskip(SKIP_1) | instid1(VALU_DEP_2)
	v_lshlrev_b32_e32 v0, 4, v2
	v_lshlrev_b32_e32 v10, 2, v2
	v_add_co_u32 v6, vcc_lo, v1, v0
	s_delay_alu instid0(VALU_DEP_4) | instskip(SKIP_1) | instid1(VALU_DEP_3)
	v_add_co_ci_u32_e32 v7, vcc_lo, 0, v3, vcc_lo
                                        ; implicit-def: $vgpr0_vgpr1_vgpr2_vgpr3
	s_waitcnt vmcnt(0)
	v_cmp_lt_u32_e32 vcc_lo, v10, v9
	s_and_saveexec_b32 s0, vcc_lo
	s_cbranch_execz .LBB31_2
; %bb.1:
	global_load_b32 v0, v[6:7], off
.LBB31_2:
	s_or_b32 exec_lo, exec_lo, s0
	v_or_b32_e32 v8, 1, v10
	s_delay_alu instid0(VALU_DEP_1) | instskip(NEXT) | instid1(VALU_DEP_1)
	v_cmp_lt_u32_e64 s0, v8, v9
	s_and_saveexec_b32 s1, s0
	s_cbranch_execz .LBB31_4
; %bb.3:
	global_load_b32 v1, v[6:7], off offset:4
.LBB31_4:
	s_or_b32 exec_lo, exec_lo, s1
	v_or_b32_e32 v13, 2, v10
	s_delay_alu instid0(VALU_DEP_1) | instskip(NEXT) | instid1(VALU_DEP_1)
	v_cmp_lt_u32_e64 s1, v13, v9
	s_and_saveexec_b32 s2, s1
	s_cbranch_execz .LBB31_6
; %bb.5:
	global_load_b32 v2, v[6:7], off offset:8
.LBB31_6:
	;; [unrolled: 9-line block ×3, first 2 shown]
	s_or_b32 exec_lo, exec_lo, s3
	v_cmp_lt_i32_e64 s3, v13, v9
	v_cmp_lt_i32_e64 s4, v14, v9
	;; [unrolled: 1-line block ×3, first 2 shown]
	s_waitcnt vmcnt(0)
	v_add_nc_u32_e32 v14, 1, v2
	v_add_nc_u32_e32 v11, 1, v0
	;; [unrolled: 1-line block ×3, first 2 shown]
	s_or_b32 s3, s4, s3
	v_add_nc_u32_e32 v13, 1, v3
	v_cndmask_b32_e64 v2, 0x7fffffff, v2, s3
	s_or_b32 s3, s3, s5
	v_cndmask_b32_e64 v3, 0x7fffffff, v3, s4
	v_cndmask_b32_e64 v1, 0x7fffffff, v1, s3
	s_mov_b32 s6, exec_lo
	v_cmpx_lt_i32_e64 v10, v9
	s_cbranch_execz .LBB31_10
; %bb.9:
	s_delay_alu instid0(VALU_DEP_2) | instskip(SKIP_2) | instid1(VALU_DEP_3)
	v_cmp_lt_i32_e64 s3, v1, v0
	v_min_i32_e32 v7, v3, v2
	v_cmp_lt_i32_e64 s4, v3, v2
	v_cndmask_b32_e64 v8, v1, v0, s3
	v_cndmask_b32_e64 v6, v11, v12, s3
	s_delay_alu instid0(VALU_DEP_3)
	v_cndmask_b32_e64 v15, v13, v14, s4
	v_cndmask_b32_e64 v11, v12, v11, s3
	;; [unrolled: 1-line block ×4, first 2 shown]
	v_cmp_lt_i32_e64 s3, v7, v8
	v_cndmask_b32_e64 v12, v3, v2, s4
	v_min_i32_e32 v14, v7, v8
	v_cndmask_b32_e64 v2, v2, v3, s4
	s_delay_alu instid0(VALU_DEP_4) | instskip(SKIP_1) | instid1(VALU_DEP_4)
	v_cndmask_b32_e64 v7, v8, v7, s3
	v_cndmask_b32_e64 v3, v1, v11, s3
	v_cmp_lt_i32_e64 s4, v14, v0
	s_delay_alu instid0(VALU_DEP_4) | instskip(SKIP_1) | instid1(VALU_DEP_3)
	v_cndmask_b32_e64 v2, v2, v8, s3
	v_cndmask_b32_e64 v1, v11, v1, s3
	;; [unrolled: 1-line block ×3, first 2 shown]
	s_delay_alu instid0(VALU_DEP_3) | instskip(SKIP_1) | instid1(VALU_DEP_4)
	v_cmp_lt_i32_e64 s3, v12, v2
	v_min_i32_e32 v8, v12, v2
	v_cndmask_b32_e64 v11, v6, v1, s4
	v_cndmask_b32_e64 v1, v1, v6, s4
	;; [unrolled: 1-line block ×5, first 2 shown]
	v_cmp_lt_i32_e64 s5, v8, v7
	v_cndmask_b32_e64 v15, v2, v12, s3
	v_cndmask_b32_e64 v3, v12, v2, s3
	s_delay_alu instid0(VALU_DEP_3) | instskip(SKIP_1) | instid1(VALU_DEP_4)
	v_cndmask_b32_e64 v14, v6, v1, s5
	v_cndmask_b32_e64 v12, v1, v6, s5
	;; [unrolled: 1-line block ×4, first 2 shown]
.LBB31_10:
	s_or_b32 exec_lo, exec_lo, s6
	v_and_b32_e32 v6, 0x78, v10
	v_and_b32_e32 v7, 4, v10
	s_mov_b32 s5, 0
	s_mov_b32 s4, exec_lo
	s_delay_alu instid0(VALU_DEP_2) | instskip(NEXT) | instid1(VALU_DEP_2)
	v_min_i32_e32 v19, v9, v6
	v_min_i32_e32 v18, v9, v7
	v_mul_u32_u24_e32 v7, 0x204, v17
	; wave barrier
	s_delay_alu instid0(VALU_DEP_3) | instskip(SKIP_1) | instid1(VALU_DEP_2)
	v_add_nc_u32_e32 v6, 4, v19
	v_lshlrev_b32_e32 v23, 2, v19
	v_min_i32_e32 v15, v9, v6
	s_delay_alu instid0(VALU_DEP_1) | instskip(SKIP_1) | instid1(VALU_DEP_2)
	v_add_nc_u32_e32 v6, 4, v15
	v_sub_nc_u32_e32 v20, v15, v19
	v_min_i32_e32 v16, v9, v6
	v_lshlrev_b32_e32 v6, 2, v10
	s_delay_alu instid0(VALU_DEP_3) | instskip(NEXT) | instid1(VALU_DEP_3)
	v_min_i32_e32 v21, v18, v20
	v_sub_nc_u32_e32 v8, v16, v15
	s_delay_alu instid0(VALU_DEP_1)
	v_sub_nc_u32_e32 v22, v18, v8
	v_cmp_ge_i32_e64 s3, v18, v8
	v_mad_u32_u24 v8, 0x204, v17, v6
	v_mad_u32_u24 v17, 0x204, v17, v23
	ds_store_2addr_b32 v8, v0, v1 offset1:1
	ds_store_2addr_b32 v8, v2, v3 offset0:2 offset1:3
	v_cndmask_b32_e64 v20, 0, v22, s3
	; wave barrier
	s_delay_alu instid0(VALU_DEP_1)
	v_cmpx_lt_i32_e64 v20, v21
	s_cbranch_execz .LBB31_14
; %bb.11:
	v_lshlrev_b32_e32 v0, 2, v15
	v_lshlrev_b32_e32 v1, 2, v18
	s_delay_alu instid0(VALU_DEP_1)
	v_add3_u32 v0, v7, v0, v1
	.p2align	6
.LBB31_12:                              ; =>This Inner Loop Header: Depth=1
	v_sub_nc_u32_e32 v1, v21, v20
	s_delay_alu instid0(VALU_DEP_1) | instskip(NEXT) | instid1(VALU_DEP_1)
	v_lshrrev_b32_e32 v2, 31, v1
	v_add_nc_u32_e32 v1, v1, v2
	s_delay_alu instid0(VALU_DEP_1) | instskip(NEXT) | instid1(VALU_DEP_1)
	v_ashrrev_i32_e32 v1, 1, v1
	v_add_nc_u32_e32 v1, v1, v20
	s_delay_alu instid0(VALU_DEP_1) | instskip(SKIP_2) | instid1(VALU_DEP_3)
	v_not_b32_e32 v2, v1
	v_lshl_add_u32 v3, v1, 2, v17
	v_add_nc_u32_e32 v22, 1, v1
	v_lshl_add_u32 v2, v2, 2, v0
	ds_load_b32 v3, v3
	ds_load_b32 v2, v2
	s_waitcnt lgkmcnt(0)
	v_cmp_lt_i32_e64 s3, v2, v3
	s_delay_alu instid0(VALU_DEP_1) | instskip(SKIP_1) | instid1(VALU_DEP_1)
	v_cndmask_b32_e64 v21, v21, v1, s3
	v_cndmask_b32_e64 v20, v22, v20, s3
	v_cmp_ge_i32_e64 s3, v20, v21
	s_delay_alu instid0(VALU_DEP_1) | instskip(NEXT) | instid1(SALU_CYCLE_1)
	s_or_b32 s5, s3, s5
	s_and_not1_b32 exec_lo, exec_lo, s5
	s_cbranch_execnz .LBB31_12
; %bb.13:
	s_or_b32 exec_lo, exec_lo, s5
.LBB31_14:
	s_delay_alu instid0(SALU_CYCLE_1) | instskip(SKIP_3) | instid1(VALU_DEP_3)
	s_or_b32 exec_lo, exec_lo, s4
	v_add_nc_u32_e32 v0, v15, v18
	v_lshl_add_u32 v3, v20, 2, v17
	v_add_nc_u32_e32 v1, v20, v19
                                        ; implicit-def: $vgpr19
	v_sub_nc_u32_e32 v0, v0, v20
                                        ; implicit-def: $vgpr20
	s_delay_alu instid0(VALU_DEP_2) | instskip(NEXT) | instid1(VALU_DEP_2)
	v_cmp_le_i32_e64 s3, v15, v1
	v_lshl_add_u32 v2, v0, 2, v7
	v_cmp_gt_i32_e64 s5, v16, v0
	ds_load_b32 v17, v3
	ds_load_b32 v18, v2
	s_waitcnt lgkmcnt(0)
	v_cmp_lt_i32_e64 s4, v18, v17
	s_delay_alu instid0(VALU_DEP_1) | instskip(NEXT) | instid1(SALU_CYCLE_1)
	s_or_b32 s3, s3, s4
	s_and_b32 s3, s5, s3
	s_delay_alu instid0(SALU_CYCLE_1) | instskip(NEXT) | instid1(SALU_CYCLE_1)
	s_xor_b32 s4, s3, -1
	s_and_saveexec_b32 s5, s4
	s_delay_alu instid0(SALU_CYCLE_1)
	s_xor_b32 s4, exec_lo, s5
	s_cbranch_execz .LBB31_16
; %bb.15:
	ds_load_b32 v20, v3 offset:4
	v_mov_b32_e32 v19, v18
                                        ; implicit-def: $vgpr2
.LBB31_16:
	s_and_not1_saveexec_b32 s4, s4
	s_cbranch_execz .LBB31_18
; %bb.17:
	ds_load_b32 v19, v2 offset:4
	s_waitcnt lgkmcnt(1)
	v_mov_b32_e32 v20, v17
.LBB31_18:
	s_or_b32 exec_lo, exec_lo, s4
	v_add_nc_u32_e32 v2, 1, v1
	v_add_nc_u32_e32 v3, 1, v0
	s_waitcnt lgkmcnt(0)
	v_cmp_lt_i32_e64 s5, v19, v20
                                        ; implicit-def: $vgpr21
	s_delay_alu instid0(VALU_DEP_3) | instskip(NEXT) | instid1(VALU_DEP_3)
	v_cndmask_b32_e64 v2, v2, v1, s3
	v_cndmask_b32_e64 v3, v0, v3, s3
	s_delay_alu instid0(VALU_DEP_2) | instskip(NEXT) | instid1(VALU_DEP_2)
	v_cmp_ge_i32_e64 s4, v2, v15
	v_cmp_lt_i32_e64 s6, v3, v16
	s_delay_alu instid0(VALU_DEP_2)
	s_or_b32 s4, s4, s5
	s_delay_alu instid0(VALU_DEP_1) | instid1(SALU_CYCLE_1)
	s_and_b32 s4, s6, s4
	s_delay_alu instid0(SALU_CYCLE_1) | instskip(NEXT) | instid1(SALU_CYCLE_1)
	s_xor_b32 s5, s4, -1
	s_and_saveexec_b32 s6, s5
	s_delay_alu instid0(SALU_CYCLE_1)
	s_xor_b32 s5, exec_lo, s6
	s_cbranch_execz .LBB31_20
; %bb.19:
	v_lshl_add_u32 v21, v2, 2, v7
	ds_load_b32 v21, v21 offset:4
.LBB31_20:
	s_or_saveexec_b32 s5, s5
	v_mov_b32_e32 v22, v19
	s_xor_b32 exec_lo, exec_lo, s5
	s_cbranch_execz .LBB31_22
; %bb.21:
	s_waitcnt lgkmcnt(0)
	v_lshl_add_u32 v21, v3, 2, v7
	ds_load_b32 v22, v21 offset:4
	v_mov_b32_e32 v21, v20
.LBB31_22:
	s_or_b32 exec_lo, exec_lo, s5
	v_add_nc_u32_e32 v23, 1, v2
	v_add_nc_u32_e32 v24, 1, v3
	s_waitcnt lgkmcnt(0)
	v_cmp_lt_i32_e64 s6, v22, v21
                                        ; implicit-def: $vgpr25
	s_delay_alu instid0(VALU_DEP_3) | instskip(NEXT) | instid1(VALU_DEP_3)
	v_cndmask_b32_e64 v23, v23, v2, s4
	v_cndmask_b32_e64 v24, v3, v24, s4
	s_delay_alu instid0(VALU_DEP_2) | instskip(NEXT) | instid1(VALU_DEP_2)
	v_cmp_ge_i32_e64 s5, v23, v15
	v_cmp_lt_i32_e64 s7, v24, v16
	s_delay_alu instid0(VALU_DEP_2)
	s_or_b32 s5, s5, s6
	s_delay_alu instid0(VALU_DEP_1) | instid1(SALU_CYCLE_1)
	s_and_b32 s5, s7, s5
	s_delay_alu instid0(SALU_CYCLE_1) | instskip(NEXT) | instid1(SALU_CYCLE_1)
	s_xor_b32 s6, s5, -1
	s_and_saveexec_b32 s7, s6
	s_delay_alu instid0(SALU_CYCLE_1)
	s_xor_b32 s6, exec_lo, s7
	s_cbranch_execz .LBB31_24
; %bb.23:
	v_lshl_add_u32 v25, v23, 2, v7
	ds_load_b32 v25, v25 offset:4
.LBB31_24:
	s_or_saveexec_b32 s6, s6
	v_mov_b32_e32 v26, v22
	s_xor_b32 exec_lo, exec_lo, s6
	s_cbranch_execz .LBB31_26
; %bb.25:
	s_waitcnt lgkmcnt(0)
	v_lshl_add_u32 v25, v24, 2, v7
	ds_load_b32 v26, v25 offset:4
	v_mov_b32_e32 v25, v21
.LBB31_26:
	s_or_b32 exec_lo, exec_lo, s6
	v_add_nc_u32_e32 v27, 1, v23
	v_and_b32_e32 v28, 0x70, v10
	v_add_nc_u32_e32 v29, 1, v24
	v_cndmask_b32_e64 v30, v23, v24, s5
	v_cndmask_b32_e64 v2, v2, v3, s4
	;; [unrolled: 1-line block ×3, first 2 shown]
	v_min_i32_e32 v23, v9, v28
	v_cndmask_b32_e64 v24, v24, v29, s5
	v_cndmask_b32_e64 v1, v1, v0, s3
	s_waitcnt lgkmcnt(0)
	v_cmp_lt_i32_e64 s6, v26, v25
	v_cmp_ge_i32_e64 s7, v3, v15
	v_add_nc_u32_e32 v0, 8, v23
	v_cmp_lt_i32_e64 s8, v24, v16
	; wave barrier
	s_delay_alu instid0(VALU_DEP_3) | instskip(NEXT) | instid1(VALU_DEP_2)
	s_or_b32 s6, s7, s6
	v_min_i32_e32 v0, v9, v0
	s_delay_alu instid0(VALU_DEP_2)
	s_and_b32 s6, s8, s6
	ds_store_2addr_b32 v8, v11, v12 offset1:1
	ds_store_2addr_b32 v8, v14, v13 offset0:2 offset1:3
	v_cndmask_b32_e64 v3, v3, v24, s6
	v_lshl_add_u32 v1, v1, 2, v7
	v_add_nc_u32_e32 v11, 8, v0
	v_lshl_add_u32 v2, v2, 2, v7
	s_delay_alu instid0(VALU_DEP_4) | instskip(NEXT) | instid1(VALU_DEP_3)
	v_lshl_add_u32 v14, v3, 2, v7
	; wave barrier
	v_min_i32_e32 v12, v9, v11
	v_lshl_add_u32 v11, v30, 2, v7
	ds_load_b32 v1, v1
	ds_load_b32 v2, v2
	;; [unrolled: 1-line block ×4, first 2 shown]
	v_and_b32_e32 v13, 12, v10
	v_sub_nc_u32_e32 v15, v12, v0
	v_sub_nc_u32_e32 v16, v0, v23
	v_cndmask_b32_e64 v19, v20, v19, s4
	v_cndmask_b32_e64 v17, v17, v18, s3
	v_min_i32_e32 v13, v9, v13
	v_cndmask_b32_e64 v25, v25, v26, s6
	v_cndmask_b32_e64 v21, v21, v22, s5
	s_mov_b32 s5, 0
	s_delay_alu instid0(VALU_DEP_3)
	v_sub_nc_u32_e32 v14, v13, v15
	v_cmp_ge_i32_e64 s4, v13, v15
	v_min_i32_e32 v16, v13, v16
	; wave barrier
	ds_store_2addr_b32 v8, v17, v19 offset1:1
	ds_store_2addr_b32 v8, v21, v25 offset0:2 offset1:3
	v_cndmask_b32_e64 v15, 0, v14, s4
	v_lshl_add_u32 v14, v23, 2, v7
	s_mov_b32 s4, exec_lo
	; wave barrier
	s_delay_alu instid0(VALU_DEP_2)
	v_cmpx_lt_i32_e64 v15, v16
	s_cbranch_execz .LBB31_30
; %bb.27:
	v_lshlrev_b32_e32 v17, 2, v0
	v_lshlrev_b32_e32 v18, 2, v13
	s_delay_alu instid0(VALU_DEP_1)
	v_add3_u32 v17, v7, v17, v18
	.p2align	6
.LBB31_28:                              ; =>This Inner Loop Header: Depth=1
	v_sub_nc_u32_e32 v18, v16, v15
	s_delay_alu instid0(VALU_DEP_1) | instskip(NEXT) | instid1(VALU_DEP_1)
	v_lshrrev_b32_e32 v19, 31, v18
	v_add_nc_u32_e32 v18, v18, v19
	s_delay_alu instid0(VALU_DEP_1) | instskip(NEXT) | instid1(VALU_DEP_1)
	v_ashrrev_i32_e32 v18, 1, v18
	v_add_nc_u32_e32 v18, v18, v15
	s_delay_alu instid0(VALU_DEP_1) | instskip(SKIP_2) | instid1(VALU_DEP_3)
	v_not_b32_e32 v19, v18
	v_lshl_add_u32 v20, v18, 2, v14
	v_add_nc_u32_e32 v21, 1, v18
	v_lshl_add_u32 v19, v19, 2, v17
	ds_load_b32 v20, v20
	ds_load_b32 v19, v19
	s_waitcnt lgkmcnt(0)
	v_cmp_lt_i32_e64 s3, v19, v20
	s_delay_alu instid0(VALU_DEP_1) | instskip(SKIP_1) | instid1(VALU_DEP_1)
	v_cndmask_b32_e64 v16, v16, v18, s3
	v_cndmask_b32_e64 v15, v21, v15, s3
	v_cmp_ge_i32_e64 s3, v15, v16
	s_delay_alu instid0(VALU_DEP_1) | instskip(NEXT) | instid1(SALU_CYCLE_1)
	s_or_b32 s5, s3, s5
	s_and_not1_b32 exec_lo, exec_lo, s5
	s_cbranch_execnz .LBB31_28
; %bb.29:
	s_or_b32 exec_lo, exec_lo, s5
.LBB31_30:
	s_delay_alu instid0(SALU_CYCLE_1) | instskip(SKIP_3) | instid1(VALU_DEP_3)
	s_or_b32 exec_lo, exec_lo, s4
	v_add_nc_u32_e32 v13, v0, v13
	v_lshl_add_u32 v20, v15, 2, v14
	v_add_nc_u32_e32 v18, v15, v23
                                        ; implicit-def: $vgpr16
	v_sub_nc_u32_e32 v17, v13, v15
                                        ; implicit-def: $vgpr15
	s_delay_alu instid0(VALU_DEP_2) | instskip(NEXT) | instid1(VALU_DEP_2)
	v_cmp_le_i32_e64 s3, v0, v18
	v_lshl_add_u32 v19, v17, 2, v7
	v_cmp_gt_i32_e64 s5, v12, v17
	ds_load_b32 v13, v20
	ds_load_b32 v14, v19
	s_waitcnt lgkmcnt(0)
	v_cmp_lt_i32_e64 s4, v14, v13
	s_delay_alu instid0(VALU_DEP_1) | instskip(NEXT) | instid1(SALU_CYCLE_1)
	s_or_b32 s3, s3, s4
	s_and_b32 s3, s5, s3
	s_delay_alu instid0(SALU_CYCLE_1) | instskip(NEXT) | instid1(SALU_CYCLE_1)
	s_xor_b32 s4, s3, -1
	s_and_saveexec_b32 s5, s4
	s_delay_alu instid0(SALU_CYCLE_1)
	s_xor_b32 s4, exec_lo, s5
	s_cbranch_execz .LBB31_32
; %bb.31:
	ds_load_b32 v16, v20 offset:4
	v_mov_b32_e32 v15, v14
                                        ; implicit-def: $vgpr19
.LBB31_32:
	s_and_not1_saveexec_b32 s4, s4
	s_cbranch_execz .LBB31_34
; %bb.33:
	ds_load_b32 v15, v19 offset:4
	s_waitcnt lgkmcnt(1)
	v_mov_b32_e32 v16, v13
.LBB31_34:
	s_or_b32 exec_lo, exec_lo, s4
	v_add_nc_u32_e32 v19, 1, v18
	v_add_nc_u32_e32 v20, 1, v17
	s_waitcnt lgkmcnt(0)
	v_cmp_lt_i32_e64 s5, v15, v16
	s_delay_alu instid0(VALU_DEP_3) | instskip(NEXT) | instid1(VALU_DEP_3)
	v_cndmask_b32_e64 v21, v19, v18, s3
	v_cndmask_b32_e64 v22, v17, v20, s3
                                        ; implicit-def: $vgpr19
	s_delay_alu instid0(VALU_DEP_2) | instskip(NEXT) | instid1(VALU_DEP_2)
	v_cmp_ge_i32_e64 s4, v21, v0
	v_cmp_lt_i32_e64 s6, v22, v12
	s_delay_alu instid0(VALU_DEP_2)
	s_or_b32 s4, s4, s5
	s_delay_alu instid0(VALU_DEP_1) | instid1(SALU_CYCLE_1)
	s_and_b32 s4, s6, s4
	s_delay_alu instid0(SALU_CYCLE_1) | instskip(NEXT) | instid1(SALU_CYCLE_1)
	s_xor_b32 s5, s4, -1
	s_and_saveexec_b32 s6, s5
	s_delay_alu instid0(SALU_CYCLE_1)
	s_xor_b32 s5, exec_lo, s6
	s_cbranch_execz .LBB31_36
; %bb.35:
	v_lshl_add_u32 v19, v21, 2, v7
	ds_load_b32 v19, v19 offset:4
.LBB31_36:
	s_or_saveexec_b32 s5, s5
	v_mov_b32_e32 v20, v15
	s_xor_b32 exec_lo, exec_lo, s5
	s_cbranch_execz .LBB31_38
; %bb.37:
	s_waitcnt lgkmcnt(0)
	v_lshl_add_u32 v19, v22, 2, v7
	ds_load_b32 v20, v19 offset:4
	v_mov_b32_e32 v19, v16
.LBB31_38:
	s_or_b32 exec_lo, exec_lo, s5
	v_add_nc_u32_e32 v23, 1, v21
	v_add_nc_u32_e32 v24, 1, v22
	s_waitcnt lgkmcnt(0)
	v_cmp_lt_i32_e64 s6, v20, v19
	s_delay_alu instid0(VALU_DEP_3) | instskip(NEXT) | instid1(VALU_DEP_3)
	v_cndmask_b32_e64 v25, v23, v21, s4
	v_cndmask_b32_e64 v23, v22, v24, s4
                                        ; implicit-def: $vgpr24
	s_delay_alu instid0(VALU_DEP_2) | instskip(NEXT) | instid1(VALU_DEP_2)
	v_cmp_ge_i32_e64 s5, v25, v0
	v_cmp_lt_i32_e64 s7, v23, v12
	s_delay_alu instid0(VALU_DEP_2)
	s_or_b32 s5, s5, s6
	s_delay_alu instid0(VALU_DEP_1) | instid1(SALU_CYCLE_1)
	s_and_b32 s5, s7, s5
	s_delay_alu instid0(SALU_CYCLE_1) | instskip(NEXT) | instid1(SALU_CYCLE_1)
	s_xor_b32 s6, s5, -1
	s_and_saveexec_b32 s7, s6
	s_delay_alu instid0(SALU_CYCLE_1)
	s_xor_b32 s6, exec_lo, s7
	s_cbranch_execz .LBB31_40
; %bb.39:
	v_lshl_add_u32 v24, v25, 2, v7
	ds_load_b32 v24, v24 offset:4
.LBB31_40:
	s_or_saveexec_b32 s6, s6
	v_mov_b32_e32 v26, v20
	s_xor_b32 exec_lo, exec_lo, s6
	s_cbranch_execz .LBB31_42
; %bb.41:
	s_waitcnt lgkmcnt(0)
	v_lshl_add_u32 v24, v23, 2, v7
	ds_load_b32 v26, v24 offset:4
	v_mov_b32_e32 v24, v19
.LBB31_42:
	s_or_b32 exec_lo, exec_lo, s6
	v_add_nc_u32_e32 v27, 1, v25
	v_and_b32_e32 v28, 0x60, v10
	v_add_nc_u32_e32 v29, 1, v23
	v_cndmask_b32_e64 v30, v25, v23, s5
	v_cndmask_b32_e64 v22, v21, v22, s4
	;; [unrolled: 1-line block ×3, first 2 shown]
	v_min_i32_e32 v21, v9, v28
	v_cndmask_b32_e64 v23, v23, v29, s5
	s_waitcnt lgkmcnt(0)
	v_cmp_lt_i32_e64 s6, v26, v24
	v_cndmask_b32_e64 v17, v18, v17, s3
	v_cmp_ge_i32_e64 s7, v25, v0
	v_add_nc_u32_e32 v0, 16, v21
	v_cmp_lt_i32_e64 s8, v23, v12
	; wave barrier
	s_delay_alu instid0(VALU_DEP_3) | instskip(NEXT) | instid1(VALU_DEP_2)
	s_or_b32 s6, s7, s6
	v_min_i32_e32 v0, v9, v0
	s_delay_alu instid0(VALU_DEP_2)
	s_and_b32 s6, s8, s6
	ds_store_2addr_b32 v8, v1, v2 offset1:1
	ds_store_2addr_b32 v8, v3, v11 offset0:2 offset1:3
	v_cndmask_b32_e64 v23, v25, v23, s6
	v_lshl_add_u32 v2, v17, 2, v7
	v_add_nc_u32_e32 v1, 16, v0
	v_and_b32_e32 v3, 28, v10
	v_lshl_add_u32 v11, v22, 2, v7
	v_lshl_add_u32 v22, v30, 2, v7
	;; [unrolled: 1-line block ×3, first 2 shown]
	; wave barrier
	v_min_i32_e32 v12, v9, v1
	v_min_i32_e32 v17, v9, v3
	ds_load_b32 v1, v2
	ds_load_b32 v2, v11
	;; [unrolled: 1-line block ×4, first 2 shown]
	v_cndmask_b32_e64 v18, v24, v26, s6
	v_sub_nc_u32_e32 v23, v0, v21
	v_sub_nc_u32_e32 v24, v12, v0
	v_cndmask_b32_e64 v19, v19, v20, s5
	v_cndmask_b32_e64 v20, v16, v15, s4
	;; [unrolled: 1-line block ×3, first 2 shown]
	v_min_i32_e32 v16, v17, v23
	v_sub_nc_u32_e32 v22, v17, v24
	v_cmp_ge_i32_e64 s4, v17, v24
	v_lshl_add_u32 v13, v21, 2, v7
	s_mov_b32 s5, 0
	; wave barrier
	s_delay_alu instid0(VALU_DEP_2)
	v_cndmask_b32_e64 v15, 0, v22, s4
	s_mov_b32 s4, exec_lo
	ds_store_2addr_b32 v8, v14, v20 offset1:1
	ds_store_2addr_b32 v8, v19, v18 offset0:2 offset1:3
	; wave barrier
	v_cmpx_lt_i32_e64 v15, v16
	s_cbranch_execz .LBB31_46
; %bb.43:
	v_lshlrev_b32_e32 v14, 2, v0
	v_lshlrev_b32_e32 v18, 2, v17
	s_delay_alu instid0(VALU_DEP_1)
	v_add3_u32 v14, v7, v14, v18
	.p2align	6
.LBB31_44:                              ; =>This Inner Loop Header: Depth=1
	v_sub_nc_u32_e32 v18, v16, v15
	s_delay_alu instid0(VALU_DEP_1) | instskip(NEXT) | instid1(VALU_DEP_1)
	v_lshrrev_b32_e32 v19, 31, v18
	v_add_nc_u32_e32 v18, v18, v19
	s_delay_alu instid0(VALU_DEP_1) | instskip(NEXT) | instid1(VALU_DEP_1)
	v_ashrrev_i32_e32 v18, 1, v18
	v_add_nc_u32_e32 v18, v18, v15
	s_delay_alu instid0(VALU_DEP_1) | instskip(SKIP_2) | instid1(VALU_DEP_3)
	v_not_b32_e32 v19, v18
	v_lshl_add_u32 v20, v18, 2, v13
	v_add_nc_u32_e32 v22, 1, v18
	v_lshl_add_u32 v19, v19, 2, v14
	ds_load_b32 v20, v20
	ds_load_b32 v19, v19
	s_waitcnt lgkmcnt(0)
	v_cmp_lt_i32_e64 s3, v19, v20
	s_delay_alu instid0(VALU_DEP_1) | instskip(SKIP_1) | instid1(VALU_DEP_1)
	v_cndmask_b32_e64 v16, v16, v18, s3
	v_cndmask_b32_e64 v15, v22, v15, s3
	v_cmp_ge_i32_e64 s3, v15, v16
	s_delay_alu instid0(VALU_DEP_1) | instskip(NEXT) | instid1(SALU_CYCLE_1)
	s_or_b32 s5, s3, s5
	s_and_not1_b32 exec_lo, exec_lo, s5
	s_cbranch_execnz .LBB31_44
; %bb.45:
	s_or_b32 exec_lo, exec_lo, s5
.LBB31_46:
	s_delay_alu instid0(SALU_CYCLE_1) | instskip(SKIP_3) | instid1(VALU_DEP_3)
	s_or_b32 exec_lo, exec_lo, s4
	v_add_nc_u32_e32 v14, v0, v17
	v_lshl_add_u32 v20, v15, 2, v13
	v_add_nc_u32_e32 v18, v15, v21
                                        ; implicit-def: $vgpr16
	v_sub_nc_u32_e32 v17, v14, v15
                                        ; implicit-def: $vgpr15
	s_delay_alu instid0(VALU_DEP_2) | instskip(NEXT) | instid1(VALU_DEP_2)
	v_cmp_le_i32_e64 s3, v0, v18
	v_lshl_add_u32 v19, v17, 2, v7
	v_cmp_gt_i32_e64 s5, v12, v17
	ds_load_b32 v13, v20
	ds_load_b32 v14, v19
	s_waitcnt lgkmcnt(0)
	v_cmp_lt_i32_e64 s4, v14, v13
	s_delay_alu instid0(VALU_DEP_1) | instskip(NEXT) | instid1(SALU_CYCLE_1)
	s_or_b32 s3, s3, s4
	s_and_b32 s3, s5, s3
	s_delay_alu instid0(SALU_CYCLE_1) | instskip(NEXT) | instid1(SALU_CYCLE_1)
	s_xor_b32 s4, s3, -1
	s_and_saveexec_b32 s5, s4
	s_delay_alu instid0(SALU_CYCLE_1)
	s_xor_b32 s4, exec_lo, s5
	s_cbranch_execz .LBB31_48
; %bb.47:
	ds_load_b32 v16, v20 offset:4
	v_mov_b32_e32 v15, v14
                                        ; implicit-def: $vgpr19
.LBB31_48:
	s_and_not1_saveexec_b32 s4, s4
	s_cbranch_execz .LBB31_50
; %bb.49:
	ds_load_b32 v15, v19 offset:4
	s_waitcnt lgkmcnt(1)
	v_mov_b32_e32 v16, v13
.LBB31_50:
	s_or_b32 exec_lo, exec_lo, s4
	v_add_nc_u32_e32 v19, 1, v18
	v_add_nc_u32_e32 v20, 1, v17
	s_waitcnt lgkmcnt(0)
	v_cmp_lt_i32_e64 s5, v15, v16
	s_delay_alu instid0(VALU_DEP_3) | instskip(NEXT) | instid1(VALU_DEP_3)
	v_cndmask_b32_e64 v21, v19, v18, s3
	v_cndmask_b32_e64 v22, v17, v20, s3
                                        ; implicit-def: $vgpr19
	s_delay_alu instid0(VALU_DEP_2) | instskip(NEXT) | instid1(VALU_DEP_2)
	v_cmp_ge_i32_e64 s4, v21, v0
	v_cmp_lt_i32_e64 s6, v22, v12
	s_delay_alu instid0(VALU_DEP_2)
	s_or_b32 s4, s4, s5
	s_delay_alu instid0(VALU_DEP_1) | instid1(SALU_CYCLE_1)
	s_and_b32 s4, s6, s4
	s_delay_alu instid0(SALU_CYCLE_1) | instskip(NEXT) | instid1(SALU_CYCLE_1)
	s_xor_b32 s5, s4, -1
	s_and_saveexec_b32 s6, s5
	s_delay_alu instid0(SALU_CYCLE_1)
	s_xor_b32 s5, exec_lo, s6
	s_cbranch_execz .LBB31_52
; %bb.51:
	v_lshl_add_u32 v19, v21, 2, v7
	ds_load_b32 v19, v19 offset:4
.LBB31_52:
	s_or_saveexec_b32 s5, s5
	v_mov_b32_e32 v20, v15
	s_xor_b32 exec_lo, exec_lo, s5
	s_cbranch_execz .LBB31_54
; %bb.53:
	s_waitcnt lgkmcnt(0)
	v_lshl_add_u32 v19, v22, 2, v7
	ds_load_b32 v20, v19 offset:4
	v_mov_b32_e32 v19, v16
.LBB31_54:
	s_or_b32 exec_lo, exec_lo, s5
	v_add_nc_u32_e32 v23, 1, v21
	v_add_nc_u32_e32 v24, 1, v22
	s_waitcnt lgkmcnt(0)
	v_cmp_lt_i32_e64 s6, v20, v19
	s_delay_alu instid0(VALU_DEP_3) | instskip(NEXT) | instid1(VALU_DEP_3)
	v_cndmask_b32_e64 v25, v23, v21, s4
	v_cndmask_b32_e64 v23, v22, v24, s4
                                        ; implicit-def: $vgpr24
	s_delay_alu instid0(VALU_DEP_2) | instskip(NEXT) | instid1(VALU_DEP_2)
	v_cmp_ge_i32_e64 s5, v25, v0
	v_cmp_lt_i32_e64 s7, v23, v12
	s_delay_alu instid0(VALU_DEP_2)
	s_or_b32 s5, s5, s6
	s_delay_alu instid0(VALU_DEP_1) | instid1(SALU_CYCLE_1)
	s_and_b32 s5, s7, s5
	s_delay_alu instid0(SALU_CYCLE_1) | instskip(NEXT) | instid1(SALU_CYCLE_1)
	s_xor_b32 s6, s5, -1
	s_and_saveexec_b32 s7, s6
	s_delay_alu instid0(SALU_CYCLE_1)
	s_xor_b32 s6, exec_lo, s7
	s_cbranch_execz .LBB31_56
; %bb.55:
	v_lshl_add_u32 v24, v25, 2, v7
	ds_load_b32 v24, v24 offset:4
.LBB31_56:
	s_or_saveexec_b32 s6, s6
	v_mov_b32_e32 v26, v20
	s_xor_b32 exec_lo, exec_lo, s6
	s_cbranch_execz .LBB31_58
; %bb.57:
	s_waitcnt lgkmcnt(0)
	v_lshl_add_u32 v24, v23, 2, v7
	ds_load_b32 v26, v24 offset:4
	v_mov_b32_e32 v24, v19
.LBB31_58:
	s_or_b32 exec_lo, exec_lo, s6
	v_add_nc_u32_e32 v27, 1, v25
	v_and_b32_e32 v28, 64, v10
	v_add_nc_u32_e32 v29, 1, v23
	v_cndmask_b32_e64 v30, v25, v23, s5
	v_cndmask_b32_e64 v22, v21, v22, s4
	;; [unrolled: 1-line block ×3, first 2 shown]
	v_min_i32_e32 v21, v9, v28
	v_cndmask_b32_e64 v23, v23, v29, s5
	s_waitcnt lgkmcnt(0)
	v_cmp_lt_i32_e64 s6, v26, v24
	v_cndmask_b32_e64 v17, v18, v17, s3
	v_cmp_ge_i32_e64 s7, v25, v0
	v_add_nc_u32_e32 v0, 32, v21
	v_cmp_lt_i32_e64 s8, v23, v12
	; wave barrier
	s_delay_alu instid0(VALU_DEP_3) | instskip(NEXT) | instid1(VALU_DEP_2)
	s_or_b32 s6, s7, s6
	v_min_i32_e32 v0, v9, v0
	s_delay_alu instid0(VALU_DEP_2)
	s_and_b32 s6, s8, s6
	ds_store_2addr_b32 v8, v1, v2 offset1:1
	ds_store_2addr_b32 v8, v3, v11 offset0:2 offset1:3
	v_cndmask_b32_e64 v23, v25, v23, s6
	v_lshl_add_u32 v2, v17, 2, v7
	v_add_nc_u32_e32 v1, 32, v0
	v_and_b32_e32 v3, 60, v10
	v_lshl_add_u32 v11, v22, 2, v7
	v_lshl_add_u32 v22, v30, 2, v7
	;; [unrolled: 1-line block ×3, first 2 shown]
	; wave barrier
	v_min_i32_e32 v12, v9, v1
	v_min_i32_e32 v17, v9, v3
	ds_load_b32 v1, v2
	ds_load_b32 v2, v11
	;; [unrolled: 1-line block ×4, first 2 shown]
	v_cndmask_b32_e64 v18, v24, v26, s6
	v_sub_nc_u32_e32 v23, v0, v21
	v_sub_nc_u32_e32 v24, v12, v0
	v_cndmask_b32_e64 v19, v19, v20, s5
	v_cndmask_b32_e64 v20, v16, v15, s4
	;; [unrolled: 1-line block ×3, first 2 shown]
	v_min_i32_e32 v16, v17, v23
	v_sub_nc_u32_e32 v22, v17, v24
	v_cmp_ge_i32_e64 s4, v17, v24
	v_lshl_add_u32 v13, v21, 2, v7
	s_mov_b32 s5, 0
	; wave barrier
	s_delay_alu instid0(VALU_DEP_2)
	v_cndmask_b32_e64 v15, 0, v22, s4
	s_mov_b32 s4, exec_lo
	ds_store_2addr_b32 v8, v14, v20 offset1:1
	ds_store_2addr_b32 v8, v19, v18 offset0:2 offset1:3
	; wave barrier
	v_cmpx_lt_i32_e64 v15, v16
	s_cbranch_execz .LBB31_62
; %bb.59:
	v_lshlrev_b32_e32 v14, 2, v0
	v_lshlrev_b32_e32 v18, 2, v17
	s_delay_alu instid0(VALU_DEP_1)
	v_add3_u32 v14, v7, v14, v18
	.p2align	6
.LBB31_60:                              ; =>This Inner Loop Header: Depth=1
	v_sub_nc_u32_e32 v18, v16, v15
	s_delay_alu instid0(VALU_DEP_1) | instskip(NEXT) | instid1(VALU_DEP_1)
	v_lshrrev_b32_e32 v19, 31, v18
	v_add_nc_u32_e32 v18, v18, v19
	s_delay_alu instid0(VALU_DEP_1) | instskip(NEXT) | instid1(VALU_DEP_1)
	v_ashrrev_i32_e32 v18, 1, v18
	v_add_nc_u32_e32 v18, v18, v15
	s_delay_alu instid0(VALU_DEP_1) | instskip(SKIP_2) | instid1(VALU_DEP_3)
	v_not_b32_e32 v19, v18
	v_lshl_add_u32 v20, v18, 2, v13
	v_add_nc_u32_e32 v22, 1, v18
	v_lshl_add_u32 v19, v19, 2, v14
	ds_load_b32 v20, v20
	ds_load_b32 v19, v19
	s_waitcnt lgkmcnt(0)
	v_cmp_lt_i32_e64 s3, v19, v20
	s_delay_alu instid0(VALU_DEP_1) | instskip(SKIP_1) | instid1(VALU_DEP_1)
	v_cndmask_b32_e64 v16, v16, v18, s3
	v_cndmask_b32_e64 v15, v22, v15, s3
	v_cmp_ge_i32_e64 s3, v15, v16
	s_delay_alu instid0(VALU_DEP_1) | instskip(NEXT) | instid1(SALU_CYCLE_1)
	s_or_b32 s5, s3, s5
	s_and_not1_b32 exec_lo, exec_lo, s5
	s_cbranch_execnz .LBB31_60
; %bb.61:
	s_or_b32 exec_lo, exec_lo, s5
.LBB31_62:
	s_delay_alu instid0(SALU_CYCLE_1) | instskip(SKIP_3) | instid1(VALU_DEP_3)
	s_or_b32 exec_lo, exec_lo, s4
	v_add_nc_u32_e32 v14, v0, v17
	v_lshl_add_u32 v20, v15, 2, v13
	v_add_nc_u32_e32 v18, v15, v21
                                        ; implicit-def: $vgpr16
	v_sub_nc_u32_e32 v17, v14, v15
                                        ; implicit-def: $vgpr15
	s_delay_alu instid0(VALU_DEP_2) | instskip(NEXT) | instid1(VALU_DEP_2)
	v_cmp_le_i32_e64 s3, v0, v18
	v_lshl_add_u32 v19, v17, 2, v7
	v_cmp_gt_i32_e64 s5, v12, v17
	ds_load_b32 v13, v20
	ds_load_b32 v14, v19
	s_waitcnt lgkmcnt(0)
	v_cmp_lt_i32_e64 s4, v14, v13
	s_delay_alu instid0(VALU_DEP_1) | instskip(NEXT) | instid1(SALU_CYCLE_1)
	s_or_b32 s3, s3, s4
	s_and_b32 s3, s5, s3
	s_delay_alu instid0(SALU_CYCLE_1) | instskip(NEXT) | instid1(SALU_CYCLE_1)
	s_xor_b32 s4, s3, -1
	s_and_saveexec_b32 s5, s4
	s_delay_alu instid0(SALU_CYCLE_1)
	s_xor_b32 s4, exec_lo, s5
	s_cbranch_execz .LBB31_64
; %bb.63:
	ds_load_b32 v16, v20 offset:4
	v_mov_b32_e32 v15, v14
                                        ; implicit-def: $vgpr19
.LBB31_64:
	s_and_not1_saveexec_b32 s4, s4
	s_cbranch_execz .LBB31_66
; %bb.65:
	ds_load_b32 v15, v19 offset:4
	s_waitcnt lgkmcnt(1)
	v_mov_b32_e32 v16, v13
.LBB31_66:
	s_or_b32 exec_lo, exec_lo, s4
	v_add_nc_u32_e32 v19, 1, v18
	v_add_nc_u32_e32 v20, 1, v17
	s_waitcnt lgkmcnt(0)
	v_cmp_lt_i32_e64 s5, v15, v16
	s_delay_alu instid0(VALU_DEP_3) | instskip(NEXT) | instid1(VALU_DEP_3)
	v_cndmask_b32_e64 v21, v19, v18, s3
	v_cndmask_b32_e64 v22, v17, v20, s3
                                        ; implicit-def: $vgpr19
	s_delay_alu instid0(VALU_DEP_2) | instskip(NEXT) | instid1(VALU_DEP_2)
	v_cmp_ge_i32_e64 s4, v21, v0
	v_cmp_lt_i32_e64 s6, v22, v12
	s_delay_alu instid0(VALU_DEP_2)
	s_or_b32 s4, s4, s5
	s_delay_alu instid0(VALU_DEP_1) | instid1(SALU_CYCLE_1)
	s_and_b32 s4, s6, s4
	s_delay_alu instid0(SALU_CYCLE_1) | instskip(NEXT) | instid1(SALU_CYCLE_1)
	s_xor_b32 s5, s4, -1
	s_and_saveexec_b32 s6, s5
	s_delay_alu instid0(SALU_CYCLE_1)
	s_xor_b32 s5, exec_lo, s6
	s_cbranch_execz .LBB31_68
; %bb.67:
	v_lshl_add_u32 v19, v21, 2, v7
	ds_load_b32 v19, v19 offset:4
.LBB31_68:
	s_or_saveexec_b32 s5, s5
	v_mov_b32_e32 v20, v15
	s_xor_b32 exec_lo, exec_lo, s5
	s_cbranch_execz .LBB31_70
; %bb.69:
	s_waitcnt lgkmcnt(0)
	v_lshl_add_u32 v19, v22, 2, v7
	ds_load_b32 v20, v19 offset:4
	v_mov_b32_e32 v19, v16
.LBB31_70:
	s_or_b32 exec_lo, exec_lo, s5
	v_add_nc_u32_e32 v23, 1, v21
	v_add_nc_u32_e32 v24, 1, v22
	s_waitcnt lgkmcnt(0)
	v_cmp_lt_i32_e64 s6, v20, v19
	s_delay_alu instid0(VALU_DEP_3) | instskip(NEXT) | instid1(VALU_DEP_3)
	v_cndmask_b32_e64 v26, v23, v21, s4
	v_cndmask_b32_e64 v23, v22, v24, s4
                                        ; implicit-def: $vgpr24
	s_delay_alu instid0(VALU_DEP_2) | instskip(NEXT) | instid1(VALU_DEP_2)
	v_cmp_ge_i32_e64 s5, v26, v0
	v_cmp_lt_i32_e64 s7, v23, v12
	s_delay_alu instid0(VALU_DEP_2)
	s_or_b32 s5, s5, s6
	s_delay_alu instid0(VALU_DEP_1) | instid1(SALU_CYCLE_1)
	s_and_b32 s5, s7, s5
	s_delay_alu instid0(SALU_CYCLE_1) | instskip(NEXT) | instid1(SALU_CYCLE_1)
	s_xor_b32 s6, s5, -1
	s_and_saveexec_b32 s7, s6
	s_delay_alu instid0(SALU_CYCLE_1)
	s_xor_b32 s6, exec_lo, s7
	s_cbranch_execz .LBB31_72
; %bb.71:
	v_lshl_add_u32 v24, v26, 2, v7
	ds_load_b32 v24, v24 offset:4
.LBB31_72:
	s_or_saveexec_b32 s6, s6
	v_mov_b32_e32 v25, v20
	s_xor_b32 exec_lo, exec_lo, s6
	s_cbranch_execz .LBB31_74
; %bb.73:
	s_waitcnt lgkmcnt(0)
	v_lshl_add_u32 v24, v23, 2, v7
	ds_load_b32 v25, v24 offset:4
	v_mov_b32_e32 v24, v19
.LBB31_74:
	s_or_b32 exec_lo, exec_lo, s6
	v_add_nc_u32_e32 v27, 1, v26
	v_add_nc_u32_e32 v28, 1, v23
	v_cndmask_b32_e64 v29, v26, v23, s5
	v_cndmask_b32_e64 v22, v21, v22, s4
	v_min_i32_e32 v21, 0, v9
	v_cndmask_b32_e64 v26, v27, v26, s5
	v_cndmask_b32_e64 v23, v23, v28, s5
	s_waitcnt lgkmcnt(0)
	v_cmp_lt_i32_e64 s6, v25, v24
	v_cndmask_b32_e64 v17, v18, v17, s3
	v_cmp_ge_i32_e64 s7, v26, v0
	v_add_nc_u32_e32 v0, 64, v21
	v_cmp_lt_i32_e64 s8, v23, v12
	; wave barrier
	ds_store_2addr_b32 v8, v1, v2 offset1:1
	ds_store_2addr_b32 v8, v3, v11 offset0:2 offset1:3
	s_or_b32 s6, s7, s6
	v_min_i32_e32 v0, v9, v0
	s_and_b32 s6, s8, s6
	v_lshl_add_u32 v2, v17, 2, v7
	v_cndmask_b32_e64 v12, v26, v23, s6
	v_and_b32_e32 v3, 0x7c, v10
	v_add_nc_u32_e32 v1, 64, v0
	v_lshl_add_u32 v17, v22, 2, v7
	v_lshl_add_u32 v22, v29, 2, v7
	;; [unrolled: 1-line block ×3, first 2 shown]
	; wave barrier
	s_delay_alu instid0(VALU_DEP_4)
	v_min_i32_e32 v10, v9, v1
	v_min_i32_e32 v11, v9, v3
	ds_load_b32 v1, v2
	ds_load_b32 v2, v17
	ds_load_b32 v3, v22
	ds_load_b32 v9, v12
	v_sub_nc_u32_e32 v17, v0, v21
	v_cndmask_b32_e64 v19, v19, v20, s5
	v_sub_nc_u32_e32 v23, v10, v0
	v_cndmask_b32_e64 v20, v16, v15, s4
	v_cndmask_b32_e64 v13, v13, v14, s3
	v_min_i32_e32 v15, v11, v17
	v_cndmask_b32_e64 v18, v24, v25, s6
	v_sub_nc_u32_e32 v12, v11, v23
	v_cmp_ge_i32_e64 s4, v11, v23
	s_mov_b32 s5, 0
	; wave barrier
	ds_store_2addr_b32 v8, v13, v20 offset1:1
	ds_store_2addr_b32 v8, v19, v18 offset0:2 offset1:3
	v_cndmask_b32_e64 v16, 0, v12, s4
	v_lshl_add_u32 v12, v21, 2, v7
	s_mov_b32 s4, exec_lo
	; wave barrier
	s_delay_alu instid0(VALU_DEP_2)
	v_cmpx_lt_i32_e64 v16, v15
	s_cbranch_execz .LBB31_78
; %bb.75:
	v_lshlrev_b32_e32 v13, 2, v0
	v_lshlrev_b32_e32 v14, 2, v11
	s_delay_alu instid0(VALU_DEP_1)
	v_add3_u32 v13, v7, v13, v14
	.p2align	6
.LBB31_76:                              ; =>This Inner Loop Header: Depth=1
	v_sub_nc_u32_e32 v14, v15, v16
	s_delay_alu instid0(VALU_DEP_1) | instskip(NEXT) | instid1(VALU_DEP_1)
	v_lshrrev_b32_e32 v17, 31, v14
	v_add_nc_u32_e32 v14, v14, v17
	s_delay_alu instid0(VALU_DEP_1) | instskip(NEXT) | instid1(VALU_DEP_1)
	v_ashrrev_i32_e32 v14, 1, v14
	v_add_nc_u32_e32 v14, v14, v16
	s_delay_alu instid0(VALU_DEP_1) | instskip(SKIP_2) | instid1(VALU_DEP_3)
	v_not_b32_e32 v17, v14
	v_lshl_add_u32 v18, v14, 2, v12
	v_add_nc_u32_e32 v19, 1, v14
	v_lshl_add_u32 v17, v17, 2, v13
	ds_load_b32 v18, v18
	ds_load_b32 v17, v17
	s_waitcnt lgkmcnt(0)
	v_cmp_lt_i32_e64 s3, v17, v18
	s_delay_alu instid0(VALU_DEP_1) | instskip(SKIP_1) | instid1(VALU_DEP_1)
	v_cndmask_b32_e64 v15, v15, v14, s3
	v_cndmask_b32_e64 v16, v19, v16, s3
	v_cmp_ge_i32_e64 s3, v16, v15
	s_delay_alu instid0(VALU_DEP_1) | instskip(NEXT) | instid1(SALU_CYCLE_1)
	s_or_b32 s5, s3, s5
	s_and_not1_b32 exec_lo, exec_lo, s5
	s_cbranch_execnz .LBB31_76
; %bb.77:
	s_or_b32 exec_lo, exec_lo, s5
.LBB31_78:
	s_delay_alu instid0(SALU_CYCLE_1) | instskip(SKIP_2) | instid1(VALU_DEP_2)
	s_or_b32 exec_lo, exec_lo, s4
	v_add_nc_u32_e32 v11, v0, v11
	v_lshl_add_u32 v18, v16, 2, v12
                                        ; implicit-def: $vgpr13
                                        ; implicit-def: $vgpr14
	v_sub_nc_u32_e32 v15, v11, v16
	v_add_nc_u32_e32 v16, v16, v21
	s_delay_alu instid0(VALU_DEP_2) | instskip(NEXT) | instid1(VALU_DEP_2)
	v_lshl_add_u32 v17, v15, 2, v7
	v_cmp_le_i32_e64 s3, v0, v16
	v_cmp_gt_i32_e64 s5, v10, v15
	ds_load_b32 v11, v18
	ds_load_b32 v12, v17
	s_waitcnt lgkmcnt(0)
	v_cmp_lt_i32_e64 s4, v12, v11
	s_delay_alu instid0(VALU_DEP_1) | instskip(NEXT) | instid1(SALU_CYCLE_1)
	s_or_b32 s3, s3, s4
	s_and_b32 s3, s5, s3
	s_delay_alu instid0(SALU_CYCLE_1) | instskip(NEXT) | instid1(SALU_CYCLE_1)
	s_xor_b32 s4, s3, -1
	s_and_saveexec_b32 s5, s4
	s_delay_alu instid0(SALU_CYCLE_1)
	s_xor_b32 s4, exec_lo, s5
	s_cbranch_execz .LBB31_80
; %bb.79:
	ds_load_b32 v14, v18 offset:4
	v_mov_b32_e32 v13, v12
                                        ; implicit-def: $vgpr17
.LBB31_80:
	s_and_not1_saveexec_b32 s4, s4
	s_cbranch_execz .LBB31_82
; %bb.81:
	ds_load_b32 v13, v17 offset:4
	s_waitcnt lgkmcnt(1)
	v_mov_b32_e32 v14, v11
.LBB31_82:
	s_or_b32 exec_lo, exec_lo, s4
	v_add_nc_u32_e32 v17, 1, v16
	v_add_nc_u32_e32 v18, 1, v15
	s_waitcnt lgkmcnt(0)
	v_cmp_lt_i32_e64 s5, v13, v14
	s_delay_alu instid0(VALU_DEP_3) | instskip(NEXT) | instid1(VALU_DEP_3)
	v_cndmask_b32_e64 v19, v17, v16, s3
	v_cndmask_b32_e64 v20, v15, v18, s3
                                        ; implicit-def: $vgpr17
	s_delay_alu instid0(VALU_DEP_2) | instskip(NEXT) | instid1(VALU_DEP_2)
	v_cmp_ge_i32_e64 s4, v19, v0
	v_cmp_lt_i32_e64 s6, v20, v10
	s_delay_alu instid0(VALU_DEP_2)
	s_or_b32 s4, s4, s5
	s_delay_alu instid0(VALU_DEP_1) | instid1(SALU_CYCLE_1)
	s_and_b32 s4, s6, s4
	s_delay_alu instid0(SALU_CYCLE_1) | instskip(NEXT) | instid1(SALU_CYCLE_1)
	s_xor_b32 s5, s4, -1
	s_and_saveexec_b32 s6, s5
	s_delay_alu instid0(SALU_CYCLE_1)
	s_xor_b32 s5, exec_lo, s6
	s_cbranch_execz .LBB31_84
; %bb.83:
	v_lshl_add_u32 v17, v19, 2, v7
	ds_load_b32 v17, v17 offset:4
.LBB31_84:
	s_or_saveexec_b32 s5, s5
	v_mov_b32_e32 v18, v13
	s_xor_b32 exec_lo, exec_lo, s5
	s_cbranch_execz .LBB31_86
; %bb.85:
	s_waitcnt lgkmcnt(0)
	v_lshl_add_u32 v17, v20, 2, v7
	ds_load_b32 v18, v17 offset:4
	v_mov_b32_e32 v17, v14
.LBB31_86:
	s_or_b32 exec_lo, exec_lo, s5
	v_add_nc_u32_e32 v21, 1, v19
	v_add_nc_u32_e32 v22, 1, v20
	s_waitcnt lgkmcnt(0)
	v_cmp_lt_i32_e64 s6, v18, v17
                                        ; implicit-def: $vgpr23
	s_delay_alu instid0(VALU_DEP_3) | instskip(NEXT) | instid1(VALU_DEP_3)
	v_cndmask_b32_e64 v24, v21, v19, s4
	v_cndmask_b32_e64 v21, v20, v22, s4
                                        ; implicit-def: $vgpr22
	s_delay_alu instid0(VALU_DEP_2) | instskip(NEXT) | instid1(VALU_DEP_2)
	v_cmp_ge_i32_e64 s5, v24, v0
	v_cmp_lt_i32_e64 s7, v21, v10
	s_delay_alu instid0(VALU_DEP_2)
	s_or_b32 s5, s5, s6
	s_delay_alu instid0(VALU_DEP_1) | instid1(SALU_CYCLE_1)
	s_and_b32 s5, s7, s5
	s_delay_alu instid0(SALU_CYCLE_1) | instskip(NEXT) | instid1(SALU_CYCLE_1)
	s_xor_b32 s6, s5, -1
	s_and_saveexec_b32 s7, s6
	s_delay_alu instid0(SALU_CYCLE_1)
	s_xor_b32 s6, exec_lo, s7
	s_cbranch_execz .LBB31_88
; %bb.87:
	v_lshl_add_u32 v22, v24, 2, v7
	ds_load_b32 v23, v22 offset:4
	v_add_nc_u32_e32 v22, 1, v24
.LBB31_88:
	s_or_saveexec_b32 s6, s6
	v_dual_mov_b32 v25, v24 :: v_dual_mov_b32 v26, v18
	s_xor_b32 exec_lo, exec_lo, s6
	s_cbranch_execz .LBB31_90
; %bb.89:
	v_lshl_add_u32 v22, v21, 2, v7
	s_waitcnt lgkmcnt(0)
	v_add_nc_u32_e32 v23, 1, v21
	v_mov_b32_e32 v25, v21
	ds_load_b32 v26, v22 offset:4
	v_dual_mov_b32 v22, v24 :: v_dual_mov_b32 v21, v23
	v_mov_b32_e32 v23, v17
.LBB31_90:
	s_or_b32 exec_lo, exec_lo, s6
	s_delay_alu instid0(VALU_DEP_2) | instskip(SKIP_1) | instid1(VALU_DEP_2)
	v_cmp_ge_i32_e64 s6, v22, v0
	s_waitcnt lgkmcnt(0)
	v_cmp_lt_i32_e64 s7, v26, v23
	v_cmp_lt_i32_e64 s8, v21, v10
	v_cndmask_b32_e64 v10, v16, v15, s3
	v_cndmask_b32_e64 v0, v19, v20, s4
	s_delay_alu instid0(VALU_DEP_4)
	s_or_b32 s6, s6, s7
	; wave barrier
	s_delay_alu instid0(VALU_DEP_3) | instid1(SALU_CYCLE_1)
	s_and_b32 s6, s8, s6
	ds_store_2addr_b32 v8, v1, v2 offset1:1
	ds_store_2addr_b32 v8, v3, v9 offset0:2 offset1:3
	v_cndmask_b32_e64 v16, v22, v21, s6
	v_lshl_add_u32 v1, v10, 2, v7
	v_lshl_add_u32 v0, v0, 2, v7
	;; [unrolled: 1-line block ×3, first 2 shown]
	s_delay_alu instid0(VALU_DEP_4)
	v_lshl_add_u32 v3, v16, 2, v7
	; wave barrier
	ds_load_b32 v1, v1
	ds_load_b32 v0, v0
	;; [unrolled: 1-line block ×4, first 2 shown]
	v_cndmask_b32_e64 v7, v11, v12, s3
	v_cndmask_b32_e64 v8, v14, v13, s4
	;; [unrolled: 1-line block ×4, first 2 shown]
	v_add_co_u32 v11, s3, s10, v4
	s_delay_alu instid0(VALU_DEP_1)
	v_add_co_ci_u32_e64 v12, s3, s11, v5, s3
	s_waitcnt lgkmcnt(3)
	v_add_nc_u32_e32 v1, v1, v7
	s_waitcnt lgkmcnt(2)
	v_add_nc_u32_e32 v0, v8, v0
	;; [unrolled: 2-line block ×4, first 2 shown]
	v_cndmask_b32_e32 v5, v7, v1, vcc_lo
	v_cndmask_b32_e64 v4, v8, v0, s0
	v_add_co_u32 v0, s3, v11, v6
	v_cndmask_b32_e64 v3, v9, v2, s1
	v_cndmask_b32_e64 v2, v15, v10, s2
	v_add_co_ci_u32_e64 v1, s3, 0, v12, s3
	s_and_saveexec_b32 s3, vcc_lo
	s_cbranch_execnz .LBB31_95
; %bb.91:
	s_or_b32 exec_lo, exec_lo, s3
	s_and_saveexec_b32 s3, s0
	s_cbranch_execnz .LBB31_96
.LBB31_92:
	s_or_b32 exec_lo, exec_lo, s3
	s_and_saveexec_b32 s0, s1
	s_cbranch_execnz .LBB31_97
.LBB31_93:
	s_or_b32 exec_lo, exec_lo, s0
	s_and_saveexec_b32 s0, s2
	s_cbranch_execnz .LBB31_98
.LBB31_94:
	s_nop 0
	s_sendmsg sendmsg(MSG_DEALLOC_VGPRS)
	s_endpgm
.LBB31_95:
	global_store_b32 v[0:1], v5, off
	s_or_b32 exec_lo, exec_lo, s3
	s_and_saveexec_b32 s3, s0
	s_cbranch_execz .LBB31_92
.LBB31_96:
	global_store_b32 v[0:1], v4, off offset:4
	s_or_b32 exec_lo, exec_lo, s3
	s_and_saveexec_b32 s0, s1
	s_cbranch_execz .LBB31_93
.LBB31_97:
	global_store_b32 v[0:1], v3, off offset:8
	s_or_b32 exec_lo, exec_lo, s0
	s_and_saveexec_b32 s0, s2
	s_cbranch_execz .LBB31_94
.LBB31_98:
	global_store_b32 v[0:1], v2, off offset:12
	s_nop 0
	s_sendmsg sendmsg(MSG_DEALLOC_VGPRS)
	s_endpgm
	.section	.rodata,"a",@progbits
	.p2align	6, 0x0
	.amdhsa_kernel _Z20sort_pairs_segmentedILj256ELj32ELj4EiN10test_utils4lessEEvPKT2_PS2_PKjT3_
		.amdhsa_group_segment_fixed_size 4128
		.amdhsa_private_segment_fixed_size 0
		.amdhsa_kernarg_size 28
		.amdhsa_user_sgpr_count 15
		.amdhsa_user_sgpr_dispatch_ptr 0
		.amdhsa_user_sgpr_queue_ptr 0
		.amdhsa_user_sgpr_kernarg_segment_ptr 1
		.amdhsa_user_sgpr_dispatch_id 0
		.amdhsa_user_sgpr_private_segment_size 0
		.amdhsa_wavefront_size32 1
		.amdhsa_uses_dynamic_stack 0
		.amdhsa_enable_private_segment 0
		.amdhsa_system_sgpr_workgroup_id_x 1
		.amdhsa_system_sgpr_workgroup_id_y 0
		.amdhsa_system_sgpr_workgroup_id_z 0
		.amdhsa_system_sgpr_workgroup_info 0
		.amdhsa_system_vgpr_workitem_id 0
		.amdhsa_next_free_vgpr 31
		.amdhsa_next_free_sgpr 16
		.amdhsa_reserve_vcc 1
		.amdhsa_float_round_mode_32 0
		.amdhsa_float_round_mode_16_64 0
		.amdhsa_float_denorm_mode_32 3
		.amdhsa_float_denorm_mode_16_64 3
		.amdhsa_dx10_clamp 1
		.amdhsa_ieee_mode 1
		.amdhsa_fp16_overflow 0
		.amdhsa_workgroup_processor_mode 1
		.amdhsa_memory_ordered 1
		.amdhsa_forward_progress 0
		.amdhsa_shared_vgpr_count 0
		.amdhsa_exception_fp_ieee_invalid_op 0
		.amdhsa_exception_fp_denorm_src 0
		.amdhsa_exception_fp_ieee_div_zero 0
		.amdhsa_exception_fp_ieee_overflow 0
		.amdhsa_exception_fp_ieee_underflow 0
		.amdhsa_exception_fp_ieee_inexact 0
		.amdhsa_exception_int_div_zero 0
	.end_amdhsa_kernel
	.section	.text._Z20sort_pairs_segmentedILj256ELj32ELj4EiN10test_utils4lessEEvPKT2_PS2_PKjT3_,"axG",@progbits,_Z20sort_pairs_segmentedILj256ELj32ELj4EiN10test_utils4lessEEvPKT2_PS2_PKjT3_,comdat
.Lfunc_end31:
	.size	_Z20sort_pairs_segmentedILj256ELj32ELj4EiN10test_utils4lessEEvPKT2_PS2_PKjT3_, .Lfunc_end31-_Z20sort_pairs_segmentedILj256ELj32ELj4EiN10test_utils4lessEEvPKT2_PS2_PKjT3_
                                        ; -- End function
	.section	.AMDGPU.csdata,"",@progbits
; Kernel info:
; codeLenInByte = 5740
; NumSgprs: 18
; NumVgprs: 31
; ScratchSize: 0
; MemoryBound: 0
; FloatMode: 240
; IeeeMode: 1
; LDSByteSize: 4128 bytes/workgroup (compile time only)
; SGPRBlocks: 2
; VGPRBlocks: 3
; NumSGPRsForWavesPerEU: 18
; NumVGPRsForWavesPerEU: 31
; Occupancy: 16
; WaveLimiterHint : 0
; COMPUTE_PGM_RSRC2:SCRATCH_EN: 0
; COMPUTE_PGM_RSRC2:USER_SGPR: 15
; COMPUTE_PGM_RSRC2:TRAP_HANDLER: 0
; COMPUTE_PGM_RSRC2:TGID_X_EN: 1
; COMPUTE_PGM_RSRC2:TGID_Y_EN: 0
; COMPUTE_PGM_RSRC2:TGID_Z_EN: 0
; COMPUTE_PGM_RSRC2:TIDIG_COMP_CNT: 0
	.section	.text._Z9sort_keysILj256ELj32ELj8EiN10test_utils4lessEEvPKT2_PS2_T3_,"axG",@progbits,_Z9sort_keysILj256ELj32ELj8EiN10test_utils4lessEEvPKT2_PS2_T3_,comdat
	.protected	_Z9sort_keysILj256ELj32ELj8EiN10test_utils4lessEEvPKT2_PS2_T3_ ; -- Begin function _Z9sort_keysILj256ELj32ELj8EiN10test_utils4lessEEvPKT2_PS2_T3_
	.globl	_Z9sort_keysILj256ELj32ELj8EiN10test_utils4lessEEvPKT2_PS2_T3_
	.p2align	8
	.type	_Z9sort_keysILj256ELj32ELj8EiN10test_utils4lessEEvPKT2_PS2_T3_,@function
_Z9sort_keysILj256ELj32ELj8EiN10test_utils4lessEEvPKT2_PS2_T3_: ; @_Z9sort_keysILj256ELj32ELj8EiN10test_utils4lessEEvPKT2_PS2_T3_
; %bb.0:
	s_load_b128 s[8:11], s[0:1], 0x0
	s_mov_b32 s3, 0
	s_lshl_b32 s2, s15, 11
	v_lshlrev_b32_e32 v1, 5, v0
	s_lshl_b64 s[12:13], s[2:3], 2
	v_mbcnt_lo_u32_b32 v2, -1, 0
	v_lshrrev_b32_e32 v8, 5, v0
	v_lshlrev_b32_e32 v3, 3, v0
	s_delay_alu instid0(VALU_DEP_2)
	v_mul_u32_u24_e32 v0, 0x404, v8
	s_waitcnt lgkmcnt(0)
	s_add_u32 s0, s8, s12
	s_addc_u32 s1, s9, s13
	s_clause 0x1
	global_load_b128 v[11:14], v1, s[0:1]
	global_load_b128 v[15:18], v1, s[0:1] offset:16
	v_lshlrev_b32_e32 v1, 3, v2
	; wave barrier
	s_delay_alu instid0(VALU_DEP_1) | instskip(SKIP_1) | instid1(VALU_DEP_2)
	v_and_b32_e32 v6, 0xf0, v1
	v_and_b32_e32 v7, 8, v1
	v_or_b32_e32 v5, 8, v6
	v_add_nc_u32_e32 v4, 16, v6
	v_lshlrev_b32_e32 v9, 2, v6
	s_delay_alu instid0(VALU_DEP_3) | instskip(NEXT) | instid1(VALU_DEP_3)
	v_sub_nc_u32_e32 v19, v5, v6
	v_sub_nc_u32_e32 v10, v4, v5
	s_delay_alu instid0(VALU_DEP_1) | instskip(SKIP_1) | instid1(VALU_DEP_2)
	v_sub_nc_u32_e32 v20, v7, v10
	v_cmp_ge_i32_e32 vcc_lo, v7, v10
	v_cndmask_b32_e32 v10, 0, v20, vcc_lo
	s_waitcnt vmcnt(1)
	v_cmp_lt_i32_e32 vcc_lo, v12, v11
	v_max_i32_e32 v21, v12, v11
	v_cmp_lt_i32_e64 s0, v14, v13
	v_max_i32_e32 v23, v14, v13
	v_lshlrev_b32_e32 v2, 5, v2
	v_min_i32_e32 v24, v14, v13
	s_waitcnt vmcnt(0)
	v_cmp_lt_i32_e64 s1, v16, v15
	v_max_i32_e32 v26, v16, v15
	v_min_i32_e32 v27, v16, v15
	v_cmp_lt_i32_e64 s2, v18, v17
	v_min_i32_e32 v30, v18, v17
	v_mad_u32_u24 v2, 0x404, v8, v2
	v_mad_u32_u24 v8, 0x404, v8, v9
	v_min_i32_e32 v9, v7, v19
	v_cndmask_b32_e32 v19, v11, v12, vcc_lo
	v_min_i32_e32 v20, v12, v11
	v_cndmask_b32_e64 v22, v14, v13, s0
	v_cndmask_b32_e64 v25, v16, v15, s1
	v_max_i32_e32 v29, v18, v17
	v_cndmask_b32_e32 v11, v12, v11, vcc_lo
	v_cndmask_b32_e64 v12, v13, v14, s0
	v_cndmask_b32_e64 v13, v15, v16, s1
	;; [unrolled: 1-line block ×3, first 2 shown]
	v_cmp_lt_i32_e32 vcc_lo, v27, v23
	v_cmp_lt_i32_e64 s0, v30, v26
	v_cmp_lt_i32_e64 s1, v24, v21
	v_cndmask_b32_e64 v28, v18, v17, s2
	v_max_i32_e32 v15, v24, v21
	v_cndmask_b32_e32 v13, v13, v23, vcc_lo
	v_min_i32_e32 v16, v24, v21
	v_max_i32_e32 v17, v27, v23
	v_min_i32_e32 v18, v27, v23
	v_max_i32_e32 v31, v30, v26
	v_min_i32_e32 v32, v30, v26
	v_cmp_lt_i32_e64 s2, v24, v20
	v_cndmask_b32_e64 v12, v12, v21, s1
	v_cndmask_b32_e32 v21, v22, v27, vcc_lo
	v_cndmask_b32_e64 v14, v14, v26, s0
	v_cndmask_b32_e64 v22, v25, v30, s0
	v_cmp_gt_i32_e64 s0, v26, v29
	v_cndmask_b32_e64 v11, v11, v24, s1
	v_cndmask_b32_e64 v19, v19, v16, s2
	;; [unrolled: 1-line block ×4, first 2 shown]
	v_min_i32_e32 v25, v18, v15
	v_cmp_lt_i32_e32 vcc_lo, v32, v17
	v_max_i32_e32 v26, v32, v17
	v_cndmask_b32_e64 v28, v28, v31, s0
	v_cmp_lt_i32_e64 s1, v18, v15
	v_cndmask_b32_e64 v30, v29, v31, s0
	v_cndmask_b32_e64 v31, v31, v29, s0
	v_max_i32_e32 v24, v18, v15
	v_min_i32_e32 v27, v32, v17
	v_cndmask_b32_e64 v15, v21, v15, s1
	v_cndmask_b32_e64 v12, v12, v18, s1
	v_cndmask_b32_e32 v17, v22, v17, vcc_lo
	v_cndmask_b32_e64 v14, v14, v29, s0
	v_cmp_lt_i32_e64 s0, v25, v16
	v_cmp_lt_i32_e64 s1, v31, v26
	v_max_i32_e32 v29, v31, v26
	v_cndmask_b32_e64 v11, v11, v20, s2
	v_cndmask_b32_e32 v13, v13, v32, vcc_lo
	v_min_i32_e32 v20, v25, v16
	v_cmp_lt_i32_e32 vcc_lo, v27, v24
	v_max_i32_e32 v18, v25, v16
	v_max_i32_e32 v21, v27, v24
	v_min_i32_e32 v32, v31, v26
	v_cndmask_b32_e64 v12, v12, v16, s0
	v_cndmask_b32_e64 v14, v14, v26, s1
	;; [unrolled: 1-line block ×3, first 2 shown]
	v_cmp_lt_i32_e64 s1, v30, v29
	v_min_i32_e32 v22, v27, v24
	v_cndmask_b32_e32 v13, v13, v24, vcc_lo
	v_cndmask_b32_e32 v15, v15, v27, vcc_lo
	v_cmp_lt_i32_e32 vcc_lo, v20, v23
	v_cndmask_b32_e64 v11, v11, v25, s0
	v_cmp_lt_i32_e64 s0, v32, v21
	v_max_i32_e32 v26, v32, v21
	v_cndmask_b32_e64 v28, v28, v29, s1
	v_max_i32_e32 v31, v30, v29
	v_min_i32_e32 v29, v30, v29
	v_cndmask_b32_e32 v17, v19, v20, vcc_lo
	v_min_i32_e32 v19, v20, v23
	v_max_i32_e32 v20, v20, v23
	v_max_i32_e32 v24, v22, v18
	v_min_i32_e32 v25, v22, v18
	v_min_i32_e32 v27, v32, v21
	v_cmp_lt_i32_e64 s2, v22, v18
	v_cndmask_b32_e64 v16, v16, v21, s0
	v_cndmask_b32_e64 v13, v13, v32, s0
	;; [unrolled: 1-line block ×3, first 2 shown]
	v_cmp_lt_i32_e64 s0, v29, v26
	v_cndmask_b32_e32 v11, v11, v23, vcc_lo
	v_cndmask_b32_e64 v15, v15, v18, s2
	v_cndmask_b32_e64 v12, v12, v22, s2
	v_max_i32_e32 v18, v25, v20
	v_min_i32_e32 v21, v25, v20
	v_cmp_lt_i32_e32 vcc_lo, v27, v24
	v_min_i32_e32 v23, v27, v24
	v_cmp_lt_i32_e64 s1, v25, v20
	v_cmp_lt_i32_e64 s2, v25, v19
	v_max_i32_e32 v22, v27, v24
	v_min_i32_e32 v32, v29, v26
	v_max_i32_e32 v30, v29, v26
	v_cndmask_b32_e64 v14, v14, v26, s0
	v_cndmask_b32_e64 v16, v16, v29, s0
	v_cmp_gt_i32_e64 s0, v26, v31
	v_cndmask_b32_e64 v11, v11, v25, s1
	v_cndmask_b32_e64 v12, v12, v20, s1
	v_cndmask_b32_e32 v13, v13, v24, vcc_lo
	v_cndmask_b32_e32 v15, v15, v27, vcc_lo
	v_cndmask_b32_e64 v20, v21, v19, s2
	v_cmp_lt_i32_e32 vcc_lo, v23, v18
	v_min_i32_e32 v24, v23, v18
	v_cndmask_b32_e64 v17, v17, v21, s2
	v_max_i32_e32 v21, v23, v18
	v_min_i32_e32 v26, v32, v22
	v_cmp_lt_i32_e64 s1, v32, v22
	v_max_i32_e32 v25, v32, v22
	v_cndmask_b32_e64 v27, v28, v30, s0
	v_cndmask_b32_e64 v28, v30, v31, s0
	;; [unrolled: 1-line block ×3, first 2 shown]
	v_dual_cndmask_b32 v12, v12, v23 :: v_dual_cndmask_b32 v15, v15, v18
	v_cmp_lt_i32_e32 vcc_lo, v24, v20
	v_cndmask_b32_e64 v14, v14, v31, s0
	v_cmp_lt_i32_e64 s0, v26, v21
	v_cndmask_b32_e64 v16, v16, v22, s1
	v_cndmask_b32_e64 v13, v13, v32, s1
	v_cmp_lt_i32_e64 s1, v28, v25
	v_cndmask_b32_e32 v11, v11, v24, vcc_lo
	v_cndmask_b32_e32 v12, v12, v20, vcc_lo
	v_cndmask_b32_e64 v15, v15, v26, s0
	v_cndmask_b32_e64 v13, v13, v21, s0
	;; [unrolled: 1-line block ×4, first 2 shown]
	s_mov_b32 s0, exec_lo
	ds_store_2addr_b32 v2, v17, v11 offset1:1
	ds_store_2addr_b32 v2, v12, v15 offset0:2 offset1:3
	ds_store_2addr_b32 v2, v13, v16 offset0:4 offset1:5
	;; [unrolled: 1-line block ×3, first 2 shown]
	; wave barrier
	v_cmpx_lt_i32_e64 v10, v9
	s_cbranch_execz .LBB32_4
; %bb.1:
	v_lshlrev_b32_e32 v11, 2, v5
	v_lshlrev_b32_e32 v12, 2, v7
	s_delay_alu instid0(VALU_DEP_1)
	v_add3_u32 v11, v0, v11, v12
	.p2align	6
.LBB32_2:                               ; =>This Inner Loop Header: Depth=1
	v_sub_nc_u32_e32 v12, v9, v10
	s_delay_alu instid0(VALU_DEP_1) | instskip(NEXT) | instid1(VALU_DEP_1)
	v_lshrrev_b32_e32 v13, 31, v12
	v_add_nc_u32_e32 v12, v12, v13
	s_delay_alu instid0(VALU_DEP_1) | instskip(NEXT) | instid1(VALU_DEP_1)
	v_ashrrev_i32_e32 v12, 1, v12
	v_add_nc_u32_e32 v12, v12, v10
	s_delay_alu instid0(VALU_DEP_1) | instskip(SKIP_2) | instid1(VALU_DEP_3)
	v_not_b32_e32 v13, v12
	v_lshl_add_u32 v14, v12, 2, v8
	v_add_nc_u32_e32 v15, 1, v12
	v_lshl_add_u32 v13, v13, 2, v11
	ds_load_b32 v14, v14
	ds_load_b32 v13, v13
	s_waitcnt lgkmcnt(0)
	v_cmp_lt_i32_e32 vcc_lo, v13, v14
	v_dual_cndmask_b32 v9, v9, v12 :: v_dual_cndmask_b32 v10, v15, v10
	s_delay_alu instid0(VALU_DEP_1) | instskip(SKIP_1) | instid1(SALU_CYCLE_1)
	v_cmp_ge_i32_e32 vcc_lo, v10, v9
	s_or_b32 s3, vcc_lo, s3
	s_and_not1_b32 exec_lo, exec_lo, s3
	s_cbranch_execnz .LBB32_2
; %bb.3:
	s_or_b32 exec_lo, exec_lo, s3
.LBB32_4:
	s_delay_alu instid0(SALU_CYCLE_1) | instskip(SKIP_3) | instid1(VALU_DEP_3)
	s_or_b32 exec_lo, exec_lo, s0
	v_add_nc_u32_e32 v7, v5, v7
	v_lshl_add_u32 v13, v10, 2, v8
	v_add_nc_u32_e32 v6, v10, v6
                                        ; implicit-def: $vgpr11
	v_sub_nc_u32_e32 v7, v7, v10
                                        ; implicit-def: $vgpr10
	s_delay_alu instid0(VALU_DEP_2) | instskip(NEXT) | instid1(VALU_DEP_2)
	v_cmp_le_i32_e32 vcc_lo, v5, v6
	v_lshl_add_u32 v12, v7, 2, v0
	v_cmp_gt_i32_e64 s1, v4, v7
	ds_load_b32 v8, v13
	ds_load_b32 v9, v12
	s_waitcnt lgkmcnt(0)
	v_cmp_lt_i32_e64 s0, v9, v8
	s_delay_alu instid0(VALU_DEP_1) | instskip(NEXT) | instid1(SALU_CYCLE_1)
	s_or_b32 s0, vcc_lo, s0
	s_and_b32 vcc_lo, s1, s0
	s_delay_alu instid0(SALU_CYCLE_1) | instskip(NEXT) | instid1(SALU_CYCLE_1)
	s_xor_b32 s0, vcc_lo, -1
	s_and_saveexec_b32 s1, s0
	s_delay_alu instid0(SALU_CYCLE_1)
	s_xor_b32 s0, exec_lo, s1
	s_cbranch_execz .LBB32_6
; %bb.5:
	ds_load_b32 v11, v13 offset:4
	v_mov_b32_e32 v10, v9
                                        ; implicit-def: $vgpr12
.LBB32_6:
	s_and_not1_saveexec_b32 s0, s0
	s_cbranch_execz .LBB32_8
; %bb.7:
	ds_load_b32 v10, v12 offset:4
	s_waitcnt lgkmcnt(1)
	v_mov_b32_e32 v11, v8
.LBB32_8:
	s_or_b32 exec_lo, exec_lo, s0
	v_add_nc_u32_e32 v12, 1, v6
	v_add_nc_u32_e32 v13, 1, v7
	s_waitcnt lgkmcnt(0)
	v_cmp_lt_i32_e64 s1, v10, v11
	s_delay_alu instid0(VALU_DEP_3) | instskip(NEXT) | instid1(VALU_DEP_3)
	v_cndmask_b32_e32 v14, v12, v6, vcc_lo
	v_cndmask_b32_e32 v6, v7, v13, vcc_lo
                                        ; implicit-def: $vgpr12
	s_delay_alu instid0(VALU_DEP_2) | instskip(NEXT) | instid1(VALU_DEP_2)
	v_cmp_ge_i32_e64 s0, v14, v5
	v_cmp_lt_i32_e64 s2, v6, v4
	s_delay_alu instid0(VALU_DEP_2)
	s_or_b32 s0, s0, s1
	s_delay_alu instid0(VALU_DEP_1) | instid1(SALU_CYCLE_1)
	s_and_b32 s0, s2, s0
	s_delay_alu instid0(SALU_CYCLE_1) | instskip(NEXT) | instid1(SALU_CYCLE_1)
	s_xor_b32 s1, s0, -1
	s_and_saveexec_b32 s2, s1
	s_delay_alu instid0(SALU_CYCLE_1)
	s_xor_b32 s1, exec_lo, s2
	s_cbranch_execz .LBB32_10
; %bb.9:
	v_lshl_add_u32 v7, v14, 2, v0
	ds_load_b32 v12, v7 offset:4
.LBB32_10:
	s_or_saveexec_b32 s1, s1
	v_mov_b32_e32 v13, v10
	s_xor_b32 exec_lo, exec_lo, s1
	s_cbranch_execz .LBB32_12
; %bb.11:
	v_lshl_add_u32 v7, v6, 2, v0
	s_waitcnt lgkmcnt(0)
	v_mov_b32_e32 v12, v11
	ds_load_b32 v13, v7 offset:4
.LBB32_12:
	s_or_b32 exec_lo, exec_lo, s1
	v_add_nc_u32_e32 v7, 1, v14
	v_add_nc_u32_e32 v15, 1, v6
	s_waitcnt lgkmcnt(0)
	v_cmp_lt_i32_e64 s2, v13, v12
	s_delay_alu instid0(VALU_DEP_3) | instskip(NEXT) | instid1(VALU_DEP_3)
	v_cndmask_b32_e64 v7, v7, v14, s0
	v_cndmask_b32_e64 v6, v6, v15, s0
                                        ; implicit-def: $vgpr14
	s_delay_alu instid0(VALU_DEP_2) | instskip(NEXT) | instid1(VALU_DEP_2)
	v_cmp_ge_i32_e64 s1, v7, v5
	v_cmp_lt_i32_e64 s3, v6, v4
	s_delay_alu instid0(VALU_DEP_2)
	s_or_b32 s1, s1, s2
	s_delay_alu instid0(VALU_DEP_1) | instid1(SALU_CYCLE_1)
	s_and_b32 s1, s3, s1
	s_delay_alu instid0(SALU_CYCLE_1) | instskip(NEXT) | instid1(SALU_CYCLE_1)
	s_xor_b32 s2, s1, -1
	s_and_saveexec_b32 s3, s2
	s_delay_alu instid0(SALU_CYCLE_1)
	s_xor_b32 s2, exec_lo, s3
	s_cbranch_execz .LBB32_14
; %bb.13:
	v_lshl_add_u32 v14, v7, 2, v0
	ds_load_b32 v14, v14 offset:4
.LBB32_14:
	s_or_saveexec_b32 s2, s2
	v_mov_b32_e32 v15, v13
	s_xor_b32 exec_lo, exec_lo, s2
	s_cbranch_execz .LBB32_16
; %bb.15:
	s_waitcnt lgkmcnt(0)
	v_lshl_add_u32 v14, v6, 2, v0
	ds_load_b32 v15, v14 offset:4
	v_mov_b32_e32 v14, v12
.LBB32_16:
	s_or_b32 exec_lo, exec_lo, s2
	v_add_nc_u32_e32 v16, 1, v7
	v_add_nc_u32_e32 v17, 1, v6
	s_waitcnt lgkmcnt(0)
	v_cmp_lt_i32_e64 s3, v15, v14
	s_delay_alu instid0(VALU_DEP_3) | instskip(NEXT) | instid1(VALU_DEP_3)
	v_cndmask_b32_e64 v7, v16, v7, s1
	v_cndmask_b32_e64 v6, v6, v17, s1
                                        ; implicit-def: $vgpr16
	s_delay_alu instid0(VALU_DEP_2) | instskip(NEXT) | instid1(VALU_DEP_2)
	v_cmp_ge_i32_e64 s2, v7, v5
	v_cmp_lt_i32_e64 s4, v6, v4
	s_delay_alu instid0(VALU_DEP_2)
	s_or_b32 s2, s2, s3
	s_delay_alu instid0(VALU_DEP_1) | instid1(SALU_CYCLE_1)
	s_and_b32 s2, s4, s2
	s_delay_alu instid0(SALU_CYCLE_1) | instskip(NEXT) | instid1(SALU_CYCLE_1)
	s_xor_b32 s3, s2, -1
	s_and_saveexec_b32 s4, s3
	s_delay_alu instid0(SALU_CYCLE_1)
	s_xor_b32 s3, exec_lo, s4
	s_cbranch_execz .LBB32_18
; %bb.17:
	v_lshl_add_u32 v16, v7, 2, v0
	ds_load_b32 v16, v16 offset:4
.LBB32_18:
	s_or_saveexec_b32 s3, s3
	v_mov_b32_e32 v17, v15
	s_xor_b32 exec_lo, exec_lo, s3
	s_cbranch_execz .LBB32_20
; %bb.19:
	s_waitcnt lgkmcnt(0)
	v_lshl_add_u32 v16, v6, 2, v0
	ds_load_b32 v17, v16 offset:4
	v_mov_b32_e32 v16, v14
.LBB32_20:
	s_or_b32 exec_lo, exec_lo, s3
	v_add_nc_u32_e32 v18, 1, v7
	v_add_nc_u32_e32 v20, 1, v6
	s_waitcnt lgkmcnt(0)
	v_cmp_lt_i32_e64 s4, v17, v16
	s_delay_alu instid0(VALU_DEP_3) | instskip(NEXT) | instid1(VALU_DEP_3)
	v_cndmask_b32_e64 v19, v18, v7, s2
	v_cndmask_b32_e64 v18, v6, v20, s2
                                        ; implicit-def: $vgpr6
	s_delay_alu instid0(VALU_DEP_2) | instskip(NEXT) | instid1(VALU_DEP_2)
	v_cmp_ge_i32_e64 s3, v19, v5
	v_cmp_lt_i32_e64 s5, v18, v4
	s_delay_alu instid0(VALU_DEP_2)
	s_or_b32 s3, s3, s4
	s_delay_alu instid0(VALU_DEP_1) | instid1(SALU_CYCLE_1)
	s_and_b32 s3, s5, s3
	s_delay_alu instid0(SALU_CYCLE_1) | instskip(NEXT) | instid1(SALU_CYCLE_1)
	s_xor_b32 s4, s3, -1
	s_and_saveexec_b32 s5, s4
	s_delay_alu instid0(SALU_CYCLE_1)
	s_xor_b32 s4, exec_lo, s5
	s_cbranch_execz .LBB32_22
; %bb.21:
	v_lshl_add_u32 v6, v19, 2, v0
	ds_load_b32 v6, v6 offset:4
.LBB32_22:
	s_or_saveexec_b32 s4, s4
	v_mov_b32_e32 v7, v17
	s_xor_b32 exec_lo, exec_lo, s4
	s_cbranch_execz .LBB32_24
; %bb.23:
	s_waitcnt lgkmcnt(0)
	v_lshl_add_u32 v6, v18, 2, v0
	ds_load_b32 v7, v6 offset:4
	v_mov_b32_e32 v6, v16
.LBB32_24:
	s_or_b32 exec_lo, exec_lo, s4
	v_add_nc_u32_e32 v20, 1, v19
	v_add_nc_u32_e32 v22, 1, v18
	s_waitcnt lgkmcnt(0)
	v_cmp_lt_i32_e64 s5, v7, v6
	s_delay_alu instid0(VALU_DEP_3) | instskip(NEXT) | instid1(VALU_DEP_3)
	v_cndmask_b32_e64 v21, v20, v19, s3
	v_cndmask_b32_e64 v18, v18, v22, s3
                                        ; implicit-def: $vgpr19
	s_delay_alu instid0(VALU_DEP_2) | instskip(NEXT) | instid1(VALU_DEP_2)
	v_cmp_ge_i32_e64 s4, v21, v5
	v_cmp_lt_i32_e64 s6, v18, v4
	s_delay_alu instid0(VALU_DEP_2)
	s_or_b32 s4, s4, s5
	s_delay_alu instid0(VALU_DEP_1) | instid1(SALU_CYCLE_1)
	s_and_b32 s4, s6, s4
	s_delay_alu instid0(SALU_CYCLE_1) | instskip(NEXT) | instid1(SALU_CYCLE_1)
	s_xor_b32 s5, s4, -1
	s_and_saveexec_b32 s6, s5
	s_delay_alu instid0(SALU_CYCLE_1)
	s_xor_b32 s5, exec_lo, s6
	s_cbranch_execz .LBB32_26
; %bb.25:
	v_lshl_add_u32 v19, v21, 2, v0
	ds_load_b32 v19, v19 offset:4
.LBB32_26:
	s_or_saveexec_b32 s5, s5
	v_mov_b32_e32 v20, v7
	s_xor_b32 exec_lo, exec_lo, s5
	s_cbranch_execz .LBB32_28
; %bb.27:
	s_waitcnt lgkmcnt(0)
	v_lshl_add_u32 v19, v18, 2, v0
	ds_load_b32 v20, v19 offset:4
	v_mov_b32_e32 v19, v6
.LBB32_28:
	s_or_b32 exec_lo, exec_lo, s5
	v_add_nc_u32_e32 v22, 1, v21
	v_add_nc_u32_e32 v23, 1, v18
	s_waitcnt lgkmcnt(0)
	v_cmp_lt_i32_e64 s6, v20, v19
	s_delay_alu instid0(VALU_DEP_3) | instskip(NEXT) | instid1(VALU_DEP_3)
	v_cndmask_b32_e64 v22, v22, v21, s4
	v_cndmask_b32_e64 v23, v18, v23, s4
                                        ; implicit-def: $vgpr21
	s_delay_alu instid0(VALU_DEP_2) | instskip(NEXT) | instid1(VALU_DEP_2)
	v_cmp_ge_i32_e64 s5, v22, v5
	v_cmp_lt_i32_e64 s7, v23, v4
	s_delay_alu instid0(VALU_DEP_2)
	s_or_b32 s5, s5, s6
	s_delay_alu instid0(VALU_DEP_1) | instid1(SALU_CYCLE_1)
	s_and_b32 s5, s7, s5
	s_delay_alu instid0(SALU_CYCLE_1) | instskip(NEXT) | instid1(SALU_CYCLE_1)
	s_xor_b32 s6, s5, -1
	s_and_saveexec_b32 s7, s6
	s_delay_alu instid0(SALU_CYCLE_1)
	s_xor_b32 s6, exec_lo, s7
	s_cbranch_execz .LBB32_30
; %bb.29:
	v_lshl_add_u32 v18, v22, 2, v0
	ds_load_b32 v21, v18 offset:4
.LBB32_30:
	s_or_saveexec_b32 s6, s6
	v_mov_b32_e32 v24, v20
	s_xor_b32 exec_lo, exec_lo, s6
	s_cbranch_execz .LBB32_32
; %bb.31:
	v_lshl_add_u32 v18, v23, 2, v0
	s_waitcnt lgkmcnt(0)
	v_mov_b32_e32 v21, v19
	ds_load_b32 v24, v18 offset:4
.LBB32_32:
	s_or_b32 exec_lo, exec_lo, s6
	v_dual_cndmask_b32 v9, v8, v9 :: v_dual_add_nc_u32 v26, 1, v22
	v_add_nc_u32_e32 v25, 1, v23
	v_cndmask_b32_e64 v19, v19, v20, s5
	v_cndmask_b32_e64 v13, v12, v13, s1
	s_delay_alu instid0(VALU_DEP_4)
	v_cndmask_b32_e64 v22, v26, v22, s5
	v_cndmask_b32_e64 v10, v11, v10, s0
	;; [unrolled: 1-line block ×3, first 2 shown]
	s_waitcnt lgkmcnt(0)
	v_cmp_lt_i32_e64 s1, v24, v21
	v_cndmask_b32_e64 v23, v6, v7, s4
	v_cmp_ge_i32_e64 s0, v22, v5
	v_cndmask_b32_e64 v14, v14, v15, s2
	v_cmp_lt_i32_e32 vcc_lo, v20, v4
	v_and_b32_e32 v12, 24, v1
	v_cndmask_b32_e64 v16, v16, v17, s3
	s_or_b32 s1, s0, s1
	s_delay_alu instid0(SALU_CYCLE_1)
	s_and_b32 vcc_lo, vcc_lo, s1
	v_dual_cndmask_b32 v11, v21, v24 :: v_dual_and_b32 v18, 0xe0, v1
	s_mov_b32 s1, 0
	; wave barrier
	ds_store_2addr_b32 v2, v9, v10 offset1:1
	ds_store_2addr_b32 v2, v13, v14 offset0:2 offset1:3
	ds_store_2addr_b32 v2, v16, v23 offset0:4 offset1:5
	;; [unrolled: 1-line block ×3, first 2 shown]
	v_or_b32_e32 v7, 16, v18
	v_add_nc_u32_e32 v6, 32, v18
	; wave barrier
	s_delay_alu instid0(VALU_DEP_2) | instskip(NEXT) | instid1(VALU_DEP_2)
	v_sub_nc_u32_e32 v8, v7, v18
	v_sub_nc_u32_e32 v15, v6, v7
	s_delay_alu instid0(VALU_DEP_2) | instskip(NEXT) | instid1(VALU_DEP_2)
	v_min_i32_e32 v8, v12, v8
	v_sub_nc_u32_e32 v5, v12, v15
	v_cmp_ge_i32_e64 s0, v12, v15
	s_delay_alu instid0(VALU_DEP_1) | instskip(SKIP_2) | instid1(VALU_DEP_2)
	v_cndmask_b32_e64 v4, 0, v5, s0
	v_lshl_add_u32 v5, v18, 2, v0
	s_mov_b32 s0, exec_lo
	v_cmpx_lt_i32_e64 v4, v8
	s_cbranch_execz .LBB32_36
; %bb.33:
	v_lshlrev_b32_e32 v9, 2, v7
	v_lshlrev_b32_e32 v10, 2, v12
	s_delay_alu instid0(VALU_DEP_1)
	v_add3_u32 v9, v0, v9, v10
	.p2align	6
.LBB32_34:                              ; =>This Inner Loop Header: Depth=1
	v_sub_nc_u32_e32 v10, v8, v4
	s_delay_alu instid0(VALU_DEP_1) | instskip(NEXT) | instid1(VALU_DEP_1)
	v_lshrrev_b32_e32 v11, 31, v10
	v_add_nc_u32_e32 v10, v10, v11
	s_delay_alu instid0(VALU_DEP_1) | instskip(NEXT) | instid1(VALU_DEP_1)
	v_ashrrev_i32_e32 v10, 1, v10
	v_add_nc_u32_e32 v10, v10, v4
	s_delay_alu instid0(VALU_DEP_1) | instskip(SKIP_2) | instid1(VALU_DEP_3)
	v_not_b32_e32 v11, v10
	v_lshl_add_u32 v13, v10, 2, v5
	v_add_nc_u32_e32 v14, 1, v10
	v_lshl_add_u32 v11, v11, 2, v9
	ds_load_b32 v13, v13
	ds_load_b32 v11, v11
	s_waitcnt lgkmcnt(0)
	v_cmp_lt_i32_e32 vcc_lo, v11, v13
	v_cndmask_b32_e32 v8, v8, v10, vcc_lo
	v_cndmask_b32_e32 v4, v14, v4, vcc_lo
	s_delay_alu instid0(VALU_DEP_1) | instskip(SKIP_1) | instid1(SALU_CYCLE_1)
	v_cmp_ge_i32_e32 vcc_lo, v4, v8
	s_or_b32 s1, vcc_lo, s1
	s_and_not1_b32 exec_lo, exec_lo, s1
	s_cbranch_execnz .LBB32_34
; %bb.35:
	s_or_b32 exec_lo, exec_lo, s1
.LBB32_36:
	s_delay_alu instid0(SALU_CYCLE_1) | instskip(SKIP_2) | instid1(VALU_DEP_2)
	s_or_b32 exec_lo, exec_lo, s0
	v_add_nc_u32_e32 v8, v7, v12
	v_lshl_add_u32 v13, v4, 2, v5
                                        ; implicit-def: $vgpr10
                                        ; implicit-def: $vgpr11
	v_sub_nc_u32_e32 v12, v8, v4
	v_add_nc_u32_e32 v4, v4, v18
	s_delay_alu instid0(VALU_DEP_2) | instskip(NEXT) | instid1(VALU_DEP_2)
	v_lshl_add_u32 v5, v12, 2, v0
	v_cmp_le_i32_e32 vcc_lo, v7, v4
	v_cmp_gt_i32_e64 s1, v6, v12
	ds_load_b32 v8, v13
	ds_load_b32 v9, v5
	s_waitcnt lgkmcnt(0)
	v_cmp_lt_i32_e64 s0, v9, v8
	s_delay_alu instid0(VALU_DEP_1) | instskip(NEXT) | instid1(SALU_CYCLE_1)
	s_or_b32 s0, vcc_lo, s0
	s_and_b32 vcc_lo, s1, s0
	s_delay_alu instid0(SALU_CYCLE_1) | instskip(NEXT) | instid1(SALU_CYCLE_1)
	s_xor_b32 s0, vcc_lo, -1
	s_and_saveexec_b32 s1, s0
	s_delay_alu instid0(SALU_CYCLE_1)
	s_xor_b32 s0, exec_lo, s1
	s_cbranch_execz .LBB32_38
; %bb.37:
	ds_load_b32 v11, v13 offset:4
	v_mov_b32_e32 v10, v9
                                        ; implicit-def: $vgpr5
.LBB32_38:
	s_and_not1_saveexec_b32 s0, s0
	s_cbranch_execz .LBB32_40
; %bb.39:
	ds_load_b32 v10, v5 offset:4
	s_waitcnt lgkmcnt(1)
	v_mov_b32_e32 v11, v8
.LBB32_40:
	s_or_b32 exec_lo, exec_lo, s0
	v_add_nc_u32_e32 v13, 1, v12
	v_add_nc_u32_e32 v5, 1, v4
	s_waitcnt lgkmcnt(0)
	v_cmp_lt_i32_e64 s1, v10, v11
	s_delay_alu instid0(VALU_DEP_2) | instskip(NEXT) | instid1(VALU_DEP_1)
	v_dual_cndmask_b32 v5, v5, v4 :: v_dual_cndmask_b32 v4, v12, v13
                                        ; implicit-def: $vgpr12
	v_cmp_ge_i32_e64 s0, v5, v7
	s_delay_alu instid0(VALU_DEP_2) | instskip(NEXT) | instid1(VALU_DEP_2)
	v_cmp_lt_i32_e64 s2, v4, v6
	s_or_b32 s0, s0, s1
	s_delay_alu instid0(VALU_DEP_1) | instid1(SALU_CYCLE_1)
	s_and_b32 s0, s2, s0
	s_delay_alu instid0(SALU_CYCLE_1) | instskip(NEXT) | instid1(SALU_CYCLE_1)
	s_xor_b32 s1, s0, -1
	s_and_saveexec_b32 s2, s1
	s_delay_alu instid0(SALU_CYCLE_1)
	s_xor_b32 s1, exec_lo, s2
	s_cbranch_execz .LBB32_42
; %bb.41:
	v_lshl_add_u32 v12, v5, 2, v0
	ds_load_b32 v12, v12 offset:4
.LBB32_42:
	s_or_saveexec_b32 s1, s1
	v_mov_b32_e32 v13, v10
	s_xor_b32 exec_lo, exec_lo, s1
	s_cbranch_execz .LBB32_44
; %bb.43:
	s_waitcnt lgkmcnt(0)
	v_lshl_add_u32 v12, v4, 2, v0
	ds_load_b32 v13, v12 offset:4
	v_mov_b32_e32 v12, v11
.LBB32_44:
	s_or_b32 exec_lo, exec_lo, s1
	v_add_nc_u32_e32 v14, 1, v5
	v_add_nc_u32_e32 v15, 1, v4
	s_waitcnt lgkmcnt(0)
	v_cmp_lt_i32_e64 s2, v13, v12
	s_delay_alu instid0(VALU_DEP_3) | instskip(NEXT) | instid1(VALU_DEP_3)
	v_cndmask_b32_e64 v5, v14, v5, s0
	v_cndmask_b32_e64 v4, v4, v15, s0
                                        ; implicit-def: $vgpr14
	s_delay_alu instid0(VALU_DEP_2) | instskip(NEXT) | instid1(VALU_DEP_2)
	v_cmp_ge_i32_e64 s1, v5, v7
	v_cmp_lt_i32_e64 s3, v4, v6
	s_delay_alu instid0(VALU_DEP_2)
	s_or_b32 s1, s1, s2
	s_delay_alu instid0(VALU_DEP_1) | instid1(SALU_CYCLE_1)
	s_and_b32 s1, s3, s1
	s_delay_alu instid0(SALU_CYCLE_1) | instskip(NEXT) | instid1(SALU_CYCLE_1)
	s_xor_b32 s2, s1, -1
	s_and_saveexec_b32 s3, s2
	s_delay_alu instid0(SALU_CYCLE_1)
	s_xor_b32 s2, exec_lo, s3
	s_cbranch_execz .LBB32_46
; %bb.45:
	v_lshl_add_u32 v14, v5, 2, v0
	ds_load_b32 v14, v14 offset:4
.LBB32_46:
	s_or_saveexec_b32 s2, s2
	v_mov_b32_e32 v15, v13
	s_xor_b32 exec_lo, exec_lo, s2
	s_cbranch_execz .LBB32_48
; %bb.47:
	s_waitcnt lgkmcnt(0)
	v_lshl_add_u32 v14, v4, 2, v0
	ds_load_b32 v15, v14 offset:4
	v_mov_b32_e32 v14, v12
.LBB32_48:
	s_or_b32 exec_lo, exec_lo, s2
	v_add_nc_u32_e32 v16, 1, v5
	v_add_nc_u32_e32 v17, 1, v4
	s_waitcnt lgkmcnt(0)
	v_cmp_lt_i32_e64 s3, v15, v14
	s_delay_alu instid0(VALU_DEP_3) | instskip(NEXT) | instid1(VALU_DEP_3)
	v_cndmask_b32_e64 v5, v16, v5, s1
	v_cndmask_b32_e64 v4, v4, v17, s1
                                        ; implicit-def: $vgpr16
	s_delay_alu instid0(VALU_DEP_2) | instskip(NEXT) | instid1(VALU_DEP_2)
	v_cmp_ge_i32_e64 s2, v5, v7
	v_cmp_lt_i32_e64 s4, v4, v6
	s_delay_alu instid0(VALU_DEP_2)
	s_or_b32 s2, s2, s3
	s_delay_alu instid0(VALU_DEP_1) | instid1(SALU_CYCLE_1)
	s_and_b32 s2, s4, s2
	s_delay_alu instid0(SALU_CYCLE_1) | instskip(NEXT) | instid1(SALU_CYCLE_1)
	s_xor_b32 s3, s2, -1
	s_and_saveexec_b32 s4, s3
	s_delay_alu instid0(SALU_CYCLE_1)
	s_xor_b32 s3, exec_lo, s4
	s_cbranch_execz .LBB32_50
; %bb.49:
	v_lshl_add_u32 v16, v5, 2, v0
	ds_load_b32 v16, v16 offset:4
.LBB32_50:
	s_or_saveexec_b32 s3, s3
	v_mov_b32_e32 v17, v15
	s_xor_b32 exec_lo, exec_lo, s3
	s_cbranch_execz .LBB32_52
; %bb.51:
	s_waitcnt lgkmcnt(0)
	v_lshl_add_u32 v16, v4, 2, v0
	ds_load_b32 v17, v16 offset:4
	v_mov_b32_e32 v16, v14
.LBB32_52:
	s_or_b32 exec_lo, exec_lo, s3
	v_add_nc_u32_e32 v18, 1, v5
	v_add_nc_u32_e32 v20, 1, v4
	s_waitcnt lgkmcnt(0)
	v_cmp_lt_i32_e64 s4, v17, v16
	s_delay_alu instid0(VALU_DEP_3) | instskip(NEXT) | instid1(VALU_DEP_3)
	v_cndmask_b32_e64 v19, v18, v5, s2
	v_cndmask_b32_e64 v18, v4, v20, s2
                                        ; implicit-def: $vgpr4
	s_delay_alu instid0(VALU_DEP_2) | instskip(NEXT) | instid1(VALU_DEP_2)
	v_cmp_ge_i32_e64 s3, v19, v7
	v_cmp_lt_i32_e64 s5, v18, v6
	s_delay_alu instid0(VALU_DEP_2)
	s_or_b32 s3, s3, s4
	s_delay_alu instid0(VALU_DEP_1) | instid1(SALU_CYCLE_1)
	s_and_b32 s3, s5, s3
	s_delay_alu instid0(SALU_CYCLE_1) | instskip(NEXT) | instid1(SALU_CYCLE_1)
	s_xor_b32 s4, s3, -1
	s_and_saveexec_b32 s5, s4
	s_delay_alu instid0(SALU_CYCLE_1)
	s_xor_b32 s4, exec_lo, s5
	s_cbranch_execz .LBB32_54
; %bb.53:
	v_lshl_add_u32 v4, v19, 2, v0
	ds_load_b32 v4, v4 offset:4
.LBB32_54:
	s_or_saveexec_b32 s4, s4
	v_mov_b32_e32 v5, v17
	s_xor_b32 exec_lo, exec_lo, s4
	s_cbranch_execz .LBB32_56
; %bb.55:
	s_waitcnt lgkmcnt(0)
	v_lshl_add_u32 v4, v18, 2, v0
	ds_load_b32 v5, v4 offset:4
	v_mov_b32_e32 v4, v16
.LBB32_56:
	s_or_b32 exec_lo, exec_lo, s4
	v_add_nc_u32_e32 v20, 1, v19
	v_add_nc_u32_e32 v22, 1, v18
	s_waitcnt lgkmcnt(0)
	v_cmp_lt_i32_e64 s5, v5, v4
	s_delay_alu instid0(VALU_DEP_3) | instskip(NEXT) | instid1(VALU_DEP_3)
	v_cndmask_b32_e64 v21, v20, v19, s3
	v_cndmask_b32_e64 v18, v18, v22, s3
                                        ; implicit-def: $vgpr19
	s_delay_alu instid0(VALU_DEP_2) | instskip(NEXT) | instid1(VALU_DEP_2)
	v_cmp_ge_i32_e64 s4, v21, v7
	v_cmp_lt_i32_e64 s6, v18, v6
	s_delay_alu instid0(VALU_DEP_2)
	s_or_b32 s4, s4, s5
	s_delay_alu instid0(VALU_DEP_1) | instid1(SALU_CYCLE_1)
	s_and_b32 s4, s6, s4
	s_delay_alu instid0(SALU_CYCLE_1) | instskip(NEXT) | instid1(SALU_CYCLE_1)
	s_xor_b32 s5, s4, -1
	s_and_saveexec_b32 s6, s5
	s_delay_alu instid0(SALU_CYCLE_1)
	s_xor_b32 s5, exec_lo, s6
	s_cbranch_execz .LBB32_58
; %bb.57:
	v_lshl_add_u32 v19, v21, 2, v0
	ds_load_b32 v19, v19 offset:4
.LBB32_58:
	s_or_saveexec_b32 s5, s5
	v_mov_b32_e32 v20, v5
	s_xor_b32 exec_lo, exec_lo, s5
	s_cbranch_execz .LBB32_60
; %bb.59:
	s_waitcnt lgkmcnt(0)
	v_lshl_add_u32 v19, v18, 2, v0
	ds_load_b32 v20, v19 offset:4
	v_mov_b32_e32 v19, v4
.LBB32_60:
	s_or_b32 exec_lo, exec_lo, s5
	v_add_nc_u32_e32 v22, 1, v21
	v_add_nc_u32_e32 v23, 1, v18
	s_waitcnt lgkmcnt(0)
	v_cmp_lt_i32_e64 s6, v20, v19
	s_delay_alu instid0(VALU_DEP_3) | instskip(NEXT) | instid1(VALU_DEP_3)
	v_cndmask_b32_e64 v22, v22, v21, s4
	v_cndmask_b32_e64 v23, v18, v23, s4
                                        ; implicit-def: $vgpr21
	s_delay_alu instid0(VALU_DEP_2) | instskip(NEXT) | instid1(VALU_DEP_2)
	v_cmp_ge_i32_e64 s5, v22, v7
	v_cmp_lt_i32_e64 s7, v23, v6
	s_delay_alu instid0(VALU_DEP_2)
	s_or_b32 s5, s5, s6
	s_delay_alu instid0(VALU_DEP_1) | instid1(SALU_CYCLE_1)
	s_and_b32 s5, s7, s5
	s_delay_alu instid0(SALU_CYCLE_1) | instskip(NEXT) | instid1(SALU_CYCLE_1)
	s_xor_b32 s6, s5, -1
	s_and_saveexec_b32 s7, s6
	s_delay_alu instid0(SALU_CYCLE_1)
	s_xor_b32 s6, exec_lo, s7
	s_cbranch_execz .LBB32_62
; %bb.61:
	v_lshl_add_u32 v18, v22, 2, v0
	ds_load_b32 v21, v18 offset:4
.LBB32_62:
	s_or_saveexec_b32 s6, s6
	v_mov_b32_e32 v24, v20
	s_xor_b32 exec_lo, exec_lo, s6
	s_cbranch_execz .LBB32_64
; %bb.63:
	v_lshl_add_u32 v18, v23, 2, v0
	s_waitcnt lgkmcnt(0)
	v_mov_b32_e32 v21, v19
	ds_load_b32 v24, v18 offset:4
.LBB32_64:
	s_or_b32 exec_lo, exec_lo, s6
	v_dual_cndmask_b32 v9, v8, v9 :: v_dual_add_nc_u32 v26, 1, v22
	v_add_nc_u32_e32 v25, 1, v23
	v_cndmask_b32_e64 v19, v19, v20, s5
	v_cndmask_b32_e64 v13, v12, v13, s1
	s_delay_alu instid0(VALU_DEP_4)
	v_cndmask_b32_e64 v22, v26, v22, s5
	v_cndmask_b32_e64 v10, v11, v10, s0
	v_cndmask_b32_e64 v20, v23, v25, s5
	s_waitcnt lgkmcnt(0)
	v_cmp_lt_i32_e64 s1, v24, v21
	v_cndmask_b32_e64 v23, v4, v5, s4
	v_cmp_ge_i32_e64 s0, v22, v7
	v_cndmask_b32_e64 v14, v14, v15, s2
	v_cmp_lt_i32_e32 vcc_lo, v20, v6
	v_and_b32_e32 v12, 56, v1
	v_cndmask_b32_e64 v16, v16, v17, s3
	s_or_b32 s1, s0, s1
	s_delay_alu instid0(SALU_CYCLE_1)
	s_and_b32 vcc_lo, vcc_lo, s1
	v_dual_cndmask_b32 v11, v21, v24 :: v_dual_and_b32 v18, 0xc0, v1
	s_mov_b32 s1, 0
	; wave barrier
	ds_store_2addr_b32 v2, v9, v10 offset1:1
	ds_store_2addr_b32 v2, v13, v14 offset0:2 offset1:3
	ds_store_2addr_b32 v2, v16, v23 offset0:4 offset1:5
	;; [unrolled: 1-line block ×3, first 2 shown]
	v_or_b32_e32 v5, 32, v18
	v_add_nc_u32_e32 v4, 64, v18
	; wave barrier
	s_delay_alu instid0(VALU_DEP_2) | instskip(NEXT) | instid1(VALU_DEP_2)
	v_sub_nc_u32_e32 v8, v5, v18
	v_sub_nc_u32_e32 v15, v4, v5
	s_delay_alu instid0(VALU_DEP_2) | instskip(NEXT) | instid1(VALU_DEP_2)
	v_min_i32_e32 v8, v12, v8
	v_sub_nc_u32_e32 v7, v12, v15
	v_cmp_ge_i32_e64 s0, v12, v15
	s_delay_alu instid0(VALU_DEP_1) | instskip(SKIP_2) | instid1(VALU_DEP_2)
	v_cndmask_b32_e64 v6, 0, v7, s0
	v_lshl_add_u32 v7, v18, 2, v0
	s_mov_b32 s0, exec_lo
	v_cmpx_lt_i32_e64 v6, v8
	s_cbranch_execz .LBB32_68
; %bb.65:
	v_lshlrev_b32_e32 v9, 2, v5
	v_lshlrev_b32_e32 v10, 2, v12
	s_delay_alu instid0(VALU_DEP_1)
	v_add3_u32 v9, v0, v9, v10
	.p2align	6
.LBB32_66:                              ; =>This Inner Loop Header: Depth=1
	v_sub_nc_u32_e32 v10, v8, v6
	s_delay_alu instid0(VALU_DEP_1) | instskip(NEXT) | instid1(VALU_DEP_1)
	v_lshrrev_b32_e32 v11, 31, v10
	v_add_nc_u32_e32 v10, v10, v11
	s_delay_alu instid0(VALU_DEP_1) | instskip(NEXT) | instid1(VALU_DEP_1)
	v_ashrrev_i32_e32 v10, 1, v10
	v_add_nc_u32_e32 v10, v10, v6
	s_delay_alu instid0(VALU_DEP_1) | instskip(SKIP_2) | instid1(VALU_DEP_3)
	v_not_b32_e32 v11, v10
	v_lshl_add_u32 v13, v10, 2, v7
	v_add_nc_u32_e32 v14, 1, v10
	v_lshl_add_u32 v11, v11, 2, v9
	ds_load_b32 v13, v13
	ds_load_b32 v11, v11
	s_waitcnt lgkmcnt(0)
	v_cmp_lt_i32_e32 vcc_lo, v11, v13
	v_cndmask_b32_e32 v8, v8, v10, vcc_lo
	v_cndmask_b32_e32 v6, v14, v6, vcc_lo
	s_delay_alu instid0(VALU_DEP_1) | instskip(SKIP_1) | instid1(SALU_CYCLE_1)
	v_cmp_ge_i32_e32 vcc_lo, v6, v8
	s_or_b32 s1, vcc_lo, s1
	s_and_not1_b32 exec_lo, exec_lo, s1
	s_cbranch_execnz .LBB32_66
; %bb.67:
	s_or_b32 exec_lo, exec_lo, s1
.LBB32_68:
	s_delay_alu instid0(SALU_CYCLE_1) | instskip(SKIP_2) | instid1(VALU_DEP_2)
	s_or_b32 exec_lo, exec_lo, s0
	v_add_nc_u32_e32 v8, v5, v12
	v_lshl_add_u32 v13, v6, 2, v7
                                        ; implicit-def: $vgpr10
                                        ; implicit-def: $vgpr11
	v_sub_nc_u32_e32 v12, v8, v6
	v_add_nc_u32_e32 v6, v6, v18
	s_delay_alu instid0(VALU_DEP_2) | instskip(NEXT) | instid1(VALU_DEP_2)
	v_lshl_add_u32 v7, v12, 2, v0
	v_cmp_le_i32_e32 vcc_lo, v5, v6
	v_cmp_gt_i32_e64 s1, v4, v12
	ds_load_b32 v8, v13
	ds_load_b32 v9, v7
	s_waitcnt lgkmcnt(0)
	v_cmp_lt_i32_e64 s0, v9, v8
	s_delay_alu instid0(VALU_DEP_1) | instskip(NEXT) | instid1(SALU_CYCLE_1)
	s_or_b32 s0, vcc_lo, s0
	s_and_b32 vcc_lo, s1, s0
	s_delay_alu instid0(SALU_CYCLE_1) | instskip(NEXT) | instid1(SALU_CYCLE_1)
	s_xor_b32 s0, vcc_lo, -1
	s_and_saveexec_b32 s1, s0
	s_delay_alu instid0(SALU_CYCLE_1)
	s_xor_b32 s0, exec_lo, s1
	s_cbranch_execz .LBB32_70
; %bb.69:
	ds_load_b32 v11, v13 offset:4
	v_mov_b32_e32 v10, v9
                                        ; implicit-def: $vgpr7
.LBB32_70:
	s_and_not1_saveexec_b32 s0, s0
	s_cbranch_execz .LBB32_72
; %bb.71:
	ds_load_b32 v10, v7 offset:4
	s_waitcnt lgkmcnt(1)
	v_mov_b32_e32 v11, v8
.LBB32_72:
	s_or_b32 exec_lo, exec_lo, s0
	v_add_nc_u32_e32 v13, 1, v12
	v_add_nc_u32_e32 v7, 1, v6
	s_waitcnt lgkmcnt(0)
	v_cmp_lt_i32_e64 s1, v10, v11
	s_delay_alu instid0(VALU_DEP_2) | instskip(NEXT) | instid1(VALU_DEP_1)
	v_dual_cndmask_b32 v7, v7, v6 :: v_dual_cndmask_b32 v6, v12, v13
                                        ; implicit-def: $vgpr12
	v_cmp_ge_i32_e64 s0, v7, v5
	s_delay_alu instid0(VALU_DEP_2) | instskip(NEXT) | instid1(VALU_DEP_2)
	v_cmp_lt_i32_e64 s2, v6, v4
	s_or_b32 s0, s0, s1
	s_delay_alu instid0(VALU_DEP_1) | instid1(SALU_CYCLE_1)
	s_and_b32 s0, s2, s0
	s_delay_alu instid0(SALU_CYCLE_1) | instskip(NEXT) | instid1(SALU_CYCLE_1)
	s_xor_b32 s1, s0, -1
	s_and_saveexec_b32 s2, s1
	s_delay_alu instid0(SALU_CYCLE_1)
	s_xor_b32 s1, exec_lo, s2
	s_cbranch_execz .LBB32_74
; %bb.73:
	v_lshl_add_u32 v12, v7, 2, v0
	ds_load_b32 v12, v12 offset:4
.LBB32_74:
	s_or_saveexec_b32 s1, s1
	v_mov_b32_e32 v13, v10
	s_xor_b32 exec_lo, exec_lo, s1
	s_cbranch_execz .LBB32_76
; %bb.75:
	s_waitcnt lgkmcnt(0)
	v_lshl_add_u32 v12, v6, 2, v0
	ds_load_b32 v13, v12 offset:4
	v_mov_b32_e32 v12, v11
.LBB32_76:
	s_or_b32 exec_lo, exec_lo, s1
	v_add_nc_u32_e32 v14, 1, v7
	v_add_nc_u32_e32 v15, 1, v6
	s_waitcnt lgkmcnt(0)
	v_cmp_lt_i32_e64 s2, v13, v12
	s_delay_alu instid0(VALU_DEP_3) | instskip(NEXT) | instid1(VALU_DEP_3)
	v_cndmask_b32_e64 v7, v14, v7, s0
	v_cndmask_b32_e64 v6, v6, v15, s0
                                        ; implicit-def: $vgpr14
	s_delay_alu instid0(VALU_DEP_2) | instskip(NEXT) | instid1(VALU_DEP_2)
	v_cmp_ge_i32_e64 s1, v7, v5
	v_cmp_lt_i32_e64 s3, v6, v4
	s_delay_alu instid0(VALU_DEP_2)
	s_or_b32 s1, s1, s2
	s_delay_alu instid0(VALU_DEP_1) | instid1(SALU_CYCLE_1)
	s_and_b32 s1, s3, s1
	s_delay_alu instid0(SALU_CYCLE_1) | instskip(NEXT) | instid1(SALU_CYCLE_1)
	s_xor_b32 s2, s1, -1
	s_and_saveexec_b32 s3, s2
	s_delay_alu instid0(SALU_CYCLE_1)
	s_xor_b32 s2, exec_lo, s3
	s_cbranch_execz .LBB32_78
; %bb.77:
	v_lshl_add_u32 v14, v7, 2, v0
	ds_load_b32 v14, v14 offset:4
.LBB32_78:
	s_or_saveexec_b32 s2, s2
	v_mov_b32_e32 v15, v13
	s_xor_b32 exec_lo, exec_lo, s2
	s_cbranch_execz .LBB32_80
; %bb.79:
	s_waitcnt lgkmcnt(0)
	v_lshl_add_u32 v14, v6, 2, v0
	ds_load_b32 v15, v14 offset:4
	v_mov_b32_e32 v14, v12
.LBB32_80:
	s_or_b32 exec_lo, exec_lo, s2
	v_add_nc_u32_e32 v16, 1, v7
	v_add_nc_u32_e32 v17, 1, v6
	s_waitcnt lgkmcnt(0)
	v_cmp_lt_i32_e64 s3, v15, v14
	s_delay_alu instid0(VALU_DEP_3) | instskip(NEXT) | instid1(VALU_DEP_3)
	v_cndmask_b32_e64 v7, v16, v7, s1
	v_cndmask_b32_e64 v6, v6, v17, s1
                                        ; implicit-def: $vgpr16
	s_delay_alu instid0(VALU_DEP_2) | instskip(NEXT) | instid1(VALU_DEP_2)
	v_cmp_ge_i32_e64 s2, v7, v5
	v_cmp_lt_i32_e64 s4, v6, v4
	s_delay_alu instid0(VALU_DEP_2)
	s_or_b32 s2, s2, s3
	s_delay_alu instid0(VALU_DEP_1) | instid1(SALU_CYCLE_1)
	s_and_b32 s2, s4, s2
	s_delay_alu instid0(SALU_CYCLE_1) | instskip(NEXT) | instid1(SALU_CYCLE_1)
	s_xor_b32 s3, s2, -1
	s_and_saveexec_b32 s4, s3
	s_delay_alu instid0(SALU_CYCLE_1)
	s_xor_b32 s3, exec_lo, s4
	s_cbranch_execz .LBB32_82
; %bb.81:
	v_lshl_add_u32 v16, v7, 2, v0
	ds_load_b32 v16, v16 offset:4
.LBB32_82:
	s_or_saveexec_b32 s3, s3
	v_mov_b32_e32 v17, v15
	s_xor_b32 exec_lo, exec_lo, s3
	s_cbranch_execz .LBB32_84
; %bb.83:
	s_waitcnt lgkmcnt(0)
	v_lshl_add_u32 v16, v6, 2, v0
	ds_load_b32 v17, v16 offset:4
	v_mov_b32_e32 v16, v14
.LBB32_84:
	s_or_b32 exec_lo, exec_lo, s3
	v_add_nc_u32_e32 v18, 1, v7
	v_add_nc_u32_e32 v20, 1, v6
	s_waitcnt lgkmcnt(0)
	v_cmp_lt_i32_e64 s4, v17, v16
	s_delay_alu instid0(VALU_DEP_3) | instskip(NEXT) | instid1(VALU_DEP_3)
	v_cndmask_b32_e64 v19, v18, v7, s2
	v_cndmask_b32_e64 v18, v6, v20, s2
                                        ; implicit-def: $vgpr6
	s_delay_alu instid0(VALU_DEP_2) | instskip(NEXT) | instid1(VALU_DEP_2)
	v_cmp_ge_i32_e64 s3, v19, v5
	v_cmp_lt_i32_e64 s5, v18, v4
	s_delay_alu instid0(VALU_DEP_2)
	s_or_b32 s3, s3, s4
	s_delay_alu instid0(VALU_DEP_1) | instid1(SALU_CYCLE_1)
	s_and_b32 s3, s5, s3
	s_delay_alu instid0(SALU_CYCLE_1) | instskip(NEXT) | instid1(SALU_CYCLE_1)
	s_xor_b32 s4, s3, -1
	s_and_saveexec_b32 s5, s4
	s_delay_alu instid0(SALU_CYCLE_1)
	s_xor_b32 s4, exec_lo, s5
	s_cbranch_execz .LBB32_86
; %bb.85:
	v_lshl_add_u32 v6, v19, 2, v0
	ds_load_b32 v6, v6 offset:4
.LBB32_86:
	s_or_saveexec_b32 s4, s4
	v_mov_b32_e32 v7, v17
	s_xor_b32 exec_lo, exec_lo, s4
	s_cbranch_execz .LBB32_88
; %bb.87:
	s_waitcnt lgkmcnt(0)
	v_lshl_add_u32 v6, v18, 2, v0
	ds_load_b32 v7, v6 offset:4
	v_mov_b32_e32 v6, v16
.LBB32_88:
	s_or_b32 exec_lo, exec_lo, s4
	v_add_nc_u32_e32 v20, 1, v19
	v_add_nc_u32_e32 v22, 1, v18
	s_waitcnt lgkmcnt(0)
	v_cmp_lt_i32_e64 s5, v7, v6
	s_delay_alu instid0(VALU_DEP_3) | instskip(NEXT) | instid1(VALU_DEP_3)
	v_cndmask_b32_e64 v21, v20, v19, s3
	v_cndmask_b32_e64 v18, v18, v22, s3
                                        ; implicit-def: $vgpr19
	s_delay_alu instid0(VALU_DEP_2) | instskip(NEXT) | instid1(VALU_DEP_2)
	v_cmp_ge_i32_e64 s4, v21, v5
	v_cmp_lt_i32_e64 s6, v18, v4
	s_delay_alu instid0(VALU_DEP_2)
	s_or_b32 s4, s4, s5
	s_delay_alu instid0(VALU_DEP_1) | instid1(SALU_CYCLE_1)
	s_and_b32 s4, s6, s4
	s_delay_alu instid0(SALU_CYCLE_1) | instskip(NEXT) | instid1(SALU_CYCLE_1)
	s_xor_b32 s5, s4, -1
	s_and_saveexec_b32 s6, s5
	s_delay_alu instid0(SALU_CYCLE_1)
	s_xor_b32 s5, exec_lo, s6
	s_cbranch_execz .LBB32_90
; %bb.89:
	v_lshl_add_u32 v19, v21, 2, v0
	ds_load_b32 v19, v19 offset:4
.LBB32_90:
	s_or_saveexec_b32 s5, s5
	v_mov_b32_e32 v20, v7
	s_xor_b32 exec_lo, exec_lo, s5
	s_cbranch_execz .LBB32_92
; %bb.91:
	s_waitcnt lgkmcnt(0)
	v_lshl_add_u32 v19, v18, 2, v0
	ds_load_b32 v20, v19 offset:4
	v_mov_b32_e32 v19, v6
.LBB32_92:
	s_or_b32 exec_lo, exec_lo, s5
	v_add_nc_u32_e32 v22, 1, v21
	v_add_nc_u32_e32 v23, 1, v18
	s_waitcnt lgkmcnt(0)
	v_cmp_lt_i32_e64 s6, v20, v19
	s_delay_alu instid0(VALU_DEP_3) | instskip(NEXT) | instid1(VALU_DEP_3)
	v_cndmask_b32_e64 v22, v22, v21, s4
	v_cndmask_b32_e64 v23, v18, v23, s4
                                        ; implicit-def: $vgpr21
	s_delay_alu instid0(VALU_DEP_2) | instskip(NEXT) | instid1(VALU_DEP_2)
	v_cmp_ge_i32_e64 s5, v22, v5
	v_cmp_lt_i32_e64 s7, v23, v4
	s_delay_alu instid0(VALU_DEP_2)
	s_or_b32 s5, s5, s6
	s_delay_alu instid0(VALU_DEP_1) | instid1(SALU_CYCLE_1)
	s_and_b32 s5, s7, s5
	s_delay_alu instid0(SALU_CYCLE_1) | instskip(NEXT) | instid1(SALU_CYCLE_1)
	s_xor_b32 s6, s5, -1
	s_and_saveexec_b32 s7, s6
	s_delay_alu instid0(SALU_CYCLE_1)
	s_xor_b32 s6, exec_lo, s7
	s_cbranch_execz .LBB32_94
; %bb.93:
	v_lshl_add_u32 v18, v22, 2, v0
	ds_load_b32 v21, v18 offset:4
.LBB32_94:
	s_or_saveexec_b32 s6, s6
	v_mov_b32_e32 v24, v20
	s_xor_b32 exec_lo, exec_lo, s6
	s_cbranch_execz .LBB32_96
; %bb.95:
	v_lshl_add_u32 v18, v23, 2, v0
	s_waitcnt lgkmcnt(0)
	v_mov_b32_e32 v21, v19
	ds_load_b32 v24, v18 offset:4
.LBB32_96:
	s_or_b32 exec_lo, exec_lo, s6
	v_dual_cndmask_b32 v9, v8, v9 :: v_dual_add_nc_u32 v26, 1, v22
	v_add_nc_u32_e32 v25, 1, v23
	v_cndmask_b32_e64 v19, v19, v20, s5
	v_cndmask_b32_e64 v13, v12, v13, s1
	s_delay_alu instid0(VALU_DEP_4)
	v_cndmask_b32_e64 v22, v26, v22, s5
	v_cndmask_b32_e64 v10, v11, v10, s0
	;; [unrolled: 1-line block ×3, first 2 shown]
	s_waitcnt lgkmcnt(0)
	v_cmp_lt_i32_e64 s1, v24, v21
	v_cndmask_b32_e64 v23, v6, v7, s4
	v_cmp_ge_i32_e64 s0, v22, v5
	v_cndmask_b32_e64 v14, v14, v15, s2
	v_cmp_lt_i32_e32 vcc_lo, v20, v4
	v_and_b32_e32 v12, 0x78, v1
	v_cndmask_b32_e64 v16, v16, v17, s3
	s_or_b32 s1, s0, s1
	s_delay_alu instid0(SALU_CYCLE_1) | instskip(SKIP_2) | instid1(VALU_DEP_1)
	s_and_b32 vcc_lo, vcc_lo, s1
	v_and_b32_e32 v18, 0x80, v1
	s_mov_b32 s1, 0
	; wave barrier
	v_or_b32_e32 v7, 64, v18
	v_add_nc_u32_e32 v6, 0x80, v18
	s_delay_alu instid0(VALU_DEP_2) | instskip(NEXT) | instid1(VALU_DEP_2)
	v_sub_nc_u32_e32 v11, v7, v18
	v_sub_nc_u32_e32 v15, v6, v7
	s_delay_alu instid0(VALU_DEP_1) | instskip(SKIP_1) | instid1(VALU_DEP_1)
	v_sub_nc_u32_e32 v5, v12, v15
	v_cmp_ge_i32_e64 s0, v12, v15
	v_cndmask_b32_e64 v8, 0, v5, s0
	v_min_i32_e32 v5, v12, v11
	v_cndmask_b32_e32 v11, v21, v24, vcc_lo
	v_lshl_add_u32 v4, v18, 2, v0
	s_mov_b32 s0, exec_lo
	ds_store_2addr_b32 v2, v9, v10 offset1:1
	ds_store_2addr_b32 v2, v13, v14 offset0:2 offset1:3
	ds_store_2addr_b32 v2, v16, v23 offset0:4 offset1:5
	ds_store_2addr_b32 v2, v19, v11 offset0:6 offset1:7
	; wave barrier
	v_cmpx_lt_i32_e64 v8, v5
	s_cbranch_execz .LBB32_100
; %bb.97:
	v_lshlrev_b32_e32 v9, 2, v7
	v_lshlrev_b32_e32 v10, 2, v12
	s_delay_alu instid0(VALU_DEP_1)
	v_add3_u32 v9, v0, v9, v10
	.p2align	6
.LBB32_98:                              ; =>This Inner Loop Header: Depth=1
	v_sub_nc_u32_e32 v10, v5, v8
	s_delay_alu instid0(VALU_DEP_1) | instskip(NEXT) | instid1(VALU_DEP_1)
	v_lshrrev_b32_e32 v11, 31, v10
	v_add_nc_u32_e32 v10, v10, v11
	s_delay_alu instid0(VALU_DEP_1) | instskip(NEXT) | instid1(VALU_DEP_1)
	v_ashrrev_i32_e32 v10, 1, v10
	v_add_nc_u32_e32 v10, v10, v8
	s_delay_alu instid0(VALU_DEP_1) | instskip(SKIP_2) | instid1(VALU_DEP_3)
	v_not_b32_e32 v11, v10
	v_lshl_add_u32 v13, v10, 2, v4
	v_add_nc_u32_e32 v14, 1, v10
	v_lshl_add_u32 v11, v11, 2, v9
	ds_load_b32 v13, v13
	ds_load_b32 v11, v11
	s_waitcnt lgkmcnt(0)
	v_cmp_lt_i32_e32 vcc_lo, v11, v13
	v_dual_cndmask_b32 v5, v5, v10 :: v_dual_cndmask_b32 v8, v14, v8
	s_delay_alu instid0(VALU_DEP_1) | instskip(SKIP_1) | instid1(SALU_CYCLE_1)
	v_cmp_ge_i32_e32 vcc_lo, v8, v5
	s_or_b32 s1, vcc_lo, s1
	s_and_not1_b32 exec_lo, exec_lo, s1
	s_cbranch_execnz .LBB32_98
; %bb.99:
	s_or_b32 exec_lo, exec_lo, s1
.LBB32_100:
	s_delay_alu instid0(SALU_CYCLE_1) | instskip(SKIP_3) | instid1(VALU_DEP_3)
	s_or_b32 exec_lo, exec_lo, s0
	v_add_nc_u32_e32 v5, v7, v12
	v_lshl_add_u32 v13, v8, 2, v4
	v_add_nc_u32_e32 v11, v8, v18
                                        ; implicit-def: $vgpr9
	v_sub_nc_u32_e32 v10, v5, v8
                                        ; implicit-def: $vgpr8
	s_delay_alu instid0(VALU_DEP_2) | instskip(NEXT) | instid1(VALU_DEP_2)
	v_cmp_le_i32_e32 vcc_lo, v7, v11
	v_lshl_add_u32 v12, v10, 2, v0
	v_cmp_gt_i32_e64 s1, v6, v10
	ds_load_b32 v4, v13
	ds_load_b32 v5, v12
	s_waitcnt lgkmcnt(0)
	v_cmp_lt_i32_e64 s0, v5, v4
	s_delay_alu instid0(VALU_DEP_1) | instskip(NEXT) | instid1(SALU_CYCLE_1)
	s_or_b32 s0, vcc_lo, s0
	s_and_b32 vcc_lo, s1, s0
	s_delay_alu instid0(SALU_CYCLE_1) | instskip(NEXT) | instid1(SALU_CYCLE_1)
	s_xor_b32 s0, vcc_lo, -1
	s_and_saveexec_b32 s1, s0
	s_delay_alu instid0(SALU_CYCLE_1)
	s_xor_b32 s0, exec_lo, s1
	s_cbranch_execz .LBB32_102
; %bb.101:
	ds_load_b32 v9, v13 offset:4
	v_mov_b32_e32 v8, v5
                                        ; implicit-def: $vgpr12
.LBB32_102:
	s_and_not1_saveexec_b32 s0, s0
	s_cbranch_execz .LBB32_104
; %bb.103:
	ds_load_b32 v8, v12 offset:4
	s_waitcnt lgkmcnt(1)
	v_mov_b32_e32 v9, v4
.LBB32_104:
	s_or_b32 exec_lo, exec_lo, s0
	v_add_nc_u32_e32 v12, 1, v11
	v_add_nc_u32_e32 v14, 1, v10
	s_waitcnt lgkmcnt(0)
	v_cmp_lt_i32_e64 s1, v8, v9
	s_delay_alu instid0(VALU_DEP_2) | instskip(NEXT) | instid1(VALU_DEP_1)
	v_dual_cndmask_b32 v13, v12, v11 :: v_dual_cndmask_b32 v12, v10, v14
                                        ; implicit-def: $vgpr10
	v_cmp_ge_i32_e64 s0, v13, v7
	s_delay_alu instid0(VALU_DEP_2) | instskip(NEXT) | instid1(VALU_DEP_2)
	v_cmp_lt_i32_e64 s2, v12, v6
	s_or_b32 s0, s0, s1
	s_delay_alu instid0(VALU_DEP_1) | instid1(SALU_CYCLE_1)
	s_and_b32 s0, s2, s0
	s_delay_alu instid0(SALU_CYCLE_1) | instskip(NEXT) | instid1(SALU_CYCLE_1)
	s_xor_b32 s1, s0, -1
	s_and_saveexec_b32 s2, s1
	s_delay_alu instid0(SALU_CYCLE_1)
	s_xor_b32 s1, exec_lo, s2
	s_cbranch_execz .LBB32_106
; %bb.105:
	v_lshl_add_u32 v10, v13, 2, v0
	ds_load_b32 v10, v10 offset:4
.LBB32_106:
	s_or_saveexec_b32 s1, s1
	v_mov_b32_e32 v11, v8
	s_xor_b32 exec_lo, exec_lo, s1
	s_cbranch_execz .LBB32_108
; %bb.107:
	s_waitcnt lgkmcnt(0)
	v_lshl_add_u32 v10, v12, 2, v0
	ds_load_b32 v11, v10 offset:4
	v_mov_b32_e32 v10, v9
.LBB32_108:
	s_or_b32 exec_lo, exec_lo, s1
	v_add_nc_u32_e32 v14, 1, v13
	v_add_nc_u32_e32 v16, 1, v12
	s_waitcnt lgkmcnt(0)
	v_cmp_lt_i32_e64 s2, v11, v10
	s_delay_alu instid0(VALU_DEP_3) | instskip(NEXT) | instid1(VALU_DEP_3)
	v_cndmask_b32_e64 v15, v14, v13, s0
	v_cndmask_b32_e64 v14, v12, v16, s0
                                        ; implicit-def: $vgpr12
	s_delay_alu instid0(VALU_DEP_2) | instskip(NEXT) | instid1(VALU_DEP_2)
	v_cmp_ge_i32_e64 s1, v15, v7
	v_cmp_lt_i32_e64 s3, v14, v6
	s_delay_alu instid0(VALU_DEP_2)
	s_or_b32 s1, s1, s2
	s_delay_alu instid0(VALU_DEP_1) | instid1(SALU_CYCLE_1)
	s_and_b32 s1, s3, s1
	s_delay_alu instid0(SALU_CYCLE_1) | instskip(NEXT) | instid1(SALU_CYCLE_1)
	s_xor_b32 s2, s1, -1
	s_and_saveexec_b32 s3, s2
	s_delay_alu instid0(SALU_CYCLE_1)
	s_xor_b32 s2, exec_lo, s3
	s_cbranch_execz .LBB32_110
; %bb.109:
	v_lshl_add_u32 v12, v15, 2, v0
	ds_load_b32 v12, v12 offset:4
.LBB32_110:
	s_or_saveexec_b32 s2, s2
	v_mov_b32_e32 v13, v11
	s_xor_b32 exec_lo, exec_lo, s2
	s_cbranch_execz .LBB32_112
; %bb.111:
	s_waitcnt lgkmcnt(0)
	v_lshl_add_u32 v12, v14, 2, v0
	ds_load_b32 v13, v12 offset:4
	v_mov_b32_e32 v12, v10
.LBB32_112:
	s_or_b32 exec_lo, exec_lo, s2
	v_add_nc_u32_e32 v16, 1, v15
	v_add_nc_u32_e32 v18, 1, v14
	s_waitcnt lgkmcnt(0)
	v_cmp_lt_i32_e64 s3, v13, v12
	s_delay_alu instid0(VALU_DEP_3) | instskip(NEXT) | instid1(VALU_DEP_3)
	v_cndmask_b32_e64 v17, v16, v15, s1
	v_cndmask_b32_e64 v16, v14, v18, s1
                                        ; implicit-def: $vgpr14
	s_delay_alu instid0(VALU_DEP_2) | instskip(NEXT) | instid1(VALU_DEP_2)
	v_cmp_ge_i32_e64 s2, v17, v7
	v_cmp_lt_i32_e64 s4, v16, v6
	s_delay_alu instid0(VALU_DEP_2)
	s_or_b32 s2, s2, s3
	s_delay_alu instid0(VALU_DEP_1) | instid1(SALU_CYCLE_1)
	s_and_b32 s2, s4, s2
	s_delay_alu instid0(SALU_CYCLE_1) | instskip(NEXT) | instid1(SALU_CYCLE_1)
	s_xor_b32 s3, s2, -1
	s_and_saveexec_b32 s4, s3
	s_delay_alu instid0(SALU_CYCLE_1)
	s_xor_b32 s3, exec_lo, s4
	s_cbranch_execz .LBB32_114
; %bb.113:
	v_lshl_add_u32 v14, v17, 2, v0
	ds_load_b32 v14, v14 offset:4
.LBB32_114:
	s_or_saveexec_b32 s3, s3
	v_mov_b32_e32 v15, v13
	s_xor_b32 exec_lo, exec_lo, s3
	s_cbranch_execz .LBB32_116
; %bb.115:
	s_waitcnt lgkmcnt(0)
	v_lshl_add_u32 v14, v16, 2, v0
	ds_load_b32 v15, v14 offset:4
	v_mov_b32_e32 v14, v12
.LBB32_116:
	s_or_b32 exec_lo, exec_lo, s3
	v_add_nc_u32_e32 v18, 1, v17
	v_add_nc_u32_e32 v20, 1, v16
	s_waitcnt lgkmcnt(0)
	v_cmp_lt_i32_e64 s4, v15, v14
	s_delay_alu instid0(VALU_DEP_3) | instskip(NEXT) | instid1(VALU_DEP_3)
	v_cndmask_b32_e64 v19, v18, v17, s2
	v_cndmask_b32_e64 v18, v16, v20, s2
                                        ; implicit-def: $vgpr16
	s_delay_alu instid0(VALU_DEP_2) | instskip(NEXT) | instid1(VALU_DEP_2)
	v_cmp_ge_i32_e64 s3, v19, v7
	v_cmp_lt_i32_e64 s5, v18, v6
	s_delay_alu instid0(VALU_DEP_2)
	s_or_b32 s3, s3, s4
	s_delay_alu instid0(VALU_DEP_1) | instid1(SALU_CYCLE_1)
	s_and_b32 s3, s5, s3
	s_delay_alu instid0(SALU_CYCLE_1) | instskip(NEXT) | instid1(SALU_CYCLE_1)
	s_xor_b32 s4, s3, -1
	s_and_saveexec_b32 s5, s4
	s_delay_alu instid0(SALU_CYCLE_1)
	s_xor_b32 s4, exec_lo, s5
	s_cbranch_execz .LBB32_118
; %bb.117:
	v_lshl_add_u32 v16, v19, 2, v0
	ds_load_b32 v16, v16 offset:4
.LBB32_118:
	s_or_saveexec_b32 s4, s4
	v_mov_b32_e32 v17, v15
	s_xor_b32 exec_lo, exec_lo, s4
	s_cbranch_execz .LBB32_120
; %bb.119:
	s_waitcnt lgkmcnt(0)
	v_lshl_add_u32 v16, v18, 2, v0
	ds_load_b32 v17, v16 offset:4
	v_mov_b32_e32 v16, v14
.LBB32_120:
	s_or_b32 exec_lo, exec_lo, s4
	v_add_nc_u32_e32 v20, 1, v19
	v_add_nc_u32_e32 v21, 1, v18
	s_waitcnt lgkmcnt(0)
	v_cmp_lt_i32_e64 s5, v17, v16
	s_delay_alu instid0(VALU_DEP_3) | instskip(NEXT) | instid1(VALU_DEP_3)
	v_cndmask_b32_e64 v20, v20, v19, s3
	v_cndmask_b32_e64 v19, v18, v21, s3
                                        ; implicit-def: $vgpr18
	s_delay_alu instid0(VALU_DEP_2) | instskip(NEXT) | instid1(VALU_DEP_2)
	v_cmp_ge_i32_e64 s4, v20, v7
	v_cmp_lt_i32_e64 s6, v19, v6
	s_delay_alu instid0(VALU_DEP_2)
	s_or_b32 s4, s4, s5
	s_delay_alu instid0(VALU_DEP_1) | instid1(SALU_CYCLE_1)
	s_and_b32 s4, s6, s4
	s_delay_alu instid0(SALU_CYCLE_1) | instskip(NEXT) | instid1(SALU_CYCLE_1)
	s_xor_b32 s5, s4, -1
	s_and_saveexec_b32 s6, s5
	s_delay_alu instid0(SALU_CYCLE_1)
	s_xor_b32 s5, exec_lo, s6
	s_cbranch_execz .LBB32_122
; %bb.121:
	v_lshl_add_u32 v18, v20, 2, v0
	ds_load_b32 v18, v18 offset:4
.LBB32_122:
	s_or_saveexec_b32 s5, s5
	v_mov_b32_e32 v21, v17
	s_xor_b32 exec_lo, exec_lo, s5
	s_cbranch_execz .LBB32_124
; %bb.123:
	s_waitcnt lgkmcnt(0)
	v_lshl_add_u32 v18, v19, 2, v0
	ds_load_b32 v21, v18 offset:4
	v_mov_b32_e32 v18, v16
.LBB32_124:
	s_or_b32 exec_lo, exec_lo, s5
	v_add_nc_u32_e32 v22, 1, v20
	v_add_nc_u32_e32 v24, 1, v19
	s_waitcnt lgkmcnt(0)
	v_cmp_lt_i32_e64 s6, v21, v18
	s_delay_alu instid0(VALU_DEP_3) | instskip(NEXT) | instid1(VALU_DEP_3)
	v_cndmask_b32_e64 v23, v22, v20, s4
	v_cndmask_b32_e64 v19, v19, v24, s4
                                        ; implicit-def: $vgpr20
	s_delay_alu instid0(VALU_DEP_2) | instskip(NEXT) | instid1(VALU_DEP_2)
	v_cmp_ge_i32_e64 s5, v23, v7
	v_cmp_lt_i32_e64 s7, v19, v6
	s_delay_alu instid0(VALU_DEP_2)
	s_or_b32 s5, s5, s6
	s_delay_alu instid0(VALU_DEP_1) | instid1(SALU_CYCLE_1)
	s_and_b32 s5, s7, s5
	s_delay_alu instid0(SALU_CYCLE_1) | instskip(NEXT) | instid1(SALU_CYCLE_1)
	s_xor_b32 s6, s5, -1
	s_and_saveexec_b32 s7, s6
	s_delay_alu instid0(SALU_CYCLE_1)
	s_xor_b32 s6, exec_lo, s7
	s_cbranch_execz .LBB32_126
; %bb.125:
	v_lshl_add_u32 v20, v23, 2, v0
	ds_load_b32 v20, v20 offset:4
.LBB32_126:
	s_or_saveexec_b32 s6, s6
	v_mov_b32_e32 v22, v21
	s_xor_b32 exec_lo, exec_lo, s6
	s_cbranch_execz .LBB32_128
; %bb.127:
	s_waitcnt lgkmcnt(0)
	v_lshl_add_u32 v20, v19, 2, v0
	ds_load_b32 v22, v20 offset:4
	v_mov_b32_e32 v20, v18
.LBB32_128:
	s_or_b32 exec_lo, exec_lo, s6
	v_dual_cndmask_b32 v5, v4, v5 :: v_dual_add_nc_u32 v24, 1, v23
	v_cndmask_b32_e64 v18, v18, v21, s5
	v_add_nc_u32_e32 v21, 1, v19
	v_cndmask_b32_e64 v14, v14, v15, s3
	s_delay_alu instid0(VALU_DEP_4)
	v_cndmask_b32_e64 v15, v24, v23, s5
	v_cndmask_b32_e64 v11, v10, v11, s1
	v_and_b32_e32 v10, 0xf8, v1
	v_cndmask_b32_e64 v1, v19, v21, s5
	v_cndmask_b32_e64 v12, v12, v13, s2
	v_cmp_ge_i32_e64 s1, v15, v7
	s_waitcnt lgkmcnt(0)
	v_cmp_lt_i32_e64 s2, v22, v20
	v_cndmask_b32_e64 v7, v9, v8, s0
	v_add_nc_u32_e32 v8, 0xffffff80, v10
	v_cmp_lt_i32_e64 s0, 0x7f, v10
	v_cmp_lt_i32_e32 vcc_lo, v1, v6
	s_or_b32 s1, s1, s2
	v_min_i32_e32 v4, 0x80, v10
	v_cndmask_b32_e64 v16, v16, v17, s4
	v_cndmask_b32_e64 v1, 0, v8, s0
	s_and_b32 vcc_lo, vcc_lo, s1
	s_mov_b32 s0, exec_lo
	v_cndmask_b32_e32 v6, v20, v22, vcc_lo
	; wave barrier
	ds_store_2addr_b32 v2, v5, v7 offset1:1
	ds_store_2addr_b32 v2, v11, v12 offset0:2 offset1:3
	ds_store_2addr_b32 v2, v14, v16 offset0:4 offset1:5
	;; [unrolled: 1-line block ×3, first 2 shown]
	; wave barrier
	v_cmpx_lt_i32_e64 v1, v4
	s_cbranch_execz .LBB32_132
; %bb.129:
	v_lshlrev_b32_e32 v2, 2, v10
	s_mov_b32 s1, 0
	s_delay_alu instid0(VALU_DEP_1)
	v_add3_u32 v2, 0x200, v0, v2
	.p2align	6
.LBB32_130:                             ; =>This Inner Loop Header: Depth=1
	v_sub_nc_u32_e32 v5, v4, v1
	s_delay_alu instid0(VALU_DEP_1) | instskip(NEXT) | instid1(VALU_DEP_1)
	v_lshrrev_b32_e32 v6, 31, v5
	v_add_nc_u32_e32 v5, v5, v6
	s_delay_alu instid0(VALU_DEP_1) | instskip(NEXT) | instid1(VALU_DEP_1)
	v_ashrrev_i32_e32 v5, 1, v5
	v_add_nc_u32_e32 v5, v5, v1
	s_delay_alu instid0(VALU_DEP_1) | instskip(SKIP_2) | instid1(VALU_DEP_3)
	v_not_b32_e32 v6, v5
	v_lshl_add_u32 v7, v5, 2, v0
	v_add_nc_u32_e32 v8, 1, v5
	v_lshl_add_u32 v6, v6, 2, v2
	ds_load_b32 v7, v7
	ds_load_b32 v6, v6
	s_waitcnt lgkmcnt(0)
	v_cmp_lt_i32_e32 vcc_lo, v6, v7
	v_cndmask_b32_e32 v4, v4, v5, vcc_lo
	v_cndmask_b32_e32 v1, v8, v1, vcc_lo
	s_delay_alu instid0(VALU_DEP_1) | instskip(SKIP_1) | instid1(SALU_CYCLE_1)
	v_cmp_ge_i32_e32 vcc_lo, v1, v4
	s_or_b32 s1, vcc_lo, s1
	s_and_not1_b32 exec_lo, exec_lo, s1
	s_cbranch_execnz .LBB32_130
; %bb.131:
	s_or_b32 exec_lo, exec_lo, s1
.LBB32_132:
	s_delay_alu instid0(SALU_CYCLE_1) | instskip(SKIP_3) | instid1(VALU_DEP_3)
	s_or_b32 exec_lo, exec_lo, s0
	v_add_nc_u32_e32 v2, 0x80, v10
	v_lshl_add_u32 v9, v1, 2, v0
	v_cmp_le_i32_e32 vcc_lo, 0x80, v1
                                        ; implicit-def: $vgpr6
                                        ; implicit-def: $vgpr7
	v_sub_nc_u32_e32 v2, v2, v1
	s_delay_alu instid0(VALU_DEP_1)
	v_lshl_add_u32 v8, v2, 2, v0
	v_cmp_gt_i32_e64 s1, 0x100, v2
	ds_load_b32 v4, v9
	ds_load_b32 v5, v8
	s_waitcnt lgkmcnt(0)
	v_cmp_lt_i32_e64 s0, v5, v4
	s_delay_alu instid0(VALU_DEP_1) | instskip(NEXT) | instid1(SALU_CYCLE_1)
	s_or_b32 s0, vcc_lo, s0
	s_and_b32 vcc_lo, s1, s0
	s_delay_alu instid0(SALU_CYCLE_1) | instskip(NEXT) | instid1(SALU_CYCLE_1)
	s_xor_b32 s0, vcc_lo, -1
	s_and_saveexec_b32 s1, s0
	s_delay_alu instid0(SALU_CYCLE_1)
	s_xor_b32 s0, exec_lo, s1
	s_cbranch_execz .LBB32_134
; %bb.133:
	ds_load_b32 v7, v9 offset:4
	v_mov_b32_e32 v6, v5
                                        ; implicit-def: $vgpr8
.LBB32_134:
	s_and_not1_saveexec_b32 s0, s0
	s_cbranch_execz .LBB32_136
; %bb.135:
	ds_load_b32 v6, v8 offset:4
	s_waitcnt lgkmcnt(1)
	v_mov_b32_e32 v7, v4
.LBB32_136:
	s_or_b32 exec_lo, exec_lo, s0
	v_add_nc_u32_e32 v8, 1, v1
	v_add_nc_u32_e32 v9, 1, v2
	s_waitcnt lgkmcnt(0)
	v_cmp_lt_i32_e64 s1, v6, v7
	s_delay_alu instid0(VALU_DEP_3) | instskip(NEXT) | instid1(VALU_DEP_3)
	v_cndmask_b32_e32 v10, v8, v1, vcc_lo
	v_cndmask_b32_e32 v1, v2, v9, vcc_lo
                                        ; implicit-def: $vgpr8
	s_delay_alu instid0(VALU_DEP_2) | instskip(NEXT) | instid1(VALU_DEP_2)
	v_cmp_le_i32_e64 s0, 0x80, v10
	v_cmp_gt_i32_e64 s2, 0x100, v1
	s_delay_alu instid0(VALU_DEP_2)
	s_or_b32 s0, s0, s1
	s_delay_alu instid0(VALU_DEP_1) | instid1(SALU_CYCLE_1)
	s_and_b32 s0, s2, s0
	s_delay_alu instid0(SALU_CYCLE_1) | instskip(NEXT) | instid1(SALU_CYCLE_1)
	s_xor_b32 s1, s0, -1
	s_and_saveexec_b32 s2, s1
	s_delay_alu instid0(SALU_CYCLE_1)
	s_xor_b32 s1, exec_lo, s2
	s_cbranch_execz .LBB32_138
; %bb.137:
	v_lshl_add_u32 v2, v10, 2, v0
	ds_load_b32 v8, v2 offset:4
.LBB32_138:
	s_or_saveexec_b32 s1, s1
	v_mov_b32_e32 v9, v6
	s_xor_b32 exec_lo, exec_lo, s1
	s_cbranch_execz .LBB32_140
; %bb.139:
	v_lshl_add_u32 v2, v1, 2, v0
	s_waitcnt lgkmcnt(0)
	v_mov_b32_e32 v8, v7
	ds_load_b32 v9, v2 offset:4
.LBB32_140:
	s_or_b32 exec_lo, exec_lo, s1
	v_add_nc_u32_e32 v2, 1, v10
	v_add_nc_u32_e32 v11, 1, v1
	s_waitcnt lgkmcnt(0)
	v_cmp_lt_i32_e64 s2, v9, v8
	s_delay_alu instid0(VALU_DEP_3) | instskip(NEXT) | instid1(VALU_DEP_3)
	v_cndmask_b32_e64 v2, v2, v10, s0
	v_cndmask_b32_e64 v1, v1, v11, s0
                                        ; implicit-def: $vgpr10
	s_delay_alu instid0(VALU_DEP_2) | instskip(NEXT) | instid1(VALU_DEP_2)
	v_cmp_le_i32_e64 s1, 0x80, v2
	v_cmp_gt_i32_e64 s3, 0x100, v1
	s_delay_alu instid0(VALU_DEP_2)
	s_or_b32 s1, s1, s2
	s_delay_alu instid0(VALU_DEP_1) | instid1(SALU_CYCLE_1)
	s_and_b32 s1, s3, s1
	s_delay_alu instid0(SALU_CYCLE_1) | instskip(NEXT) | instid1(SALU_CYCLE_1)
	s_xor_b32 s2, s1, -1
	s_and_saveexec_b32 s3, s2
	s_delay_alu instid0(SALU_CYCLE_1)
	s_xor_b32 s2, exec_lo, s3
	s_cbranch_execz .LBB32_142
; %bb.141:
	v_lshl_add_u32 v10, v2, 2, v0
	ds_load_b32 v10, v10 offset:4
.LBB32_142:
	s_or_saveexec_b32 s2, s2
	v_mov_b32_e32 v11, v9
	s_xor_b32 exec_lo, exec_lo, s2
	s_cbranch_execz .LBB32_144
; %bb.143:
	s_waitcnt lgkmcnt(0)
	v_lshl_add_u32 v10, v1, 2, v0
	ds_load_b32 v11, v10 offset:4
	v_mov_b32_e32 v10, v8
.LBB32_144:
	s_or_b32 exec_lo, exec_lo, s2
	v_add_nc_u32_e32 v12, 1, v2
	v_add_nc_u32_e32 v13, 1, v1
	s_waitcnt lgkmcnt(0)
	v_cmp_lt_i32_e64 s3, v11, v10
	s_delay_alu instid0(VALU_DEP_3) | instskip(NEXT) | instid1(VALU_DEP_3)
	v_cndmask_b32_e64 v2, v12, v2, s1
	v_cndmask_b32_e64 v1, v1, v13, s1
                                        ; implicit-def: $vgpr12
	s_delay_alu instid0(VALU_DEP_2) | instskip(NEXT) | instid1(VALU_DEP_2)
	v_cmp_le_i32_e64 s2, 0x80, v2
	v_cmp_gt_i32_e64 s4, 0x100, v1
	s_delay_alu instid0(VALU_DEP_2)
	s_or_b32 s2, s2, s3
	s_delay_alu instid0(VALU_DEP_1) | instid1(SALU_CYCLE_1)
	s_and_b32 s2, s4, s2
	s_delay_alu instid0(SALU_CYCLE_1) | instskip(NEXT) | instid1(SALU_CYCLE_1)
	s_xor_b32 s3, s2, -1
	s_and_saveexec_b32 s4, s3
	s_delay_alu instid0(SALU_CYCLE_1)
	s_xor_b32 s3, exec_lo, s4
	s_cbranch_execz .LBB32_146
; %bb.145:
	v_lshl_add_u32 v12, v2, 2, v0
	ds_load_b32 v12, v12 offset:4
.LBB32_146:
	s_or_saveexec_b32 s3, s3
	v_mov_b32_e32 v13, v11
	s_xor_b32 exec_lo, exec_lo, s3
	s_cbranch_execz .LBB32_148
; %bb.147:
	s_waitcnt lgkmcnt(0)
	v_lshl_add_u32 v12, v1, 2, v0
	ds_load_b32 v13, v12 offset:4
	v_mov_b32_e32 v12, v10
.LBB32_148:
	s_or_b32 exec_lo, exec_lo, s3
	v_add_nc_u32_e32 v14, 1, v2
	v_add_nc_u32_e32 v16, 1, v1
	s_waitcnt lgkmcnt(0)
	v_cmp_lt_i32_e64 s4, v13, v12
	s_delay_alu instid0(VALU_DEP_3) | instskip(NEXT) | instid1(VALU_DEP_3)
	v_cndmask_b32_e64 v15, v14, v2, s2
	v_cndmask_b32_e64 v2, v1, v16, s2
                                        ; implicit-def: $vgpr1
	s_delay_alu instid0(VALU_DEP_2) | instskip(NEXT) | instid1(VALU_DEP_2)
	v_cmp_le_i32_e64 s3, 0x80, v15
	v_cmp_gt_i32_e64 s5, 0x100, v2
	s_delay_alu instid0(VALU_DEP_2)
	s_or_b32 s3, s3, s4
	s_delay_alu instid0(VALU_DEP_1) | instid1(SALU_CYCLE_1)
	s_and_b32 s3, s5, s3
	s_delay_alu instid0(SALU_CYCLE_1) | instskip(NEXT) | instid1(SALU_CYCLE_1)
	s_xor_b32 s4, s3, -1
	s_and_saveexec_b32 s5, s4
	s_delay_alu instid0(SALU_CYCLE_1)
	s_xor_b32 s4, exec_lo, s5
	s_cbranch_execz .LBB32_150
; %bb.149:
	v_lshl_add_u32 v1, v15, 2, v0
	ds_load_b32 v1, v1 offset:4
.LBB32_150:
	s_or_saveexec_b32 s4, s4
	v_mov_b32_e32 v14, v13
	s_xor_b32 exec_lo, exec_lo, s4
	s_cbranch_execz .LBB32_152
; %bb.151:
	s_waitcnt lgkmcnt(0)
	v_lshl_add_u32 v1, v2, 2, v0
	ds_load_b32 v14, v1 offset:4
	v_mov_b32_e32 v1, v12
.LBB32_152:
	s_or_b32 exec_lo, exec_lo, s4
	v_add_nc_u32_e32 v16, 1, v15
	v_add_nc_u32_e32 v18, 1, v2
	s_waitcnt lgkmcnt(0)
	v_cmp_lt_i32_e64 s5, v14, v1
	s_delay_alu instid0(VALU_DEP_3) | instskip(NEXT) | instid1(VALU_DEP_3)
	v_cndmask_b32_e64 v17, v16, v15, s3
	v_cndmask_b32_e64 v2, v2, v18, s3
                                        ; implicit-def: $vgpr16
	s_delay_alu instid0(VALU_DEP_2) | instskip(NEXT) | instid1(VALU_DEP_2)
	v_cmp_le_i32_e64 s4, 0x80, v17
	v_cmp_gt_i32_e64 s6, 0x100, v2
	s_delay_alu instid0(VALU_DEP_2)
	s_or_b32 s4, s4, s5
	s_delay_alu instid0(VALU_DEP_1) | instid1(SALU_CYCLE_1)
	s_and_b32 s4, s6, s4
	s_delay_alu instid0(SALU_CYCLE_1) | instskip(NEXT) | instid1(SALU_CYCLE_1)
	s_xor_b32 s5, s4, -1
	s_and_saveexec_b32 s6, s5
	s_delay_alu instid0(SALU_CYCLE_1)
	s_xor_b32 s5, exec_lo, s6
	s_cbranch_execz .LBB32_154
; %bb.153:
	v_lshl_add_u32 v15, v17, 2, v0
	ds_load_b32 v16, v15 offset:4
.LBB32_154:
	s_or_saveexec_b32 s5, s5
	v_mov_b32_e32 v15, v14
	s_xor_b32 exec_lo, exec_lo, s5
	s_cbranch_execz .LBB32_156
; %bb.155:
	v_lshl_add_u32 v15, v2, 2, v0
	s_waitcnt lgkmcnt(0)
	v_mov_b32_e32 v16, v1
	ds_load_b32 v15, v15 offset:4
.LBB32_156:
	s_or_b32 exec_lo, exec_lo, s5
	v_add_nc_u32_e32 v18, 1, v17
	v_add_nc_u32_e32 v19, 1, v2
	s_waitcnt lgkmcnt(0)
	v_cmp_ge_i32_e64 s6, v15, v16
	s_delay_alu instid0(VALU_DEP_3) | instskip(NEXT) | instid1(VALU_DEP_3)
	v_cndmask_b32_e64 v20, v18, v17, s4
	v_cndmask_b32_e64 v17, v2, v19, s4
                                        ; implicit-def: $vgpr18
                                        ; implicit-def: $vgpr19
	s_delay_alu instid0(VALU_DEP_2) | instskip(NEXT) | instid1(VALU_DEP_2)
	v_cmp_gt_i32_e64 s5, 0x80, v20
	v_cmp_le_i32_e64 s7, 0x100, v17
	s_delay_alu instid0(VALU_DEP_2)
	s_and_b32 s5, s5, s6
	s_delay_alu instid0(VALU_DEP_1) | instid1(SALU_CYCLE_1)
	s_or_b32 s5, s7, s5
	s_delay_alu instid0(SALU_CYCLE_1) | instskip(NEXT) | instid1(SALU_CYCLE_1)
	s_and_saveexec_b32 s6, s5
	s_xor_b32 s5, exec_lo, s6
	s_cbranch_execz .LBB32_158
; %bb.157:
	v_lshl_add_u32 v0, v20, 2, v0
	v_add_nc_u32_e32 v19, 1, v20
                                        ; implicit-def: $vgpr20
	ds_load_b32 v18, v0 offset:4
                                        ; implicit-def: $vgpr0
.LBB32_158:
	s_or_saveexec_b32 s5, s5
	v_mov_b32_e32 v2, v16
	s_xor_b32 exec_lo, exec_lo, s5
	s_cbranch_execz .LBB32_160
; %bb.159:
	v_lshl_add_u32 v0, v17, 2, v0
	v_dual_mov_b32 v2, v15 :: v_dual_add_nc_u32 v17, 1, v17
	v_mov_b32_e32 v19, v20
	s_waitcnt lgkmcnt(0)
	v_mov_b32_e32 v18, v16
	ds_load_b32 v0, v0 offset:4
	s_waitcnt lgkmcnt(0)
	v_mov_b32_e32 v15, v0
.LBB32_160:
	s_or_b32 exec_lo, exec_lo, s5
	v_cndmask_b32_e64 v0, v12, v13, s3
	v_cndmask_b32_e64 v10, v10, v11, s2
	v_cmp_le_i32_e64 s2, 0x80, v19
	s_waitcnt lgkmcnt(0)
	v_cmp_lt_i32_e64 s3, v15, v18
	v_cndmask_b32_e64 v9, v8, v9, s1
	v_cmp_gt_i32_e64 s1, 0x100, v17
	v_cndmask_b32_e64 v8, v7, v6, s0
	v_dual_cndmask_b32 v7, v4, v5 :: v_dual_lshlrev_b32 v4, 2, v3
	s_or_b32 s0, s2, s3
	v_cndmask_b32_e64 v1, v1, v14, s4
	s_and_b32 vcc_lo, s1, s0
	s_add_u32 s0, s10, s12
	v_cndmask_b32_e32 v3, v18, v15, vcc_lo
	s_addc_u32 s1, s11, s13
	s_clause 0x1
	global_store_b128 v4, v[7:10], s[0:1]
	global_store_b128 v4, v[0:3], s[0:1] offset:16
	s_nop 0
	s_sendmsg sendmsg(MSG_DEALLOC_VGPRS)
	s_endpgm
	.section	.rodata,"a",@progbits
	.p2align	6, 0x0
	.amdhsa_kernel _Z9sort_keysILj256ELj32ELj8EiN10test_utils4lessEEvPKT2_PS2_T3_
		.amdhsa_group_segment_fixed_size 8224
		.amdhsa_private_segment_fixed_size 0
		.amdhsa_kernarg_size 20
		.amdhsa_user_sgpr_count 15
		.amdhsa_user_sgpr_dispatch_ptr 0
		.amdhsa_user_sgpr_queue_ptr 0
		.amdhsa_user_sgpr_kernarg_segment_ptr 1
		.amdhsa_user_sgpr_dispatch_id 0
		.amdhsa_user_sgpr_private_segment_size 0
		.amdhsa_wavefront_size32 1
		.amdhsa_uses_dynamic_stack 0
		.amdhsa_enable_private_segment 0
		.amdhsa_system_sgpr_workgroup_id_x 1
		.amdhsa_system_sgpr_workgroup_id_y 0
		.amdhsa_system_sgpr_workgroup_id_z 0
		.amdhsa_system_sgpr_workgroup_info 0
		.amdhsa_system_vgpr_workitem_id 0
		.amdhsa_next_free_vgpr 33
		.amdhsa_next_free_sgpr 16
		.amdhsa_reserve_vcc 1
		.amdhsa_float_round_mode_32 0
		.amdhsa_float_round_mode_16_64 0
		.amdhsa_float_denorm_mode_32 3
		.amdhsa_float_denorm_mode_16_64 3
		.amdhsa_dx10_clamp 1
		.amdhsa_ieee_mode 1
		.amdhsa_fp16_overflow 0
		.amdhsa_workgroup_processor_mode 1
		.amdhsa_memory_ordered 1
		.amdhsa_forward_progress 0
		.amdhsa_shared_vgpr_count 0
		.amdhsa_exception_fp_ieee_invalid_op 0
		.amdhsa_exception_fp_denorm_src 0
		.amdhsa_exception_fp_ieee_div_zero 0
		.amdhsa_exception_fp_ieee_overflow 0
		.amdhsa_exception_fp_ieee_underflow 0
		.amdhsa_exception_fp_ieee_inexact 0
		.amdhsa_exception_int_div_zero 0
	.end_amdhsa_kernel
	.section	.text._Z9sort_keysILj256ELj32ELj8EiN10test_utils4lessEEvPKT2_PS2_T3_,"axG",@progbits,_Z9sort_keysILj256ELj32ELj8EiN10test_utils4lessEEvPKT2_PS2_T3_,comdat
.Lfunc_end32:
	.size	_Z9sort_keysILj256ELj32ELj8EiN10test_utils4lessEEvPKT2_PS2_T3_, .Lfunc_end32-_Z9sort_keysILj256ELj32ELj8EiN10test_utils4lessEEvPKT2_PS2_T3_
                                        ; -- End function
	.section	.AMDGPU.csdata,"",@progbits
; Kernel info:
; codeLenInByte = 8368
; NumSgprs: 18
; NumVgprs: 33
; ScratchSize: 0
; MemoryBound: 0
; FloatMode: 240
; IeeeMode: 1
; LDSByteSize: 8224 bytes/workgroup (compile time only)
; SGPRBlocks: 2
; VGPRBlocks: 4
; NumSGPRsForWavesPerEU: 18
; NumVGPRsForWavesPerEU: 33
; Occupancy: 16
; WaveLimiterHint : 0
; COMPUTE_PGM_RSRC2:SCRATCH_EN: 0
; COMPUTE_PGM_RSRC2:USER_SGPR: 15
; COMPUTE_PGM_RSRC2:TRAP_HANDLER: 0
; COMPUTE_PGM_RSRC2:TGID_X_EN: 1
; COMPUTE_PGM_RSRC2:TGID_Y_EN: 0
; COMPUTE_PGM_RSRC2:TGID_Z_EN: 0
; COMPUTE_PGM_RSRC2:TIDIG_COMP_CNT: 0
	.section	.text._Z10sort_pairsILj256ELj32ELj8EiN10test_utils4lessEEvPKT2_PS2_T3_,"axG",@progbits,_Z10sort_pairsILj256ELj32ELj8EiN10test_utils4lessEEvPKT2_PS2_T3_,comdat
	.protected	_Z10sort_pairsILj256ELj32ELj8EiN10test_utils4lessEEvPKT2_PS2_T3_ ; -- Begin function _Z10sort_pairsILj256ELj32ELj8EiN10test_utils4lessEEvPKT2_PS2_T3_
	.globl	_Z10sort_pairsILj256ELj32ELj8EiN10test_utils4lessEEvPKT2_PS2_T3_
	.p2align	8
	.type	_Z10sort_pairsILj256ELj32ELj8EiN10test_utils4lessEEvPKT2_PS2_T3_,@function
_Z10sort_pairsILj256ELj32ELj8EiN10test_utils4lessEEvPKT2_PS2_T3_: ; @_Z10sort_pairsILj256ELj32ELj8EiN10test_utils4lessEEvPKT2_PS2_T3_
; %bb.0:
	s_load_b128 s[20:23], s[0:1], 0x0
	s_mov_b32 s1, 0
	s_lshl_b32 s0, s15, 11
	v_lshlrev_b32_e32 v1, 5, v0
	s_lshl_b64 s[24:25], s[0:1], 2
	s_mov_b32 s12, exec_lo
	s_waitcnt lgkmcnt(0)
	s_add_u32 s0, s20, s24
	s_addc_u32 s1, s21, s25
	s_clause 0x1
	global_load_b128 v[5:8], v1, s[0:1]
	global_load_b128 v[9:12], v1, s[0:1] offset:16
	s_waitcnt vmcnt(1)
	v_add_nc_u32_e32 v2, 1, v6
	s_waitcnt vmcnt(0)
	v_add_nc_u32_e32 v15, 1, v10
	v_cmp_lt_i32_e32 vcc_lo, v6, v5
	v_add_nc_u32_e32 v14, 1, v9
	v_add_nc_u32_e32 v1, 1, v5
	;; [unrolled: 1-line block ×4, first 2 shown]
	v_cmp_lt_i32_e64 s0, v8, v7
	s_delay_alu instid0(VALU_DEP_4) | instskip(SKIP_2) | instid1(VALU_DEP_4)
	v_cndmask_b32_e32 v4, v1, v2, vcc_lo
	v_dual_cndmask_b32 v18, v2, v1 :: v_dual_cndmask_b32 v1, v5, v6
	v_cndmask_b32_e32 v2, v6, v5, vcc_lo
	v_cndmask_b32_e64 v6, v13, v3, s0
	v_cndmask_b32_e64 v3, v3, v13, s0
	v_cmp_lt_i32_e32 vcc_lo, v10, v9
	v_add_nc_u32_e32 v16, 1, v11
	v_add_nc_u32_e32 v17, 1, v12
	v_cndmask_b32_e64 v13, v8, v7, s0
	v_cndmask_b32_e64 v7, v7, v8, s0
	v_cmp_lt_i32_e64 s0, v12, v11
	v_cndmask_b32_e32 v8, v15, v14, vcc_lo
	v_cndmask_b32_e32 v14, v14, v15, vcc_lo
	;; [unrolled: 1-line block ×4, first 2 shown]
	v_cndmask_b32_e64 v10, v17, v16, s0
	v_cndmask_b32_e64 v16, v16, v17, s0
	v_cndmask_b32_e64 v17, v12, v11, s0
	v_cndmask_b32_e64 v11, v11, v12, s0
	v_cmp_lt_i32_e32 vcc_lo, v7, v2
	v_cmp_lt_i32_e64 s0, v9, v13
	s_delay_alu instid0(VALU_DEP_3) | instskip(SKIP_2) | instid1(VALU_DEP_4)
	v_cmp_lt_i32_e64 s1, v11, v15
	v_dual_cndmask_b32 v12, v3, v18 :: v_dual_cndmask_b32 v5, v18, v3
	v_dual_cndmask_b32 v3, v7, v2 :: v_dual_cndmask_b32 v2, v2, v7
	v_cndmask_b32_e64 v19, v14, v6, s0
	v_cndmask_b32_e64 v7, v6, v14, s0
	;; [unrolled: 1-line block ×6, first 2 shown]
	v_cmp_lt_i32_e32 vcc_lo, v2, v1
	v_cndmask_b32_e64 v20, v16, v8, s1
	v_cndmask_b32_e64 v8, v8, v16, s1
	v_cmp_lt_i32_e64 s2, v17, v13
	v_cmp_lt_i32_e64 s1, v11, v14
	v_cndmask_b32_e32 v6, v5, v4, vcc_lo
	v_cmp_lt_i32_e64 s0, v9, v3
	v_cndmask_b32_e32 v21, v1, v2, vcc_lo
	v_cndmask_b32_e32 v1, v2, v1, vcc_lo
	v_cndmask_b32_e64 v16, v8, v19, s1
	v_cndmask_b32_e64 v18, v10, v20, s2
	;; [unrolled: 1-line block ×12, first 2 shown]
	v_cmp_lt_i32_e64 s0, v3, v1
	v_cmp_lt_i32_e64 s1, v11, v2
	;; [unrolled: 1-line block ×3, first 2 shown]
	s_delay_alu instid0(VALU_DEP_3) | instskip(NEXT) | instid1(VALU_DEP_3)
	v_cndmask_b32_e64 v20, v3, v1, s0
	v_cndmask_b32_e64 v17, v9, v15, s1
	s_delay_alu instid0(VALU_DEP_3)
	v_cndmask_b32_e64 v19, v10, v16, s2
	v_cndmask_b32_e64 v1, v1, v3, s0
	;; [unrolled: 1-line block ×8, first 2 shown]
	v_cmp_lt_i32_e64 s1, v1, v21
	v_cmp_lt_i32_e64 s2, v2, v20
	v_cndmask_b32_e64 v8, v7, v6, s0
	v_cmp_lt_i32_e64 s4, v14, v16
	v_cmp_lt_i32_e64 s3, v12, v3
	v_cndmask_b32_e64 v22, v21, v1, s1
	v_cndmask_b32_e64 v1, v1, v21, s1
	;; [unrolled: 1-line block ×12, first 2 shown]
	v_cmp_lt_i32_e64 s3, v2, v1
	v_cmp_lt_i32_e64 s4, v3, v21
	v_cndmask_b32_e64 v10, v9, v8, s2
	v_cmp_lt_i32_e64 s5, v19, v17
	s_delay_alu instid0(VALU_DEP_4) | instskip(SKIP_2) | instid1(VALU_DEP_4)
	v_cndmask_b32_e64 v24, v2, v1, s3
	v_cndmask_b32_e64 v2, v1, v2, s3
	;; [unrolled: 1-line block ×8, first 2 shown]
	v_cmp_lt_i32_e64 s5, v2, v22
	v_cmp_lt_i32_e64 s6, v3, v24
	v_cndmask_b32_e64 v14, v13, v10, s4
	v_cmp_lt_i32_e64 s10, v18, v23
	v_cmp_lt_i32_e64 s7, v17, v25
	v_cndmask_b32_e64 v26, v2, v22, s5
	v_cndmask_b32_e64 v19, v3, v24, s6
	;; [unrolled: 1-line block ×8, first 2 shown]
	v_cmp_lt_i32_e64 s8, v3, v26
	v_cndmask_b32_e64 v12, v16, v14, s7
	v_cmp_lt_i32_e64 s9, v17, v19
	v_cndmask_b32_e64 v22, v18, v23, s10
	v_mov_b32_e32 v28, v2
	v_cndmask_b32_e64 v23, v3, v26, s8
	v_cndmask_b32_e64 v26, v26, v3, s8
	;; [unrolled: 1-line block ×4, first 2 shown]
	v_mov_b32_e32 v17, v1
	v_cmpx_lt_i32_e64 v2, v21
; %bb.1:
	v_dual_mov_b32 v28, v21 :: v_dual_mov_b32 v21, v2
	v_dual_mov_b32 v17, v12 :: v_dual_mov_b32 v12, v1
; %bb.2:
	s_or_b32 exec_lo, exec_lo, s12
	v_mbcnt_lo_u32_b32 v2, -1, 0
	v_lshlrev_b32_e32 v1, 3, v0
	v_lshrrev_b32_e32 v31, 5, v0
	s_mov_b32 s12, exec_lo
	s_delay_alu instid0(VALU_DEP_3) | instskip(SKIP_1) | instid1(VALU_DEP_2)
	v_lshlrev_b32_e32 v3, 3, v2
	v_lshlrev_b32_e32 v2, 5, v2
	; wave barrier
	v_and_b32_e32 v24, 0xf0, v3
	v_and_b32_e32 v29, 8, v3
	s_delay_alu instid0(VALU_DEP_3)
	v_mad_u32_u24 v2, 0x404, v31, v2
	ds_store_2addr_b32 v2, v20, v26 offset1:1
	ds_store_2addr_b32 v2, v23, v27 offset0:2 offset1:3
	ds_store_2addr_b32 v2, v25, v21 offset0:4 offset1:5
	ds_store_2addr_b32 v2, v28, v22 offset0:6 offset1:7
	v_or_b32_e32 v19, 8, v24
	v_add_nc_u32_e32 v18, 16, v24
	v_lshlrev_b32_e32 v34, 2, v24
	; wave barrier
	s_delay_alu instid0(VALU_DEP_3) | instskip(NEXT) | instid1(VALU_DEP_3)
	v_sub_nc_u32_e32 v0, v19, v24
	v_sub_nc_u32_e32 v30, v18, v19
	s_delay_alu instid0(VALU_DEP_2) | instskip(NEXT) | instid1(VALU_DEP_2)
	v_min_i32_e32 v32, v29, v0
	v_sub_nc_u32_e32 v33, v29, v30
	v_cmp_ge_i32_e64 s11, v29, v30
	v_mul_u32_u24_e32 v0, 0x404, v31
	v_mad_u32_u24 v31, 0x404, v31, v34
	s_delay_alu instid0(VALU_DEP_3) | instskip(NEXT) | instid1(VALU_DEP_1)
	v_cndmask_b32_e64 v30, 0, v33, s11
	v_cmpx_lt_i32_e64 v30, v32
	s_cbranch_execz .LBB33_6
; %bb.3:
	v_lshlrev_b32_e32 v20, 2, v19
	v_lshlrev_b32_e32 v21, 2, v29
	s_mov_b32 s13, 0
	s_delay_alu instid0(VALU_DEP_1)
	v_add3_u32 v20, v0, v20, v21
	.p2align	6
.LBB33_4:                               ; =>This Inner Loop Header: Depth=1
	v_sub_nc_u32_e32 v21, v32, v30
	s_delay_alu instid0(VALU_DEP_1) | instskip(NEXT) | instid1(VALU_DEP_1)
	v_lshrrev_b32_e32 v22, 31, v21
	v_add_nc_u32_e32 v21, v21, v22
	s_delay_alu instid0(VALU_DEP_1) | instskip(NEXT) | instid1(VALU_DEP_1)
	v_ashrrev_i32_e32 v21, 1, v21
	v_add_nc_u32_e32 v21, v21, v30
	s_delay_alu instid0(VALU_DEP_1) | instskip(SKIP_2) | instid1(VALU_DEP_3)
	v_not_b32_e32 v22, v21
	v_lshl_add_u32 v23, v21, 2, v31
	v_add_nc_u32_e32 v25, 1, v21
	v_lshl_add_u32 v22, v22, 2, v20
	ds_load_b32 v23, v23
	ds_load_b32 v22, v22
	s_waitcnt lgkmcnt(0)
	v_cmp_lt_i32_e64 s11, v22, v23
	s_delay_alu instid0(VALU_DEP_1) | instskip(SKIP_1) | instid1(VALU_DEP_1)
	v_cndmask_b32_e64 v32, v32, v21, s11
	v_cndmask_b32_e64 v30, v25, v30, s11
	v_cmp_ge_i32_e64 s11, v30, v32
	s_delay_alu instid0(VALU_DEP_1) | instskip(NEXT) | instid1(SALU_CYCLE_1)
	s_or_b32 s13, s11, s13
	s_and_not1_b32 exec_lo, exec_lo, s13
	s_cbranch_execnz .LBB33_4
; %bb.5:
	s_or_b32 exec_lo, exec_lo, s13
.LBB33_6:
	s_delay_alu instid0(SALU_CYCLE_1) | instskip(SKIP_3) | instid1(VALU_DEP_3)
	s_or_b32 exec_lo, exec_lo, s12
	v_add_nc_u32_e32 v20, v19, v29
	v_lshl_add_u32 v28, v30, 2, v31
	v_add_nc_u32_e32 v27, v30, v24
                                        ; implicit-def: $vgpr22
                                        ; implicit-def: $vgpr23
	v_sub_nc_u32_e32 v25, v20, v30
	s_delay_alu instid0(VALU_DEP_2) | instskip(NEXT) | instid1(VALU_DEP_2)
	v_cmp_le_i32_e64 s11, v19, v27
	v_lshl_add_u32 v26, v25, 2, v0
	v_cmp_gt_i32_e64 s13, v18, v25
	ds_load_b32 v20, v28
	ds_load_b32 v21, v26
	s_waitcnt lgkmcnt(0)
	v_cmp_lt_i32_e64 s12, v21, v20
	s_delay_alu instid0(VALU_DEP_1) | instskip(NEXT) | instid1(SALU_CYCLE_1)
	s_or_b32 s11, s11, s12
	s_and_b32 s11, s13, s11
	s_delay_alu instid0(SALU_CYCLE_1) | instskip(NEXT) | instid1(SALU_CYCLE_1)
	s_xor_b32 s12, s11, -1
	s_and_saveexec_b32 s13, s12
	s_delay_alu instid0(SALU_CYCLE_1)
	s_xor_b32 s12, exec_lo, s13
	s_cbranch_execz .LBB33_8
; %bb.7:
	ds_load_b32 v23, v28 offset:4
	v_mov_b32_e32 v22, v21
                                        ; implicit-def: $vgpr26
.LBB33_8:
	s_and_not1_saveexec_b32 s12, s12
	s_cbranch_execz .LBB33_10
; %bb.9:
	ds_load_b32 v22, v26 offset:4
	s_waitcnt lgkmcnt(1)
	v_mov_b32_e32 v23, v20
.LBB33_10:
	s_or_b32 exec_lo, exec_lo, s12
	v_add_nc_u32_e32 v24, 1, v27
	v_add_nc_u32_e32 v26, 1, v25
	s_waitcnt lgkmcnt(0)
	v_cmp_lt_i32_e64 s13, v22, v23
	s_delay_alu instid0(VALU_DEP_3) | instskip(NEXT) | instid1(VALU_DEP_3)
	v_cndmask_b32_e64 v28, v24, v27, s11
	v_cndmask_b32_e64 v29, v25, v26, s11
                                        ; implicit-def: $vgpr24
	s_delay_alu instid0(VALU_DEP_2) | instskip(NEXT) | instid1(VALU_DEP_2)
	v_cmp_ge_i32_e64 s12, v28, v19
	v_cmp_lt_i32_e64 s14, v29, v18
	s_delay_alu instid0(VALU_DEP_2)
	s_or_b32 s12, s12, s13
	s_delay_alu instid0(VALU_DEP_1) | instid1(SALU_CYCLE_1)
	s_and_b32 s12, s14, s12
	s_delay_alu instid0(SALU_CYCLE_1) | instskip(NEXT) | instid1(SALU_CYCLE_1)
	s_xor_b32 s13, s12, -1
	s_and_saveexec_b32 s14, s13
	s_delay_alu instid0(SALU_CYCLE_1)
	s_xor_b32 s13, exec_lo, s14
	s_cbranch_execz .LBB33_12
; %bb.11:
	v_lshl_add_u32 v24, v28, 2, v0
	ds_load_b32 v24, v24 offset:4
.LBB33_12:
	s_or_saveexec_b32 s13, s13
	v_mov_b32_e32 v26, v22
	s_xor_b32 exec_lo, exec_lo, s13
	s_cbranch_execz .LBB33_14
; %bb.13:
	s_waitcnt lgkmcnt(0)
	v_lshl_add_u32 v24, v29, 2, v0
	ds_load_b32 v26, v24 offset:4
	v_mov_b32_e32 v24, v23
.LBB33_14:
	s_or_b32 exec_lo, exec_lo, s13
	v_add_nc_u32_e32 v30, 1, v28
	v_add_nc_u32_e32 v31, 1, v29
	s_waitcnt lgkmcnt(0)
	v_cmp_lt_i32_e64 s14, v26, v24
                                        ; implicit-def: $vgpr32
	s_delay_alu instid0(VALU_DEP_3) | instskip(NEXT) | instid1(VALU_DEP_3)
	v_cndmask_b32_e64 v30, v30, v28, s12
	v_cndmask_b32_e64 v31, v29, v31, s12
	s_delay_alu instid0(VALU_DEP_2) | instskip(NEXT) | instid1(VALU_DEP_2)
	v_cmp_ge_i32_e64 s13, v30, v19
	v_cmp_lt_i32_e64 s15, v31, v18
	s_delay_alu instid0(VALU_DEP_2)
	s_or_b32 s13, s13, s14
	s_delay_alu instid0(VALU_DEP_1) | instid1(SALU_CYCLE_1)
	s_and_b32 s13, s15, s13
	s_delay_alu instid0(SALU_CYCLE_1) | instskip(NEXT) | instid1(SALU_CYCLE_1)
	s_xor_b32 s14, s13, -1
	s_and_saveexec_b32 s15, s14
	s_delay_alu instid0(SALU_CYCLE_1)
	s_xor_b32 s14, exec_lo, s15
	s_cbranch_execz .LBB33_16
; %bb.15:
	v_lshl_add_u32 v32, v30, 2, v0
	ds_load_b32 v32, v32 offset:4
.LBB33_16:
	s_or_saveexec_b32 s14, s14
	v_mov_b32_e32 v33, v26
	s_xor_b32 exec_lo, exec_lo, s14
	s_cbranch_execz .LBB33_18
; %bb.17:
	s_waitcnt lgkmcnt(0)
	v_lshl_add_u32 v32, v31, 2, v0
	ds_load_b32 v33, v32 offset:4
	v_mov_b32_e32 v32, v24
.LBB33_18:
	s_or_b32 exec_lo, exec_lo, s14
	v_add_nc_u32_e32 v34, 1, v30
	v_add_nc_u32_e32 v35, 1, v31
	s_waitcnt lgkmcnt(0)
	v_cmp_lt_i32_e64 s15, v33, v32
                                        ; implicit-def: $vgpr36
	s_delay_alu instid0(VALU_DEP_3) | instskip(NEXT) | instid1(VALU_DEP_3)
	v_cndmask_b32_e64 v34, v34, v30, s13
	v_cndmask_b32_e64 v35, v31, v35, s13
	s_delay_alu instid0(VALU_DEP_2) | instskip(NEXT) | instid1(VALU_DEP_2)
	v_cmp_ge_i32_e64 s14, v34, v19
	v_cmp_lt_i32_e64 s16, v35, v18
	s_delay_alu instid0(VALU_DEP_2)
	s_or_b32 s14, s14, s15
	s_delay_alu instid0(VALU_DEP_1) | instid1(SALU_CYCLE_1)
	s_and_b32 s14, s16, s14
	s_delay_alu instid0(SALU_CYCLE_1) | instskip(NEXT) | instid1(SALU_CYCLE_1)
	s_xor_b32 s15, s14, -1
	s_and_saveexec_b32 s16, s15
	s_delay_alu instid0(SALU_CYCLE_1)
	s_xor_b32 s15, exec_lo, s16
	s_cbranch_execz .LBB33_20
; %bb.19:
	v_lshl_add_u32 v36, v34, 2, v0
	ds_load_b32 v36, v36 offset:4
.LBB33_20:
	s_or_saveexec_b32 s15, s15
	v_mov_b32_e32 v37, v33
	s_xor_b32 exec_lo, exec_lo, s15
	s_cbranch_execz .LBB33_22
; %bb.21:
	s_waitcnt lgkmcnt(0)
	v_lshl_add_u32 v36, v35, 2, v0
	ds_load_b32 v37, v36 offset:4
	v_mov_b32_e32 v36, v32
.LBB33_22:
	s_or_b32 exec_lo, exec_lo, s15
	v_add_nc_u32_e32 v38, 1, v34
	v_add_nc_u32_e32 v39, 1, v35
	s_waitcnt lgkmcnt(0)
	v_cmp_lt_i32_e64 s16, v37, v36
                                        ; implicit-def: $vgpr40
	s_delay_alu instid0(VALU_DEP_3) | instskip(NEXT) | instid1(VALU_DEP_3)
	v_cndmask_b32_e64 v38, v38, v34, s14
	v_cndmask_b32_e64 v39, v35, v39, s14
	s_delay_alu instid0(VALU_DEP_2) | instskip(NEXT) | instid1(VALU_DEP_2)
	v_cmp_ge_i32_e64 s15, v38, v19
	v_cmp_lt_i32_e64 s17, v39, v18
	s_delay_alu instid0(VALU_DEP_2)
	s_or_b32 s15, s15, s16
	s_delay_alu instid0(VALU_DEP_1) | instid1(SALU_CYCLE_1)
	s_and_b32 s15, s17, s15
	s_delay_alu instid0(SALU_CYCLE_1) | instskip(NEXT) | instid1(SALU_CYCLE_1)
	s_xor_b32 s16, s15, -1
	s_and_saveexec_b32 s17, s16
	s_delay_alu instid0(SALU_CYCLE_1)
	s_xor_b32 s16, exec_lo, s17
	s_cbranch_execz .LBB33_24
; %bb.23:
	v_lshl_add_u32 v40, v38, 2, v0
	ds_load_b32 v40, v40 offset:4
.LBB33_24:
	s_or_saveexec_b32 s16, s16
	v_mov_b32_e32 v41, v37
	s_xor_b32 exec_lo, exec_lo, s16
	s_cbranch_execz .LBB33_26
; %bb.25:
	s_waitcnt lgkmcnt(0)
	v_lshl_add_u32 v40, v39, 2, v0
	ds_load_b32 v41, v40 offset:4
	v_mov_b32_e32 v40, v36
.LBB33_26:
	s_or_b32 exec_lo, exec_lo, s16
	v_add_nc_u32_e32 v42, 1, v38
	v_add_nc_u32_e32 v43, 1, v39
	s_waitcnt lgkmcnt(0)
	v_cmp_lt_i32_e64 s17, v41, v40
                                        ; implicit-def: $vgpr45
	s_delay_alu instid0(VALU_DEP_3) | instskip(NEXT) | instid1(VALU_DEP_3)
	v_cndmask_b32_e64 v42, v42, v38, s15
	v_cndmask_b32_e64 v43, v39, v43, s15
	s_delay_alu instid0(VALU_DEP_2) | instskip(NEXT) | instid1(VALU_DEP_2)
	v_cmp_ge_i32_e64 s16, v42, v19
	v_cmp_lt_i32_e64 s18, v43, v18
	s_delay_alu instid0(VALU_DEP_2)
	s_or_b32 s16, s16, s17
	s_delay_alu instid0(VALU_DEP_1) | instid1(SALU_CYCLE_1)
	s_and_b32 s16, s18, s16
	s_delay_alu instid0(SALU_CYCLE_1) | instskip(NEXT) | instid1(SALU_CYCLE_1)
	s_xor_b32 s17, s16, -1
	s_and_saveexec_b32 s18, s17
	s_delay_alu instid0(SALU_CYCLE_1)
	s_xor_b32 s17, exec_lo, s18
	s_cbranch_execz .LBB33_28
; %bb.27:
	v_lshl_add_u32 v44, v42, 2, v0
	ds_load_b32 v45, v44 offset:4
.LBB33_28:
	s_or_saveexec_b32 s17, s17
	v_mov_b32_e32 v47, v41
	s_xor_b32 exec_lo, exec_lo, s17
	s_cbranch_execz .LBB33_30
; %bb.29:
	v_lshl_add_u32 v44, v43, 2, v0
	s_waitcnt lgkmcnt(0)
	v_mov_b32_e32 v45, v40
	ds_load_b32 v47, v44 offset:4
.LBB33_30:
	s_or_b32 exec_lo, exec_lo, s17
	v_add_nc_u32_e32 v44, 1, v42
	v_add_nc_u32_e32 v46, 1, v43
	s_waitcnt lgkmcnt(0)
	v_cmp_lt_i32_e64 s18, v47, v45
	s_delay_alu instid0(VALU_DEP_3) | instskip(NEXT) | instid1(VALU_DEP_3)
	v_cndmask_b32_e64 v48, v44, v42, s16
	v_cndmask_b32_e64 v49, v43, v46, s16
                                        ; implicit-def: $vgpr44
	s_delay_alu instid0(VALU_DEP_2) | instskip(NEXT) | instid1(VALU_DEP_2)
	v_cmp_ge_i32_e64 s17, v48, v19
	v_cmp_lt_i32_e64 s19, v49, v18
	s_delay_alu instid0(VALU_DEP_2)
	s_or_b32 s17, s17, s18
	s_delay_alu instid0(VALU_DEP_1) | instid1(SALU_CYCLE_1)
	s_and_b32 s17, s19, s17
	s_delay_alu instid0(SALU_CYCLE_1) | instskip(NEXT) | instid1(SALU_CYCLE_1)
	s_xor_b32 s18, s17, -1
	s_and_saveexec_b32 s19, s18
	s_delay_alu instid0(SALU_CYCLE_1)
	s_xor_b32 s18, exec_lo, s19
	s_cbranch_execz .LBB33_32
; %bb.31:
	v_lshl_add_u32 v44, v48, 2, v0
	ds_load_b32 v44, v44 offset:4
.LBB33_32:
	s_or_saveexec_b32 s18, s18
	v_mov_b32_e32 v46, v47
	s_xor_b32 exec_lo, exec_lo, s18
	s_cbranch_execz .LBB33_34
; %bb.33:
	s_waitcnt lgkmcnt(0)
	v_lshl_add_u32 v44, v49, 2, v0
	ds_load_b32 v46, v44 offset:4
	v_mov_b32_e32 v44, v45
.LBB33_34:
	s_or_b32 exec_lo, exec_lo, s18
	v_dual_cndmask_b32 v4, v4, v5 :: v_dual_add_nc_u32 v51, 1, v48
	v_cndmask_b32_e64 v5, v6, v7, s0
	v_cndmask_b32_e64 v36, v36, v37, s15
	;; [unrolled: 1-line block ×3, first 2 shown]
	v_add_nc_u32_e32 v50, 1, v49
	v_cndmask_b32_e64 v10, v10, v13, s4
	v_cndmask_b32_e64 v37, v5, v4, s1
	v_cndmask_b32_e64 v4, v4, v5, s1
	v_cndmask_b32_e64 v45, v45, v47, s17
	v_cndmask_b32_e64 v47, v48, v49, s17
	v_cndmask_b32_e64 v48, v51, v48, s17
	v_cndmask_b32_e64 v5, v37, v8, s3
	v_cndmask_b32_e64 v8, v8, v37, s3
	v_cndmask_b32_e64 v49, v49, v50, s17
	v_cndmask_b32_e64 v25, v27, v25, s11
	v_cmp_ge_i32_e32 vcc_lo, v48, v19
	v_cndmask_b32_e64 v27, v5, v4, s5
	v_cndmask_b32_e64 v4, v4, v5, s5
	;; [unrolled: 1-line block ×5, first 2 shown]
	s_waitcnt lgkmcnt(0)
	v_cmp_lt_i32_e64 s0, v46, v44
	v_cmp_lt_i32_e64 s1, v49, v18
	v_cndmask_b32_e64 v13, v28, v29, s12
	v_cndmask_b32_e64 v14, v8, v27, s8
	;; [unrolled: 1-line block ×5, first 2 shown]
	s_or_b32 s0, vcc_lo, s0
	v_cndmask_b32_e64 v5, v5, v10, s9
	v_cndmask_b32_e64 v30, v30, v31, s13
	;; [unrolled: 1-line block ×3, first 2 shown]
	s_and_b32 vcc_lo, s1, s0
	v_cndmask_b32_e64 v7, v38, v39, s15
	v_cndmask_b32_e32 v19, v44, v46, vcc_lo
	v_cndmask_b32_e64 v6, v42, v43, s16
	v_cndmask_b32_e32 v10, v48, v49, vcc_lo
	; wave barrier
	ds_store_2addr_b32 v2, v4, v8 offset1:1
	ds_store_2addr_b32 v2, v14, v5 offset0:2 offset1:3
	ds_store_2addr_b32 v2, v15, v12 offset0:4 offset1:5
	;; [unrolled: 1-line block ×3, first 2 shown]
	v_lshl_add_u32 v4, v25, 2, v0
	v_lshl_add_u32 v5, v13, 2, v0
	v_lshl_add_u32 v8, v30, 2, v0
	v_lshl_add_u32 v9, v9, 2, v0
	v_lshl_add_u32 v11, v7, 2, v0
	; wave barrier
	v_lshl_add_u32 v15, v6, 2, v0
	v_lshl_add_u32 v17, v47, 2, v0
	;; [unrolled: 1-line block ×3, first 2 shown]
	ds_load_b32 v4, v4
	ds_load_b32 v5, v5
	;; [unrolled: 1-line block ×8, first 2 shown]
	v_and_b32_e32 v16, 0xe0, v3
	v_and_b32_e32 v14, 24, v3
	v_cndmask_b32_e64 v22, v23, v22, s12
	v_cndmask_b32_e64 v20, v20, v21, s11
	;; [unrolled: 1-line block ×3, first 2 shown]
	v_or_b32_e32 v13, 16, v16
	v_add_nc_u32_e32 v12, 32, v16
	v_cndmask_b32_e64 v24, v24, v26, s13
	v_cndmask_b32_e64 v40, v40, v41, s16
	s_mov_b32 s1, 0
	v_sub_nc_u32_e32 v18, v13, v16
	v_sub_nc_u32_e32 v25, v12, v13
	s_mov_b32 s0, exec_lo
	; wave barrier
	s_delay_alu instid0(VALU_DEP_2) | instskip(NEXT) | instid1(VALU_DEP_2)
	v_min_i32_e32 v18, v14, v18
	v_sub_nc_u32_e32 v15, v14, v25
	v_cmp_ge_i32_e32 vcc_lo, v14, v25
	ds_store_2addr_b32 v2, v20, v22 offset1:1
	ds_store_2addr_b32 v2, v24, v32 offset0:2 offset1:3
	ds_store_2addr_b32 v2, v36, v40 offset0:4 offset1:5
	;; [unrolled: 1-line block ×3, first 2 shown]
	; wave barrier
	v_cndmask_b32_e32 v17, 0, v15, vcc_lo
	v_lshl_add_u32 v15, v16, 2, v0
	s_delay_alu instid0(VALU_DEP_2)
	v_cmpx_lt_i32_e64 v17, v18
	s_cbranch_execz .LBB33_38
; %bb.35:
	v_lshlrev_b32_e32 v19, 2, v13
	v_lshlrev_b32_e32 v20, 2, v14
	s_delay_alu instid0(VALU_DEP_1)
	v_add3_u32 v19, v0, v19, v20
	.p2align	6
.LBB33_36:                              ; =>This Inner Loop Header: Depth=1
	v_sub_nc_u32_e32 v20, v18, v17
	s_delay_alu instid0(VALU_DEP_1) | instskip(NEXT) | instid1(VALU_DEP_1)
	v_lshrrev_b32_e32 v21, 31, v20
	v_add_nc_u32_e32 v20, v20, v21
	s_delay_alu instid0(VALU_DEP_1) | instskip(NEXT) | instid1(VALU_DEP_1)
	v_ashrrev_i32_e32 v20, 1, v20
	v_add_nc_u32_e32 v20, v20, v17
	s_delay_alu instid0(VALU_DEP_1) | instskip(SKIP_2) | instid1(VALU_DEP_3)
	v_not_b32_e32 v21, v20
	v_lshl_add_u32 v22, v20, 2, v15
	v_add_nc_u32_e32 v23, 1, v20
	v_lshl_add_u32 v21, v21, 2, v19
	ds_load_b32 v22, v22
	ds_load_b32 v21, v21
	s_waitcnt lgkmcnt(0)
	v_cmp_lt_i32_e32 vcc_lo, v21, v22
	v_dual_cndmask_b32 v18, v18, v20 :: v_dual_cndmask_b32 v17, v23, v17
	s_delay_alu instid0(VALU_DEP_1) | instskip(SKIP_1) | instid1(SALU_CYCLE_1)
	v_cmp_ge_i32_e32 vcc_lo, v17, v18
	s_or_b32 s1, vcc_lo, s1
	s_and_not1_b32 exec_lo, exec_lo, s1
	s_cbranch_execnz .LBB33_36
; %bb.37:
	s_or_b32 exec_lo, exec_lo, s1
.LBB33_38:
	s_delay_alu instid0(SALU_CYCLE_1) | instskip(SKIP_3) | instid1(VALU_DEP_3)
	s_or_b32 exec_lo, exec_lo, s0
	v_add_nc_u32_e32 v14, v13, v14
	v_lshl_add_u32 v21, v17, 2, v15
	v_add_nc_u32_e32 v20, v17, v16
                                        ; implicit-def: $vgpr16
	v_sub_nc_u32_e32 v18, v14, v17
                                        ; implicit-def: $vgpr17
	s_delay_alu instid0(VALU_DEP_2) | instskip(NEXT) | instid1(VALU_DEP_2)
	v_cmp_le_i32_e32 vcc_lo, v13, v20
	v_lshl_add_u32 v19, v18, 2, v0
	v_cmp_gt_i32_e64 s1, v12, v18
	ds_load_b32 v14, v21
	ds_load_b32 v15, v19
	s_waitcnt lgkmcnt(0)
	v_cmp_lt_i32_e64 s0, v15, v14
	s_delay_alu instid0(VALU_DEP_1) | instskip(NEXT) | instid1(SALU_CYCLE_1)
	s_or_b32 s0, vcc_lo, s0
	s_and_b32 vcc_lo, s1, s0
	s_delay_alu instid0(SALU_CYCLE_1) | instskip(NEXT) | instid1(SALU_CYCLE_1)
	s_xor_b32 s0, vcc_lo, -1
	s_and_saveexec_b32 s1, s0
	s_delay_alu instid0(SALU_CYCLE_1)
	s_xor_b32 s0, exec_lo, s1
	s_cbranch_execz .LBB33_40
; %bb.39:
	ds_load_b32 v17, v21 offset:4
	v_mov_b32_e32 v16, v15
                                        ; implicit-def: $vgpr19
.LBB33_40:
	s_and_not1_saveexec_b32 s0, s0
	s_cbranch_execz .LBB33_42
; %bb.41:
	ds_load_b32 v16, v19 offset:4
	s_waitcnt lgkmcnt(1)
	v_mov_b32_e32 v17, v14
.LBB33_42:
	s_or_b32 exec_lo, exec_lo, s0
	v_add_nc_u32_e32 v19, 1, v20
	v_add_nc_u32_e32 v21, 1, v18
	s_waitcnt lgkmcnt(0)
	v_cmp_lt_i32_e64 s1, v16, v17
	s_delay_alu instid0(VALU_DEP_2) | instskip(NEXT) | instid1(VALU_DEP_1)
	v_dual_cndmask_b32 v22, v19, v20 :: v_dual_cndmask_b32 v23, v18, v21
                                        ; implicit-def: $vgpr19
	v_cmp_ge_i32_e64 s0, v22, v13
	s_delay_alu instid0(VALU_DEP_2) | instskip(NEXT) | instid1(VALU_DEP_2)
	v_cmp_lt_i32_e64 s2, v23, v12
	s_or_b32 s0, s0, s1
	s_delay_alu instid0(VALU_DEP_1) | instid1(SALU_CYCLE_1)
	s_and_b32 s0, s2, s0
	s_delay_alu instid0(SALU_CYCLE_1) | instskip(NEXT) | instid1(SALU_CYCLE_1)
	s_xor_b32 s1, s0, -1
	s_and_saveexec_b32 s2, s1
	s_delay_alu instid0(SALU_CYCLE_1)
	s_xor_b32 s1, exec_lo, s2
	s_cbranch_execz .LBB33_44
; %bb.43:
	v_lshl_add_u32 v19, v22, 2, v0
	ds_load_b32 v19, v19 offset:4
.LBB33_44:
	s_or_saveexec_b32 s1, s1
	v_mov_b32_e32 v21, v16
	s_xor_b32 exec_lo, exec_lo, s1
	s_cbranch_execz .LBB33_46
; %bb.45:
	s_waitcnt lgkmcnt(0)
	v_lshl_add_u32 v19, v23, 2, v0
	ds_load_b32 v21, v19 offset:4
	v_mov_b32_e32 v19, v17
.LBB33_46:
	s_or_b32 exec_lo, exec_lo, s1
	v_add_nc_u32_e32 v24, 1, v22
	v_add_nc_u32_e32 v25, 1, v23
	s_waitcnt lgkmcnt(0)
	v_cmp_lt_i32_e64 s2, v21, v19
                                        ; implicit-def: $vgpr26
	s_delay_alu instid0(VALU_DEP_3) | instskip(NEXT) | instid1(VALU_DEP_3)
	v_cndmask_b32_e64 v24, v24, v22, s0
	v_cndmask_b32_e64 v25, v23, v25, s0
	s_delay_alu instid0(VALU_DEP_2) | instskip(NEXT) | instid1(VALU_DEP_2)
	v_cmp_ge_i32_e64 s1, v24, v13
	v_cmp_lt_i32_e64 s3, v25, v12
	s_delay_alu instid0(VALU_DEP_2)
	s_or_b32 s1, s1, s2
	s_delay_alu instid0(VALU_DEP_1) | instid1(SALU_CYCLE_1)
	s_and_b32 s1, s3, s1
	s_delay_alu instid0(SALU_CYCLE_1) | instskip(NEXT) | instid1(SALU_CYCLE_1)
	s_xor_b32 s2, s1, -1
	s_and_saveexec_b32 s3, s2
	s_delay_alu instid0(SALU_CYCLE_1)
	s_xor_b32 s2, exec_lo, s3
	s_cbranch_execz .LBB33_48
; %bb.47:
	v_lshl_add_u32 v26, v24, 2, v0
	ds_load_b32 v26, v26 offset:4
.LBB33_48:
	s_or_saveexec_b32 s2, s2
	v_mov_b32_e32 v27, v21
	s_xor_b32 exec_lo, exec_lo, s2
	s_cbranch_execz .LBB33_50
; %bb.49:
	s_waitcnt lgkmcnt(0)
	v_lshl_add_u32 v26, v25, 2, v0
	ds_load_b32 v27, v26 offset:4
	v_mov_b32_e32 v26, v19
.LBB33_50:
	s_or_b32 exec_lo, exec_lo, s2
	v_add_nc_u32_e32 v28, 1, v24
	v_add_nc_u32_e32 v29, 1, v25
	s_waitcnt lgkmcnt(0)
	v_cmp_lt_i32_e64 s3, v27, v26
                                        ; implicit-def: $vgpr30
	s_delay_alu instid0(VALU_DEP_3) | instskip(NEXT) | instid1(VALU_DEP_3)
	v_cndmask_b32_e64 v28, v28, v24, s1
	v_cndmask_b32_e64 v29, v25, v29, s1
	s_delay_alu instid0(VALU_DEP_2) | instskip(NEXT) | instid1(VALU_DEP_2)
	v_cmp_ge_i32_e64 s2, v28, v13
	v_cmp_lt_i32_e64 s4, v29, v12
	s_delay_alu instid0(VALU_DEP_2)
	s_or_b32 s2, s2, s3
	s_delay_alu instid0(VALU_DEP_1) | instid1(SALU_CYCLE_1)
	s_and_b32 s2, s4, s2
	s_delay_alu instid0(SALU_CYCLE_1) | instskip(NEXT) | instid1(SALU_CYCLE_1)
	s_xor_b32 s3, s2, -1
	s_and_saveexec_b32 s4, s3
	s_delay_alu instid0(SALU_CYCLE_1)
	s_xor_b32 s3, exec_lo, s4
	s_cbranch_execz .LBB33_52
; %bb.51:
	v_lshl_add_u32 v30, v28, 2, v0
	ds_load_b32 v30, v30 offset:4
.LBB33_52:
	s_or_saveexec_b32 s3, s3
	v_mov_b32_e32 v31, v27
	s_xor_b32 exec_lo, exec_lo, s3
	s_cbranch_execz .LBB33_54
; %bb.53:
	s_waitcnt lgkmcnt(0)
	v_lshl_add_u32 v30, v29, 2, v0
	ds_load_b32 v31, v30 offset:4
	v_mov_b32_e32 v30, v26
.LBB33_54:
	s_or_b32 exec_lo, exec_lo, s3
	v_add_nc_u32_e32 v32, 1, v28
	v_add_nc_u32_e32 v33, 1, v29
	s_waitcnt lgkmcnt(0)
	v_cmp_lt_i32_e64 s4, v31, v30
                                        ; implicit-def: $vgpr34
	s_delay_alu instid0(VALU_DEP_3) | instskip(NEXT) | instid1(VALU_DEP_3)
	v_cndmask_b32_e64 v32, v32, v28, s2
	v_cndmask_b32_e64 v33, v29, v33, s2
	s_delay_alu instid0(VALU_DEP_2) | instskip(NEXT) | instid1(VALU_DEP_2)
	v_cmp_ge_i32_e64 s3, v32, v13
	v_cmp_lt_i32_e64 s5, v33, v12
	s_delay_alu instid0(VALU_DEP_2)
	s_or_b32 s3, s3, s4
	s_delay_alu instid0(VALU_DEP_1) | instid1(SALU_CYCLE_1)
	s_and_b32 s3, s5, s3
	s_delay_alu instid0(SALU_CYCLE_1) | instskip(NEXT) | instid1(SALU_CYCLE_1)
	s_xor_b32 s4, s3, -1
	s_and_saveexec_b32 s5, s4
	s_delay_alu instid0(SALU_CYCLE_1)
	s_xor_b32 s4, exec_lo, s5
	s_cbranch_execz .LBB33_56
; %bb.55:
	v_lshl_add_u32 v34, v32, 2, v0
	ds_load_b32 v34, v34 offset:4
.LBB33_56:
	s_or_saveexec_b32 s4, s4
	v_mov_b32_e32 v35, v31
	s_xor_b32 exec_lo, exec_lo, s4
	s_cbranch_execz .LBB33_58
; %bb.57:
	s_waitcnt lgkmcnt(0)
	v_lshl_add_u32 v34, v33, 2, v0
	ds_load_b32 v35, v34 offset:4
	v_mov_b32_e32 v34, v30
.LBB33_58:
	s_or_b32 exec_lo, exec_lo, s4
	v_add_nc_u32_e32 v36, 1, v32
	v_add_nc_u32_e32 v37, 1, v33
	s_waitcnt lgkmcnt(0)
	v_cmp_lt_i32_e64 s5, v35, v34
                                        ; implicit-def: $vgpr38
	s_delay_alu instid0(VALU_DEP_3) | instskip(NEXT) | instid1(VALU_DEP_3)
	v_cndmask_b32_e64 v36, v36, v32, s3
	v_cndmask_b32_e64 v37, v33, v37, s3
	s_delay_alu instid0(VALU_DEP_2) | instskip(NEXT) | instid1(VALU_DEP_2)
	v_cmp_ge_i32_e64 s4, v36, v13
	v_cmp_lt_i32_e64 s6, v37, v12
	s_delay_alu instid0(VALU_DEP_2)
	s_or_b32 s4, s4, s5
	s_delay_alu instid0(VALU_DEP_1) | instid1(SALU_CYCLE_1)
	s_and_b32 s4, s6, s4
	s_delay_alu instid0(SALU_CYCLE_1) | instskip(NEXT) | instid1(SALU_CYCLE_1)
	s_xor_b32 s5, s4, -1
	s_and_saveexec_b32 s6, s5
	s_delay_alu instid0(SALU_CYCLE_1)
	s_xor_b32 s5, exec_lo, s6
	s_cbranch_execz .LBB33_60
; %bb.59:
	v_lshl_add_u32 v38, v36, 2, v0
	ds_load_b32 v38, v38 offset:4
.LBB33_60:
	s_or_saveexec_b32 s5, s5
	v_mov_b32_e32 v39, v35
	s_xor_b32 exec_lo, exec_lo, s5
	s_cbranch_execz .LBB33_62
; %bb.61:
	s_waitcnt lgkmcnt(0)
	v_lshl_add_u32 v38, v37, 2, v0
	ds_load_b32 v39, v38 offset:4
	v_mov_b32_e32 v38, v34
.LBB33_62:
	s_or_b32 exec_lo, exec_lo, s5
	v_add_nc_u32_e32 v40, 1, v36
	v_add_nc_u32_e32 v42, 1, v37
	s_waitcnt lgkmcnt(0)
	v_cmp_lt_i32_e64 s6, v39, v38
	s_delay_alu instid0(VALU_DEP_3) | instskip(NEXT) | instid1(VALU_DEP_3)
	v_cndmask_b32_e64 v41, v40, v36, s4
	v_cndmask_b32_e64 v42, v37, v42, s4
                                        ; implicit-def: $vgpr40
	s_delay_alu instid0(VALU_DEP_2) | instskip(NEXT) | instid1(VALU_DEP_2)
	v_cmp_ge_i32_e64 s5, v41, v13
	v_cmp_lt_i32_e64 s7, v42, v12
	s_delay_alu instid0(VALU_DEP_2)
	s_or_b32 s5, s5, s6
	s_delay_alu instid0(VALU_DEP_1) | instid1(SALU_CYCLE_1)
	s_and_b32 s5, s7, s5
	s_delay_alu instid0(SALU_CYCLE_1) | instskip(NEXT) | instid1(SALU_CYCLE_1)
	s_xor_b32 s6, s5, -1
	s_and_saveexec_b32 s7, s6
	s_delay_alu instid0(SALU_CYCLE_1)
	s_xor_b32 s6, exec_lo, s7
	s_cbranch_execz .LBB33_64
; %bb.63:
	v_lshl_add_u32 v40, v41, 2, v0
	ds_load_b32 v40, v40 offset:4
.LBB33_64:
	s_or_saveexec_b32 s6, s6
	v_mov_b32_e32 v43, v39
	s_xor_b32 exec_lo, exec_lo, s6
	s_cbranch_execz .LBB33_66
; %bb.65:
	s_waitcnt lgkmcnt(0)
	v_lshl_add_u32 v40, v42, 2, v0
	ds_load_b32 v43, v40 offset:4
	v_mov_b32_e32 v40, v38
.LBB33_66:
	s_or_b32 exec_lo, exec_lo, s6
	v_dual_cndmask_b32 v18, v20, v18 :: v_dual_add_nc_u32 v45, 1, v41
	v_dual_cndmask_b32 v15, v14, v15 :: v_dual_add_nc_u32 v44, 1, v42
	v_cndmask_b32_e64 v38, v38, v39, s5
	v_cndmask_b32_e64 v39, v41, v42, s5
	s_delay_alu instid0(VALU_DEP_4) | instskip(NEXT) | instid1(VALU_DEP_4)
	v_cndmask_b32_e64 v41, v45, v41, s5
	v_cndmask_b32_e64 v42, v42, v44, s5
	;; [unrolled: 1-line block ×6, first 2 shown]
	v_cmp_ge_i32_e64 s3, v41, v13
	s_waitcnt lgkmcnt(0)
	v_cmp_lt_i32_e64 s4, v43, v40
	v_cndmask_b32_e64 v26, v26, v27, s2
	v_cndmask_b32_e64 v13, v28, v29, s2
	v_cmp_lt_i32_e64 s2, v42, v12
	v_cndmask_b32_e64 v22, v22, v23, s0
	s_or_b32 s3, s3, s4
	v_cndmask_b32_e64 v12, v24, v25, s1
	s_delay_alu instid0(VALU_DEP_3) | instskip(NEXT) | instid1(SALU_CYCLE_1)
	s_and_b32 s2, s2, s3
	; wave barrier
	v_cndmask_b32_e64 v24, v41, v42, s2
	ds_store_2addr_b32 v2, v4, v5 offset1:1
	ds_store_2addr_b32 v2, v6, v7 offset0:2 offset1:3
	ds_store_2addr_b32 v2, v8, v9 offset0:4 offset1:5
	;; [unrolled: 1-line block ×3, first 2 shown]
	v_lshl_add_u32 v4, v18, 2, v0
	v_lshl_add_u32 v5, v22, 2, v0
	;; [unrolled: 1-line block ×8, first 2 shown]
	; wave barrier
	ds_load_b32 v4, v4
	ds_load_b32 v5, v5
	;; [unrolled: 1-line block ×8, first 2 shown]
	v_and_b32_e32 v20, 0xc0, v3
	v_and_b32_e32 v18, 56, v3
	v_cndmask_b32_e64 v19, v19, v21, s1
	v_cndmask_b32_e64 v21, v17, v16, s0
	;; [unrolled: 1-line block ×3, first 2 shown]
	v_or_b32_e32 v13, 32, v20
	v_add_nc_u32_e32 v12, 64, v20
	v_lshl_add_u32 v14, v20, 2, v0
	s_mov_b32 s1, 0
	s_delay_alu instid0(VALU_DEP_3) | instskip(NEXT) | instid1(VALU_DEP_3)
	v_sub_nc_u32_e32 v25, v13, v20
	v_sub_nc_u32_e32 v22, v12, v13
	; wave barrier
	ds_store_2addr_b32 v2, v15, v21 offset1:1
	ds_store_2addr_b32 v2, v19, v26 offset0:2 offset1:3
	ds_store_2addr_b32 v2, v30, v34 offset0:4 offset1:5
	;; [unrolled: 1-line block ×3, first 2 shown]
	v_min_i32_e32 v17, v18, v25
	v_sub_nc_u32_e32 v24, v18, v22
	v_cmp_ge_i32_e64 s0, v18, v22
	; wave barrier
	s_delay_alu instid0(VALU_DEP_1) | instskip(SKIP_1) | instid1(VALU_DEP_1)
	v_cndmask_b32_e64 v16, 0, v24, s0
	s_mov_b32 s0, exec_lo
	v_cmpx_lt_i32_e64 v16, v17
	s_cbranch_execz .LBB33_70
; %bb.67:
	v_lshlrev_b32_e32 v15, 2, v13
	v_lshlrev_b32_e32 v19, 2, v18
	s_delay_alu instid0(VALU_DEP_1)
	v_add3_u32 v15, v0, v15, v19
	.p2align	6
.LBB33_68:                              ; =>This Inner Loop Header: Depth=1
	v_sub_nc_u32_e32 v19, v17, v16
	s_delay_alu instid0(VALU_DEP_1) | instskip(NEXT) | instid1(VALU_DEP_1)
	v_lshrrev_b32_e32 v21, 31, v19
	v_add_nc_u32_e32 v19, v19, v21
	s_delay_alu instid0(VALU_DEP_1) | instskip(NEXT) | instid1(VALU_DEP_1)
	v_ashrrev_i32_e32 v19, 1, v19
	v_add_nc_u32_e32 v19, v19, v16
	s_delay_alu instid0(VALU_DEP_1) | instskip(SKIP_2) | instid1(VALU_DEP_3)
	v_not_b32_e32 v21, v19
	v_lshl_add_u32 v22, v19, 2, v14
	v_add_nc_u32_e32 v23, 1, v19
	v_lshl_add_u32 v21, v21, 2, v15
	ds_load_b32 v22, v22
	ds_load_b32 v21, v21
	s_waitcnt lgkmcnt(0)
	v_cmp_lt_i32_e32 vcc_lo, v21, v22
	v_dual_cndmask_b32 v17, v17, v19 :: v_dual_cndmask_b32 v16, v23, v16
	s_delay_alu instid0(VALU_DEP_1) | instskip(SKIP_1) | instid1(SALU_CYCLE_1)
	v_cmp_ge_i32_e32 vcc_lo, v16, v17
	s_or_b32 s1, vcc_lo, s1
	s_and_not1_b32 exec_lo, exec_lo, s1
	s_cbranch_execnz .LBB33_68
; %bb.69:
	s_or_b32 exec_lo, exec_lo, s1
.LBB33_70:
	s_delay_alu instid0(SALU_CYCLE_1) | instskip(SKIP_3) | instid1(VALU_DEP_3)
	s_or_b32 exec_lo, exec_lo, s0
	v_add_nc_u32_e32 v15, v13, v18
	v_lshl_add_u32 v21, v16, 2, v14
	v_add_nc_u32_e32 v20, v16, v20
                                        ; implicit-def: $vgpr17
	v_sub_nc_u32_e32 v18, v15, v16
                                        ; implicit-def: $vgpr16
	s_delay_alu instid0(VALU_DEP_2) | instskip(NEXT) | instid1(VALU_DEP_2)
	v_cmp_le_i32_e32 vcc_lo, v13, v20
	v_lshl_add_u32 v19, v18, 2, v0
	v_cmp_gt_i32_e64 s1, v12, v18
	ds_load_b32 v14, v21
	ds_load_b32 v15, v19
	s_waitcnt lgkmcnt(0)
	v_cmp_lt_i32_e64 s0, v15, v14
	s_delay_alu instid0(VALU_DEP_1) | instskip(NEXT) | instid1(SALU_CYCLE_1)
	s_or_b32 s0, vcc_lo, s0
	s_and_b32 vcc_lo, s1, s0
	s_delay_alu instid0(SALU_CYCLE_1) | instskip(NEXT) | instid1(SALU_CYCLE_1)
	s_xor_b32 s0, vcc_lo, -1
	s_and_saveexec_b32 s1, s0
	s_delay_alu instid0(SALU_CYCLE_1)
	s_xor_b32 s0, exec_lo, s1
	s_cbranch_execz .LBB33_72
; %bb.71:
	ds_load_b32 v17, v21 offset:4
	v_mov_b32_e32 v16, v15
                                        ; implicit-def: $vgpr19
.LBB33_72:
	s_and_not1_saveexec_b32 s0, s0
	s_cbranch_execz .LBB33_74
; %bb.73:
	ds_load_b32 v16, v19 offset:4
	s_waitcnt lgkmcnt(1)
	v_mov_b32_e32 v17, v14
.LBB33_74:
	s_or_b32 exec_lo, exec_lo, s0
	v_add_nc_u32_e32 v19, 1, v20
	v_add_nc_u32_e32 v21, 1, v18
	s_waitcnt lgkmcnt(0)
	v_cmp_lt_i32_e64 s1, v16, v17
	s_delay_alu instid0(VALU_DEP_2) | instskip(NEXT) | instid1(VALU_DEP_1)
	v_dual_cndmask_b32 v22, v19, v20 :: v_dual_cndmask_b32 v23, v18, v21
                                        ; implicit-def: $vgpr19
	v_cmp_ge_i32_e64 s0, v22, v13
	s_delay_alu instid0(VALU_DEP_2) | instskip(NEXT) | instid1(VALU_DEP_2)
	v_cmp_lt_i32_e64 s2, v23, v12
	s_or_b32 s0, s0, s1
	s_delay_alu instid0(VALU_DEP_1) | instid1(SALU_CYCLE_1)
	s_and_b32 s0, s2, s0
	s_delay_alu instid0(SALU_CYCLE_1) | instskip(NEXT) | instid1(SALU_CYCLE_1)
	s_xor_b32 s1, s0, -1
	s_and_saveexec_b32 s2, s1
	s_delay_alu instid0(SALU_CYCLE_1)
	s_xor_b32 s1, exec_lo, s2
	s_cbranch_execz .LBB33_76
; %bb.75:
	v_lshl_add_u32 v19, v22, 2, v0
	ds_load_b32 v19, v19 offset:4
.LBB33_76:
	s_or_saveexec_b32 s1, s1
	v_mov_b32_e32 v21, v16
	s_xor_b32 exec_lo, exec_lo, s1
	s_cbranch_execz .LBB33_78
; %bb.77:
	s_waitcnt lgkmcnt(0)
	v_lshl_add_u32 v19, v23, 2, v0
	ds_load_b32 v21, v19 offset:4
	v_mov_b32_e32 v19, v17
.LBB33_78:
	s_or_b32 exec_lo, exec_lo, s1
	v_add_nc_u32_e32 v24, 1, v22
	v_add_nc_u32_e32 v25, 1, v23
	s_waitcnt lgkmcnt(0)
	v_cmp_lt_i32_e64 s2, v21, v19
                                        ; implicit-def: $vgpr26
	s_delay_alu instid0(VALU_DEP_3) | instskip(NEXT) | instid1(VALU_DEP_3)
	v_cndmask_b32_e64 v24, v24, v22, s0
	v_cndmask_b32_e64 v25, v23, v25, s0
	s_delay_alu instid0(VALU_DEP_2) | instskip(NEXT) | instid1(VALU_DEP_2)
	v_cmp_ge_i32_e64 s1, v24, v13
	v_cmp_lt_i32_e64 s3, v25, v12
	s_delay_alu instid0(VALU_DEP_2)
	s_or_b32 s1, s1, s2
	s_delay_alu instid0(VALU_DEP_1) | instid1(SALU_CYCLE_1)
	s_and_b32 s1, s3, s1
	s_delay_alu instid0(SALU_CYCLE_1) | instskip(NEXT) | instid1(SALU_CYCLE_1)
	s_xor_b32 s2, s1, -1
	s_and_saveexec_b32 s3, s2
	s_delay_alu instid0(SALU_CYCLE_1)
	s_xor_b32 s2, exec_lo, s3
	s_cbranch_execz .LBB33_80
; %bb.79:
	v_lshl_add_u32 v26, v24, 2, v0
	ds_load_b32 v26, v26 offset:4
.LBB33_80:
	s_or_saveexec_b32 s2, s2
	v_mov_b32_e32 v27, v21
	s_xor_b32 exec_lo, exec_lo, s2
	s_cbranch_execz .LBB33_82
; %bb.81:
	s_waitcnt lgkmcnt(0)
	v_lshl_add_u32 v26, v25, 2, v0
	ds_load_b32 v27, v26 offset:4
	v_mov_b32_e32 v26, v19
.LBB33_82:
	s_or_b32 exec_lo, exec_lo, s2
	v_add_nc_u32_e32 v28, 1, v24
	v_add_nc_u32_e32 v29, 1, v25
	s_waitcnt lgkmcnt(0)
	v_cmp_lt_i32_e64 s3, v27, v26
                                        ; implicit-def: $vgpr30
	s_delay_alu instid0(VALU_DEP_3) | instskip(NEXT) | instid1(VALU_DEP_3)
	v_cndmask_b32_e64 v28, v28, v24, s1
	v_cndmask_b32_e64 v29, v25, v29, s1
	s_delay_alu instid0(VALU_DEP_2) | instskip(NEXT) | instid1(VALU_DEP_2)
	v_cmp_ge_i32_e64 s2, v28, v13
	v_cmp_lt_i32_e64 s4, v29, v12
	s_delay_alu instid0(VALU_DEP_2)
	s_or_b32 s2, s2, s3
	s_delay_alu instid0(VALU_DEP_1) | instid1(SALU_CYCLE_1)
	s_and_b32 s2, s4, s2
	s_delay_alu instid0(SALU_CYCLE_1) | instskip(NEXT) | instid1(SALU_CYCLE_1)
	s_xor_b32 s3, s2, -1
	s_and_saveexec_b32 s4, s3
	s_delay_alu instid0(SALU_CYCLE_1)
	s_xor_b32 s3, exec_lo, s4
	s_cbranch_execz .LBB33_84
; %bb.83:
	v_lshl_add_u32 v30, v28, 2, v0
	ds_load_b32 v30, v30 offset:4
.LBB33_84:
	s_or_saveexec_b32 s3, s3
	v_mov_b32_e32 v31, v27
	s_xor_b32 exec_lo, exec_lo, s3
	s_cbranch_execz .LBB33_86
; %bb.85:
	s_waitcnt lgkmcnt(0)
	v_lshl_add_u32 v30, v29, 2, v0
	ds_load_b32 v31, v30 offset:4
	v_mov_b32_e32 v30, v26
.LBB33_86:
	s_or_b32 exec_lo, exec_lo, s3
	v_add_nc_u32_e32 v32, 1, v28
	v_add_nc_u32_e32 v33, 1, v29
	s_waitcnt lgkmcnt(0)
	v_cmp_lt_i32_e64 s4, v31, v30
                                        ; implicit-def: $vgpr34
	s_delay_alu instid0(VALU_DEP_3) | instskip(NEXT) | instid1(VALU_DEP_3)
	v_cndmask_b32_e64 v32, v32, v28, s2
	v_cndmask_b32_e64 v33, v29, v33, s2
	s_delay_alu instid0(VALU_DEP_2) | instskip(NEXT) | instid1(VALU_DEP_2)
	v_cmp_ge_i32_e64 s3, v32, v13
	v_cmp_lt_i32_e64 s5, v33, v12
	s_delay_alu instid0(VALU_DEP_2)
	s_or_b32 s3, s3, s4
	s_delay_alu instid0(VALU_DEP_1) | instid1(SALU_CYCLE_1)
	s_and_b32 s3, s5, s3
	s_delay_alu instid0(SALU_CYCLE_1) | instskip(NEXT) | instid1(SALU_CYCLE_1)
	s_xor_b32 s4, s3, -1
	s_and_saveexec_b32 s5, s4
	s_delay_alu instid0(SALU_CYCLE_1)
	s_xor_b32 s4, exec_lo, s5
	s_cbranch_execz .LBB33_88
; %bb.87:
	v_lshl_add_u32 v34, v32, 2, v0
	ds_load_b32 v34, v34 offset:4
.LBB33_88:
	s_or_saveexec_b32 s4, s4
	v_mov_b32_e32 v35, v31
	s_xor_b32 exec_lo, exec_lo, s4
	s_cbranch_execz .LBB33_90
; %bb.89:
	s_waitcnt lgkmcnt(0)
	v_lshl_add_u32 v34, v33, 2, v0
	ds_load_b32 v35, v34 offset:4
	v_mov_b32_e32 v34, v30
.LBB33_90:
	s_or_b32 exec_lo, exec_lo, s4
	v_add_nc_u32_e32 v36, 1, v32
	v_add_nc_u32_e32 v37, 1, v33
	s_waitcnt lgkmcnt(0)
	v_cmp_lt_i32_e64 s5, v35, v34
                                        ; implicit-def: $vgpr38
	s_delay_alu instid0(VALU_DEP_3) | instskip(NEXT) | instid1(VALU_DEP_3)
	v_cndmask_b32_e64 v36, v36, v32, s3
	v_cndmask_b32_e64 v37, v33, v37, s3
	s_delay_alu instid0(VALU_DEP_2) | instskip(NEXT) | instid1(VALU_DEP_2)
	v_cmp_ge_i32_e64 s4, v36, v13
	v_cmp_lt_i32_e64 s6, v37, v12
	s_delay_alu instid0(VALU_DEP_2)
	s_or_b32 s4, s4, s5
	s_delay_alu instid0(VALU_DEP_1) | instid1(SALU_CYCLE_1)
	s_and_b32 s4, s6, s4
	s_delay_alu instid0(SALU_CYCLE_1) | instskip(NEXT) | instid1(SALU_CYCLE_1)
	s_xor_b32 s5, s4, -1
	s_and_saveexec_b32 s6, s5
	s_delay_alu instid0(SALU_CYCLE_1)
	s_xor_b32 s5, exec_lo, s6
	s_cbranch_execz .LBB33_92
; %bb.91:
	v_lshl_add_u32 v38, v36, 2, v0
	ds_load_b32 v38, v38 offset:4
.LBB33_92:
	s_or_saveexec_b32 s5, s5
	v_mov_b32_e32 v39, v35
	s_xor_b32 exec_lo, exec_lo, s5
	s_cbranch_execz .LBB33_94
; %bb.93:
	s_waitcnt lgkmcnt(0)
	v_lshl_add_u32 v38, v37, 2, v0
	ds_load_b32 v39, v38 offset:4
	v_mov_b32_e32 v38, v34
.LBB33_94:
	s_or_b32 exec_lo, exec_lo, s5
	v_add_nc_u32_e32 v40, 1, v36
	v_add_nc_u32_e32 v42, 1, v37
	s_waitcnt lgkmcnt(0)
	v_cmp_lt_i32_e64 s6, v39, v38
	s_delay_alu instid0(VALU_DEP_3) | instskip(NEXT) | instid1(VALU_DEP_3)
	v_cndmask_b32_e64 v41, v40, v36, s4
	v_cndmask_b32_e64 v42, v37, v42, s4
                                        ; implicit-def: $vgpr40
	s_delay_alu instid0(VALU_DEP_2) | instskip(NEXT) | instid1(VALU_DEP_2)
	v_cmp_ge_i32_e64 s5, v41, v13
	v_cmp_lt_i32_e64 s7, v42, v12
	s_delay_alu instid0(VALU_DEP_2)
	s_or_b32 s5, s5, s6
	s_delay_alu instid0(VALU_DEP_1) | instid1(SALU_CYCLE_1)
	s_and_b32 s5, s7, s5
	s_delay_alu instid0(SALU_CYCLE_1) | instskip(NEXT) | instid1(SALU_CYCLE_1)
	s_xor_b32 s6, s5, -1
	s_and_saveexec_b32 s7, s6
	s_delay_alu instid0(SALU_CYCLE_1)
	s_xor_b32 s6, exec_lo, s7
	s_cbranch_execz .LBB33_96
; %bb.95:
	v_lshl_add_u32 v40, v41, 2, v0
	ds_load_b32 v40, v40 offset:4
.LBB33_96:
	s_or_saveexec_b32 s6, s6
	v_mov_b32_e32 v43, v39
	s_xor_b32 exec_lo, exec_lo, s6
	s_cbranch_execz .LBB33_98
; %bb.97:
	s_waitcnt lgkmcnt(0)
	v_lshl_add_u32 v40, v42, 2, v0
	ds_load_b32 v43, v40 offset:4
	v_mov_b32_e32 v40, v38
.LBB33_98:
	s_or_b32 exec_lo, exec_lo, s6
	v_dual_cndmask_b32 v18, v20, v18 :: v_dual_add_nc_u32 v45, 1, v41
	v_dual_cndmask_b32 v15, v14, v15 :: v_dual_add_nc_u32 v44, 1, v42
	v_cndmask_b32_e64 v38, v38, v39, s5
	v_cndmask_b32_e64 v39, v41, v42, s5
	s_delay_alu instid0(VALU_DEP_4) | instskip(NEXT) | instid1(VALU_DEP_4)
	v_cndmask_b32_e64 v41, v45, v41, s5
	v_cndmask_b32_e64 v42, v42, v44, s5
	;; [unrolled: 1-line block ×6, first 2 shown]
	v_cmp_ge_i32_e64 s3, v41, v13
	s_waitcnt lgkmcnt(0)
	v_cmp_lt_i32_e64 s4, v43, v40
	v_cndmask_b32_e64 v26, v26, v27, s2
	v_cndmask_b32_e64 v13, v28, v29, s2
	v_cmp_lt_i32_e64 s2, v42, v12
	v_cndmask_b32_e64 v22, v22, v23, s0
	s_or_b32 s3, s3, s4
	v_cndmask_b32_e64 v12, v24, v25, s1
	s_delay_alu instid0(VALU_DEP_3) | instskip(NEXT) | instid1(SALU_CYCLE_1)
	s_and_b32 s2, s2, s3
	; wave barrier
	v_cndmask_b32_e64 v24, v41, v42, s2
	ds_store_2addr_b32 v2, v4, v5 offset1:1
	ds_store_2addr_b32 v2, v6, v7 offset0:2 offset1:3
	ds_store_2addr_b32 v2, v8, v9 offset0:4 offset1:5
	;; [unrolled: 1-line block ×3, first 2 shown]
	v_lshl_add_u32 v4, v18, 2, v0
	v_lshl_add_u32 v5, v22, 2, v0
	v_lshl_add_u32 v6, v12, 2, v0
	v_lshl_add_u32 v7, v13, 2, v0
	v_lshl_add_u32 v8, v31, 2, v0
	v_lshl_add_u32 v9, v35, 2, v0
	v_lshl_add_u32 v10, v39, 2, v0
	v_lshl_add_u32 v11, v24, 2, v0
	; wave barrier
	ds_load_b32 v4, v4
	ds_load_b32 v5, v5
	;; [unrolled: 1-line block ×8, first 2 shown]
	v_and_b32_e32 v20, 0x80, v3
	v_and_b32_e32 v18, 0x78, v3
	v_cndmask_b32_e64 v19, v19, v21, s1
	v_cndmask_b32_e64 v21, v17, v16, s0
	;; [unrolled: 1-line block ×3, first 2 shown]
	v_or_b32_e32 v13, 64, v20
	v_add_nc_u32_e32 v12, 0x80, v20
	v_lshl_add_u32 v14, v20, 2, v0
	s_mov_b32 s1, 0
	s_delay_alu instid0(VALU_DEP_3) | instskip(NEXT) | instid1(VALU_DEP_3)
	v_sub_nc_u32_e32 v25, v13, v20
	v_sub_nc_u32_e32 v22, v12, v13
	; wave barrier
	ds_store_2addr_b32 v2, v15, v21 offset1:1
	ds_store_2addr_b32 v2, v19, v26 offset0:2 offset1:3
	ds_store_2addr_b32 v2, v30, v34 offset0:4 offset1:5
	;; [unrolled: 1-line block ×3, first 2 shown]
	v_min_i32_e32 v17, v18, v25
	v_sub_nc_u32_e32 v24, v18, v22
	v_cmp_ge_i32_e64 s0, v18, v22
	; wave barrier
	s_delay_alu instid0(VALU_DEP_1) | instskip(SKIP_1) | instid1(VALU_DEP_1)
	v_cndmask_b32_e64 v16, 0, v24, s0
	s_mov_b32 s0, exec_lo
	v_cmpx_lt_i32_e64 v16, v17
	s_cbranch_execz .LBB33_102
; %bb.99:
	v_lshlrev_b32_e32 v15, 2, v13
	v_lshlrev_b32_e32 v19, 2, v18
	s_delay_alu instid0(VALU_DEP_1)
	v_add3_u32 v15, v0, v15, v19
	.p2align	6
.LBB33_100:                             ; =>This Inner Loop Header: Depth=1
	v_sub_nc_u32_e32 v19, v17, v16
	s_delay_alu instid0(VALU_DEP_1) | instskip(NEXT) | instid1(VALU_DEP_1)
	v_lshrrev_b32_e32 v21, 31, v19
	v_add_nc_u32_e32 v19, v19, v21
	s_delay_alu instid0(VALU_DEP_1) | instskip(NEXT) | instid1(VALU_DEP_1)
	v_ashrrev_i32_e32 v19, 1, v19
	v_add_nc_u32_e32 v19, v19, v16
	s_delay_alu instid0(VALU_DEP_1) | instskip(SKIP_2) | instid1(VALU_DEP_3)
	v_not_b32_e32 v21, v19
	v_lshl_add_u32 v22, v19, 2, v14
	v_add_nc_u32_e32 v23, 1, v19
	v_lshl_add_u32 v21, v21, 2, v15
	ds_load_b32 v22, v22
	ds_load_b32 v21, v21
	s_waitcnt lgkmcnt(0)
	v_cmp_lt_i32_e32 vcc_lo, v21, v22
	v_dual_cndmask_b32 v17, v17, v19 :: v_dual_cndmask_b32 v16, v23, v16
	s_delay_alu instid0(VALU_DEP_1) | instskip(SKIP_1) | instid1(SALU_CYCLE_1)
	v_cmp_ge_i32_e32 vcc_lo, v16, v17
	s_or_b32 s1, vcc_lo, s1
	s_and_not1_b32 exec_lo, exec_lo, s1
	s_cbranch_execnz .LBB33_100
; %bb.101:
	s_or_b32 exec_lo, exec_lo, s1
.LBB33_102:
	s_delay_alu instid0(SALU_CYCLE_1) | instskip(SKIP_3) | instid1(VALU_DEP_3)
	s_or_b32 exec_lo, exec_lo, s0
	v_add_nc_u32_e32 v15, v13, v18
	v_lshl_add_u32 v22, v16, 2, v14
	v_add_nc_u32_e32 v19, v16, v20
                                        ; implicit-def: $vgpr17
	v_sub_nc_u32_e32 v18, v15, v16
                                        ; implicit-def: $vgpr16
	s_delay_alu instid0(VALU_DEP_2) | instskip(NEXT) | instid1(VALU_DEP_2)
	v_cmp_le_i32_e32 vcc_lo, v13, v19
	v_lshl_add_u32 v21, v18, 2, v0
	v_cmp_gt_i32_e64 s1, v12, v18
	ds_load_b32 v14, v22
	ds_load_b32 v15, v21
	s_waitcnt lgkmcnt(0)
	v_cmp_lt_i32_e64 s0, v15, v14
	s_delay_alu instid0(VALU_DEP_1) | instskip(NEXT) | instid1(SALU_CYCLE_1)
	s_or_b32 s0, vcc_lo, s0
	s_and_b32 vcc_lo, s1, s0
	s_delay_alu instid0(SALU_CYCLE_1) | instskip(NEXT) | instid1(SALU_CYCLE_1)
	s_xor_b32 s0, vcc_lo, -1
	s_and_saveexec_b32 s1, s0
	s_delay_alu instid0(SALU_CYCLE_1)
	s_xor_b32 s0, exec_lo, s1
	s_cbranch_execz .LBB33_104
; %bb.103:
	ds_load_b32 v17, v22 offset:4
	v_mov_b32_e32 v16, v15
                                        ; implicit-def: $vgpr21
.LBB33_104:
	s_and_not1_saveexec_b32 s0, s0
	s_cbranch_execz .LBB33_106
; %bb.105:
	ds_load_b32 v16, v21 offset:4
	s_waitcnt lgkmcnt(1)
	v_mov_b32_e32 v17, v14
.LBB33_106:
	s_or_b32 exec_lo, exec_lo, s0
	v_add_nc_u32_e32 v21, 1, v18
	v_add_nc_u32_e32 v20, 1, v19
	s_waitcnt lgkmcnt(0)
	v_cmp_lt_i32_e64 s1, v16, v17
	s_delay_alu instid0(VALU_DEP_2) | instskip(NEXT) | instid1(VALU_DEP_1)
	v_dual_cndmask_b32 v23, v18, v21 :: v_dual_cndmask_b32 v22, v20, v19
                                        ; implicit-def: $vgpr20
	v_cmp_lt_i32_e64 s2, v23, v12
	s_delay_alu instid0(VALU_DEP_2) | instskip(NEXT) | instid1(VALU_DEP_1)
	v_cmp_ge_i32_e64 s0, v22, v13
	s_or_b32 s0, s0, s1
	s_delay_alu instid0(VALU_DEP_2) | instid1(SALU_CYCLE_1)
	s_and_b32 s0, s2, s0
	s_delay_alu instid0(SALU_CYCLE_1) | instskip(NEXT) | instid1(SALU_CYCLE_1)
	s_xor_b32 s1, s0, -1
	s_and_saveexec_b32 s2, s1
	s_delay_alu instid0(SALU_CYCLE_1)
	s_xor_b32 s1, exec_lo, s2
	s_cbranch_execz .LBB33_108
; %bb.107:
	v_lshl_add_u32 v20, v22, 2, v0
	ds_load_b32 v20, v20 offset:4
.LBB33_108:
	s_or_saveexec_b32 s1, s1
	v_mov_b32_e32 v21, v16
	s_xor_b32 exec_lo, exec_lo, s1
	s_cbranch_execz .LBB33_110
; %bb.109:
	s_waitcnt lgkmcnt(0)
	v_lshl_add_u32 v20, v23, 2, v0
	ds_load_b32 v21, v20 offset:4
	v_mov_b32_e32 v20, v17
.LBB33_110:
	s_or_b32 exec_lo, exec_lo, s1
	v_add_nc_u32_e32 v24, 1, v22
	v_add_nc_u32_e32 v25, 1, v23
	s_waitcnt lgkmcnt(0)
	v_cmp_lt_i32_e64 s2, v21, v20
	s_delay_alu instid0(VALU_DEP_3) | instskip(NEXT) | instid1(VALU_DEP_3)
	v_cndmask_b32_e64 v26, v24, v22, s0
	v_cndmask_b32_e64 v27, v23, v25, s0
                                        ; implicit-def: $vgpr24
	s_delay_alu instid0(VALU_DEP_2) | instskip(NEXT) | instid1(VALU_DEP_2)
	v_cmp_ge_i32_e64 s1, v26, v13
	v_cmp_lt_i32_e64 s3, v27, v12
	s_delay_alu instid0(VALU_DEP_2)
	s_or_b32 s1, s1, s2
	s_delay_alu instid0(VALU_DEP_1) | instid1(SALU_CYCLE_1)
	s_and_b32 s1, s3, s1
	s_delay_alu instid0(SALU_CYCLE_1) | instskip(NEXT) | instid1(SALU_CYCLE_1)
	s_xor_b32 s2, s1, -1
	s_and_saveexec_b32 s3, s2
	s_delay_alu instid0(SALU_CYCLE_1)
	s_xor_b32 s2, exec_lo, s3
	s_cbranch_execz .LBB33_112
; %bb.111:
	v_lshl_add_u32 v24, v26, 2, v0
	ds_load_b32 v24, v24 offset:4
.LBB33_112:
	s_or_saveexec_b32 s2, s2
	v_mov_b32_e32 v25, v21
	s_xor_b32 exec_lo, exec_lo, s2
	s_cbranch_execz .LBB33_114
; %bb.113:
	s_waitcnt lgkmcnt(0)
	v_lshl_add_u32 v24, v27, 2, v0
	ds_load_b32 v25, v24 offset:4
	v_mov_b32_e32 v24, v20
.LBB33_114:
	s_or_b32 exec_lo, exec_lo, s2
	v_add_nc_u32_e32 v28, 1, v26
	v_add_nc_u32_e32 v29, 1, v27
	s_waitcnt lgkmcnt(0)
	v_cmp_lt_i32_e64 s3, v25, v24
	s_delay_alu instid0(VALU_DEP_3) | instskip(NEXT) | instid1(VALU_DEP_3)
	v_cndmask_b32_e64 v31, v28, v26, s1
	v_cndmask_b32_e64 v32, v27, v29, s1
                                        ; implicit-def: $vgpr28
	s_delay_alu instid0(VALU_DEP_2) | instskip(NEXT) | instid1(VALU_DEP_2)
	v_cmp_ge_i32_e64 s2, v31, v13
	v_cmp_lt_i32_e64 s4, v32, v12
	s_delay_alu instid0(VALU_DEP_2)
	s_or_b32 s2, s2, s3
	s_delay_alu instid0(VALU_DEP_1) | instid1(SALU_CYCLE_1)
	s_and_b32 s2, s4, s2
	s_delay_alu instid0(SALU_CYCLE_1) | instskip(NEXT) | instid1(SALU_CYCLE_1)
	s_xor_b32 s3, s2, -1
	s_and_saveexec_b32 s4, s3
	s_delay_alu instid0(SALU_CYCLE_1)
	s_xor_b32 s3, exec_lo, s4
	s_cbranch_execz .LBB33_116
; %bb.115:
	v_lshl_add_u32 v28, v31, 2, v0
	ds_load_b32 v28, v28 offset:4
.LBB33_116:
	s_or_saveexec_b32 s3, s3
	v_mov_b32_e32 v29, v25
	s_xor_b32 exec_lo, exec_lo, s3
	s_cbranch_execz .LBB33_118
; %bb.117:
	s_waitcnt lgkmcnt(0)
	v_lshl_add_u32 v28, v32, 2, v0
	ds_load_b32 v29, v28 offset:4
	v_mov_b32_e32 v28, v24
.LBB33_118:
	s_or_b32 exec_lo, exec_lo, s3
	v_add_nc_u32_e32 v30, 1, v31
	v_add_nc_u32_e32 v33, 1, v32
	s_waitcnt lgkmcnt(0)
	v_cmp_lt_i32_e64 s4, v29, v28
	s_delay_alu instid0(VALU_DEP_3) | instskip(NEXT) | instid1(VALU_DEP_3)
	v_cndmask_b32_e64 v34, v30, v31, s2
	v_cndmask_b32_e64 v35, v32, v33, s2
                                        ; implicit-def: $vgpr30
	s_delay_alu instid0(VALU_DEP_2) | instskip(NEXT) | instid1(VALU_DEP_2)
	v_cmp_ge_i32_e64 s3, v34, v13
	v_cmp_lt_i32_e64 s5, v35, v12
	s_delay_alu instid0(VALU_DEP_2)
	s_or_b32 s3, s3, s4
	s_delay_alu instid0(VALU_DEP_1) | instid1(SALU_CYCLE_1)
	s_and_b32 s3, s5, s3
	s_delay_alu instid0(SALU_CYCLE_1) | instskip(NEXT) | instid1(SALU_CYCLE_1)
	s_xor_b32 s4, s3, -1
	s_and_saveexec_b32 s5, s4
	s_delay_alu instid0(SALU_CYCLE_1)
	s_xor_b32 s4, exec_lo, s5
	s_cbranch_execz .LBB33_120
; %bb.119:
	v_lshl_add_u32 v30, v34, 2, v0
	ds_load_b32 v30, v30 offset:4
.LBB33_120:
	s_or_saveexec_b32 s4, s4
	v_mov_b32_e32 v33, v29
	s_xor_b32 exec_lo, exec_lo, s4
	s_cbranch_execz .LBB33_122
; %bb.121:
	s_waitcnt lgkmcnt(0)
	v_lshl_add_u32 v30, v35, 2, v0
	ds_load_b32 v33, v30 offset:4
	v_mov_b32_e32 v30, v28
.LBB33_122:
	s_or_b32 exec_lo, exec_lo, s4
	v_add_nc_u32_e32 v36, 1, v34
	v_add_nc_u32_e32 v37, 1, v35
	s_waitcnt lgkmcnt(0)
	v_cmp_lt_i32_e64 s5, v33, v30
                                        ; implicit-def: $vgpr38
	s_delay_alu instid0(VALU_DEP_3) | instskip(NEXT) | instid1(VALU_DEP_3)
	v_cndmask_b32_e64 v36, v36, v34, s3
	v_cndmask_b32_e64 v37, v35, v37, s3
	s_delay_alu instid0(VALU_DEP_2) | instskip(NEXT) | instid1(VALU_DEP_2)
	v_cmp_ge_i32_e64 s4, v36, v13
	v_cmp_lt_i32_e64 s6, v37, v12
	s_delay_alu instid0(VALU_DEP_2)
	s_or_b32 s4, s4, s5
	s_delay_alu instid0(VALU_DEP_1) | instid1(SALU_CYCLE_1)
	s_and_b32 s4, s6, s4
	s_delay_alu instid0(SALU_CYCLE_1) | instskip(NEXT) | instid1(SALU_CYCLE_1)
	s_xor_b32 s5, s4, -1
	s_and_saveexec_b32 s6, s5
	s_delay_alu instid0(SALU_CYCLE_1)
	s_xor_b32 s5, exec_lo, s6
	s_cbranch_execz .LBB33_124
; %bb.123:
	v_lshl_add_u32 v38, v36, 2, v0
	ds_load_b32 v38, v38 offset:4
.LBB33_124:
	s_or_saveexec_b32 s5, s5
	v_mov_b32_e32 v40, v33
	s_xor_b32 exec_lo, exec_lo, s5
	s_cbranch_execz .LBB33_126
; %bb.125:
	s_waitcnt lgkmcnt(0)
	v_lshl_add_u32 v38, v37, 2, v0
	ds_load_b32 v40, v38 offset:4
	v_mov_b32_e32 v38, v30
.LBB33_126:
	s_or_b32 exec_lo, exec_lo, s5
	v_add_nc_u32_e32 v39, 1, v36
	v_add_nc_u32_e32 v41, 1, v37
	s_waitcnt lgkmcnt(0)
	v_cmp_lt_i32_e64 s6, v40, v38
	s_delay_alu instid0(VALU_DEP_3) | instskip(NEXT) | instid1(VALU_DEP_3)
	v_cndmask_b32_e64 v42, v39, v36, s4
	v_cndmask_b32_e64 v41, v37, v41, s4
                                        ; implicit-def: $vgpr39
	s_delay_alu instid0(VALU_DEP_2) | instskip(NEXT) | instid1(VALU_DEP_2)
	v_cmp_ge_i32_e64 s5, v42, v13
	v_cmp_lt_i32_e64 s7, v41, v12
	s_delay_alu instid0(VALU_DEP_2)
	s_or_b32 s5, s5, s6
	s_delay_alu instid0(VALU_DEP_1) | instid1(SALU_CYCLE_1)
	s_and_b32 s5, s7, s5
	s_delay_alu instid0(SALU_CYCLE_1) | instskip(NEXT) | instid1(SALU_CYCLE_1)
	s_xor_b32 s6, s5, -1
	s_and_saveexec_b32 s7, s6
	s_delay_alu instid0(SALU_CYCLE_1)
	s_xor_b32 s6, exec_lo, s7
	s_cbranch_execz .LBB33_128
; %bb.127:
	v_lshl_add_u32 v39, v42, 2, v0
	ds_load_b32 v39, v39 offset:4
.LBB33_128:
	s_or_saveexec_b32 s6, s6
	v_mov_b32_e32 v43, v40
	s_xor_b32 exec_lo, exec_lo, s6
	s_cbranch_execz .LBB33_130
; %bb.129:
	s_waitcnt lgkmcnt(0)
	v_lshl_add_u32 v39, v41, 2, v0
	ds_load_b32 v43, v39 offset:4
	v_mov_b32_e32 v39, v38
.LBB33_130:
	s_or_b32 exec_lo, exec_lo, s6
	v_cndmask_b32_e64 v38, v38, v40, s5
	v_add_nc_u32_e32 v40, 1, v41
	v_add_nc_u32_e32 v44, 1, v42
	v_cndmask_b32_e64 v34, v34, v35, s3
	v_cndmask_b32_e64 v36, v36, v37, s4
	;; [unrolled: 1-line block ×5, first 2 shown]
	s_waitcnt lgkmcnt(0)
	v_cmp_lt_i32_e64 s5, v43, v39
	; wave barrier
	s_delay_alu instid0(VALU_DEP_3)
	v_cmp_lt_i32_e64 s7, v35, v12
	v_cndmask_b32_e64 v12, v22, v23, s0
	v_cmp_ge_i32_e64 s6, v37, v13
	ds_store_2addr_b32 v2, v4, v5 offset1:1
	ds_store_2addr_b32 v2, v6, v7 offset0:2 offset1:3
	ds_store_2addr_b32 v2, v8, v9 offset0:4 offset1:5
	;; [unrolled: 1-line block ×3, first 2 shown]
	v_cndmask_b32_e64 v13, v26, v27, s1
	v_cndmask_b32_e64 v31, v31, v32, s2
	v_lshl_add_u32 v5, v12, 2, v0
	v_and_b32_e32 v12, 0xf8, v3
	v_cndmask_b32_e32 v18, v19, v18, vcc_lo
	s_or_b32 s5, s6, s5
	v_lshl_add_u32 v6, v13, 2, v0
	s_and_b32 s5, s7, s5
	v_lshl_add_u32 v7, v31, 2, v0
	v_cndmask_b32_e64 v22, v37, v35, s5
	v_lshl_add_u32 v4, v18, 2, v0
	v_lshl_add_u32 v8, v34, 2, v0
	v_lshl_add_u32 v9, v36, 2, v0
	v_lshl_add_u32 v10, v45, 2, v0
	; wave barrier
	v_lshl_add_u32 v11, v22, 2, v0
	ds_load_b32 v3, v4
	ds_load_b32 v4, v5
	;; [unrolled: 1-line block ×8, first 2 shown]
	v_add_nc_u32_e32 v11, 0xffffff80, v12
	v_cndmask_b32_e64 v16, v17, v16, s0
	v_cmp_lt_i32_e64 s0, 0x7f, v12
	v_min_i32_e32 v13, 0x80, v12
	v_cndmask_b32_e32 v14, v14, v15, vcc_lo
	v_cndmask_b32_e64 v23, v24, v25, s2
	v_cndmask_b32_e64 v15, v20, v21, s1
	;; [unrolled: 1-line block ×6, first 2 shown]
	s_mov_b32 s0, exec_lo
	; wave barrier
	ds_store_2addr_b32 v2, v14, v16 offset1:1
	ds_store_2addr_b32 v2, v15, v23 offset0:2 offset1:3
	ds_store_2addr_b32 v2, v22, v18 offset0:4 offset1:5
	;; [unrolled: 1-line block ×3, first 2 shown]
	; wave barrier
	v_cmpx_lt_i32_e64 v11, v13
	s_cbranch_execz .LBB33_134
; %bb.131:
	v_lshlrev_b32_e32 v14, 2, v12
	s_mov_b32 s1, 0
	s_delay_alu instid0(VALU_DEP_1)
	v_add3_u32 v14, 0x200, v0, v14
	.p2align	6
.LBB33_132:                             ; =>This Inner Loop Header: Depth=1
	v_sub_nc_u32_e32 v15, v13, v11
	s_delay_alu instid0(VALU_DEP_1) | instskip(NEXT) | instid1(VALU_DEP_1)
	v_lshrrev_b32_e32 v16, 31, v15
	v_add_nc_u32_e32 v15, v15, v16
	s_delay_alu instid0(VALU_DEP_1) | instskip(NEXT) | instid1(VALU_DEP_1)
	v_ashrrev_i32_e32 v15, 1, v15
	v_add_nc_u32_e32 v15, v15, v11
	s_delay_alu instid0(VALU_DEP_1) | instskip(SKIP_2) | instid1(VALU_DEP_3)
	v_not_b32_e32 v16, v15
	v_lshl_add_u32 v17, v15, 2, v0
	v_add_nc_u32_e32 v18, 1, v15
	v_lshl_add_u32 v16, v16, 2, v14
	ds_load_b32 v17, v17
	ds_load_b32 v16, v16
	s_waitcnt lgkmcnt(0)
	v_cmp_lt_i32_e32 vcc_lo, v16, v17
	v_cndmask_b32_e32 v13, v13, v15, vcc_lo
	v_cndmask_b32_e32 v11, v18, v11, vcc_lo
	s_delay_alu instid0(VALU_DEP_1) | instskip(SKIP_1) | instid1(SALU_CYCLE_1)
	v_cmp_ge_i32_e32 vcc_lo, v11, v13
	s_or_b32 s1, vcc_lo, s1
	s_and_not1_b32 exec_lo, exec_lo, s1
	s_cbranch_execnz .LBB33_132
; %bb.133:
	s_or_b32 exec_lo, exec_lo, s1
.LBB33_134:
	s_delay_alu instid0(SALU_CYCLE_1) | instskip(SKIP_3) | instid1(VALU_DEP_3)
	s_or_b32 exec_lo, exec_lo, s0
	v_add_nc_u32_e32 v12, 0x80, v12
	v_lshl_add_u32 v18, v11, 2, v0
	v_cmp_le_i32_e32 vcc_lo, 0x80, v11
                                        ; implicit-def: $vgpr14
                                        ; implicit-def: $vgpr15
	v_sub_nc_u32_e32 v16, v12, v11
	s_delay_alu instid0(VALU_DEP_1)
	v_lshl_add_u32 v17, v16, 2, v0
	v_cmp_gt_i32_e64 s1, 0x100, v16
	ds_load_b32 v12, v18
	ds_load_b32 v13, v17
	s_waitcnt lgkmcnt(0)
	v_cmp_lt_i32_e64 s0, v13, v12
	s_delay_alu instid0(VALU_DEP_1) | instskip(NEXT) | instid1(SALU_CYCLE_1)
	s_or_b32 s0, vcc_lo, s0
	s_and_b32 vcc_lo, s1, s0
	s_delay_alu instid0(SALU_CYCLE_1) | instskip(NEXT) | instid1(SALU_CYCLE_1)
	s_xor_b32 s0, vcc_lo, -1
	s_and_saveexec_b32 s1, s0
	s_delay_alu instid0(SALU_CYCLE_1)
	s_xor_b32 s0, exec_lo, s1
	s_cbranch_execz .LBB33_136
; %bb.135:
	ds_load_b32 v15, v18 offset:4
	v_mov_b32_e32 v14, v13
                                        ; implicit-def: $vgpr17
.LBB33_136:
	s_and_not1_saveexec_b32 s0, s0
	s_cbranch_execz .LBB33_138
; %bb.137:
	ds_load_b32 v14, v17 offset:4
	s_waitcnt lgkmcnt(1)
	v_mov_b32_e32 v15, v12
.LBB33_138:
	s_or_b32 exec_lo, exec_lo, s0
	v_add_nc_u32_e32 v18, 1, v16
	v_add_nc_u32_e32 v17, 1, v11
	s_waitcnt lgkmcnt(0)
	v_cmp_lt_i32_e64 s1, v14, v15
	s_delay_alu instid0(VALU_DEP_2) | instskip(NEXT) | instid1(VALU_DEP_1)
	v_dual_cndmask_b32 v20, v16, v18 :: v_dual_cndmask_b32 v19, v17, v11
                                        ; implicit-def: $vgpr17
	v_cmp_gt_i32_e64 s2, 0x100, v20
	s_delay_alu instid0(VALU_DEP_2) | instskip(NEXT) | instid1(VALU_DEP_1)
	v_cmp_le_i32_e64 s0, 0x80, v19
	s_or_b32 s0, s0, s1
	s_delay_alu instid0(VALU_DEP_2) | instid1(SALU_CYCLE_1)
	s_and_b32 s0, s2, s0
	s_delay_alu instid0(SALU_CYCLE_1) | instskip(NEXT) | instid1(SALU_CYCLE_1)
	s_xor_b32 s1, s0, -1
	s_and_saveexec_b32 s2, s1
	s_delay_alu instid0(SALU_CYCLE_1)
	s_xor_b32 s1, exec_lo, s2
	s_cbranch_execz .LBB33_140
; %bb.139:
	v_lshl_add_u32 v17, v19, 2, v0
	ds_load_b32 v17, v17 offset:4
.LBB33_140:
	s_or_saveexec_b32 s1, s1
	v_mov_b32_e32 v18, v14
	s_xor_b32 exec_lo, exec_lo, s1
	s_cbranch_execz .LBB33_142
; %bb.141:
	s_waitcnt lgkmcnt(0)
	v_lshl_add_u32 v17, v20, 2, v0
	ds_load_b32 v18, v17 offset:4
	v_mov_b32_e32 v17, v15
.LBB33_142:
	s_or_b32 exec_lo, exec_lo, s1
	v_add_nc_u32_e32 v21, 1, v19
	v_add_nc_u32_e32 v22, 1, v20
	s_waitcnt lgkmcnt(0)
	v_cmp_lt_i32_e64 s2, v18, v17
	s_delay_alu instid0(VALU_DEP_3) | instskip(NEXT) | instid1(VALU_DEP_3)
	v_cndmask_b32_e64 v23, v21, v19, s0
	v_cndmask_b32_e64 v24, v20, v22, s0
                                        ; implicit-def: $vgpr21
	s_delay_alu instid0(VALU_DEP_2) | instskip(NEXT) | instid1(VALU_DEP_2)
	v_cmp_le_i32_e64 s1, 0x80, v23
	v_cmp_gt_i32_e64 s3, 0x100, v24
	s_delay_alu instid0(VALU_DEP_2)
	s_or_b32 s1, s1, s2
	s_delay_alu instid0(VALU_DEP_1) | instid1(SALU_CYCLE_1)
	s_and_b32 s1, s3, s1
	s_delay_alu instid0(SALU_CYCLE_1) | instskip(NEXT) | instid1(SALU_CYCLE_1)
	s_xor_b32 s2, s1, -1
	s_and_saveexec_b32 s3, s2
	s_delay_alu instid0(SALU_CYCLE_1)
	s_xor_b32 s2, exec_lo, s3
	s_cbranch_execz .LBB33_144
; %bb.143:
	v_lshl_add_u32 v21, v23, 2, v0
	ds_load_b32 v21, v21 offset:4
.LBB33_144:
	s_or_saveexec_b32 s2, s2
	v_mov_b32_e32 v22, v18
	s_xor_b32 exec_lo, exec_lo, s2
	s_cbranch_execz .LBB33_146
; %bb.145:
	s_waitcnt lgkmcnt(0)
	v_lshl_add_u32 v21, v24, 2, v0
	ds_load_b32 v22, v21 offset:4
	v_mov_b32_e32 v21, v17
.LBB33_146:
	s_or_b32 exec_lo, exec_lo, s2
	v_add_nc_u32_e32 v25, 1, v23
	v_add_nc_u32_e32 v26, 1, v24
	s_waitcnt lgkmcnt(0)
	v_cmp_lt_i32_e64 s3, v22, v21
	s_delay_alu instid0(VALU_DEP_3) | instskip(NEXT) | instid1(VALU_DEP_3)
	v_cndmask_b32_e64 v27, v25, v23, s1
	v_cndmask_b32_e64 v28, v24, v26, s1
                                        ; implicit-def: $vgpr25
	s_delay_alu instid0(VALU_DEP_2) | instskip(NEXT) | instid1(VALU_DEP_2)
	v_cmp_le_i32_e64 s2, 0x80, v27
	v_cmp_gt_i32_e64 s4, 0x100, v28
	s_delay_alu instid0(VALU_DEP_2)
	s_or_b32 s2, s2, s3
	s_delay_alu instid0(VALU_DEP_1) | instid1(SALU_CYCLE_1)
	s_and_b32 s2, s4, s2
	s_delay_alu instid0(SALU_CYCLE_1) | instskip(NEXT) | instid1(SALU_CYCLE_1)
	s_xor_b32 s3, s2, -1
	s_and_saveexec_b32 s4, s3
	s_delay_alu instid0(SALU_CYCLE_1)
	s_xor_b32 s3, exec_lo, s4
	s_cbranch_execz .LBB33_148
; %bb.147:
	v_lshl_add_u32 v25, v27, 2, v0
	ds_load_b32 v25, v25 offset:4
.LBB33_148:
	s_or_saveexec_b32 s3, s3
	v_mov_b32_e32 v26, v22
	s_xor_b32 exec_lo, exec_lo, s3
	s_cbranch_execz .LBB33_150
; %bb.149:
	s_waitcnt lgkmcnt(0)
	v_lshl_add_u32 v25, v28, 2, v0
	ds_load_b32 v26, v25 offset:4
	v_mov_b32_e32 v25, v21
.LBB33_150:
	s_or_b32 exec_lo, exec_lo, s3
	v_add_nc_u32_e32 v29, 1, v27
	v_add_nc_u32_e32 v30, 1, v28
	s_waitcnt lgkmcnt(0)
	v_cmp_lt_i32_e64 s4, v26, v25
	s_delay_alu instid0(VALU_DEP_3) | instskip(NEXT) | instid1(VALU_DEP_3)
	v_cndmask_b32_e64 v31, v29, v27, s2
	v_cndmask_b32_e64 v32, v28, v30, s2
                                        ; implicit-def: $vgpr29
	s_delay_alu instid0(VALU_DEP_2) | instskip(NEXT) | instid1(VALU_DEP_2)
	v_cmp_le_i32_e64 s3, 0x80, v31
	v_cmp_gt_i32_e64 s5, 0x100, v32
	s_delay_alu instid0(VALU_DEP_2)
	s_or_b32 s3, s3, s4
	s_delay_alu instid0(VALU_DEP_1) | instid1(SALU_CYCLE_1)
	s_and_b32 s3, s5, s3
	s_delay_alu instid0(SALU_CYCLE_1) | instskip(NEXT) | instid1(SALU_CYCLE_1)
	s_xor_b32 s4, s3, -1
	s_and_saveexec_b32 s5, s4
	s_delay_alu instid0(SALU_CYCLE_1)
	s_xor_b32 s4, exec_lo, s5
	s_cbranch_execz .LBB33_152
; %bb.151:
	v_lshl_add_u32 v29, v31, 2, v0
	ds_load_b32 v29, v29 offset:4
.LBB33_152:
	s_or_saveexec_b32 s4, s4
	v_mov_b32_e32 v30, v26
	s_xor_b32 exec_lo, exec_lo, s4
	s_cbranch_execz .LBB33_154
; %bb.153:
	s_waitcnt lgkmcnt(0)
	v_lshl_add_u32 v29, v32, 2, v0
	ds_load_b32 v30, v29 offset:4
	v_mov_b32_e32 v29, v25
.LBB33_154:
	s_or_b32 exec_lo, exec_lo, s4
	v_add_nc_u32_e32 v33, 1, v31
	v_add_nc_u32_e32 v34, 1, v32
	s_waitcnt lgkmcnt(0)
	v_cmp_lt_i32_e64 s5, v30, v29
                                        ; implicit-def: $vgpr38
	s_delay_alu instid0(VALU_DEP_3) | instskip(NEXT) | instid1(VALU_DEP_3)
	v_cndmask_b32_e64 v33, v33, v31, s3
	v_cndmask_b32_e64 v34, v32, v34, s3
	s_delay_alu instid0(VALU_DEP_2) | instskip(NEXT) | instid1(VALU_DEP_2)
	v_cmp_le_i32_e64 s4, 0x80, v33
	v_cmp_gt_i32_e64 s6, 0x100, v34
	s_delay_alu instid0(VALU_DEP_2)
	s_or_b32 s4, s4, s5
	s_delay_alu instid0(VALU_DEP_1) | instid1(SALU_CYCLE_1)
	s_and_b32 s4, s6, s4
	s_delay_alu instid0(SALU_CYCLE_1) | instskip(NEXT) | instid1(SALU_CYCLE_1)
	s_xor_b32 s5, s4, -1
	s_and_saveexec_b32 s6, s5
	s_delay_alu instid0(SALU_CYCLE_1)
	s_xor_b32 s5, exec_lo, s6
	s_cbranch_execz .LBB33_156
; %bb.155:
	v_lshl_add_u32 v35, v33, 2, v0
	ds_load_b32 v38, v35 offset:4
.LBB33_156:
	s_or_saveexec_b32 s5, s5
	v_mov_b32_e32 v35, v30
	s_xor_b32 exec_lo, exec_lo, s5
	s_cbranch_execz .LBB33_158
; %bb.157:
	v_lshl_add_u32 v35, v34, 2, v0
	s_waitcnt lgkmcnt(0)
	v_mov_b32_e32 v38, v29
	ds_load_b32 v35, v35 offset:4
.LBB33_158:
	s_or_b32 exec_lo, exec_lo, s5
	v_add_nc_u32_e32 v36, 1, v33
	v_add_nc_u32_e32 v37, 1, v34
	s_waitcnt lgkmcnt(0)
	v_cmp_ge_i32_e64 s6, v35, v38
                                        ; implicit-def: $vgpr40
                                        ; implicit-def: $vgpr39
	s_delay_alu instid0(VALU_DEP_3) | instskip(NEXT) | instid1(VALU_DEP_3)
	v_cndmask_b32_e64 v42, v36, v33, s4
	v_cndmask_b32_e64 v37, v34, v37, s4
	s_delay_alu instid0(VALU_DEP_2) | instskip(NEXT) | instid1(VALU_DEP_2)
	v_cmp_gt_i32_e64 s5, 0x80, v42
	v_cmp_le_i32_e64 s7, 0x100, v37
	s_delay_alu instid0(VALU_DEP_2)
	s_and_b32 s5, s5, s6
	s_delay_alu instid0(VALU_DEP_1) | instid1(SALU_CYCLE_1)
	s_or_b32 s5, s7, s5
	s_delay_alu instid0(SALU_CYCLE_1) | instskip(NEXT) | instid1(SALU_CYCLE_1)
	s_and_saveexec_b32 s6, s5
	s_xor_b32 s5, exec_lo, s6
	s_cbranch_execz .LBB33_160
; %bb.159:
	v_lshl_add_u32 v36, v42, 2, v0
	v_add_nc_u32_e32 v39, 1, v42
	ds_load_b32 v40, v36 offset:4
.LBB33_160:
	s_or_saveexec_b32 s5, s5
	v_mov_b32_e32 v36, v38
	v_mov_b32_e32 v41, v42
	s_xor_b32 exec_lo, exec_lo, s5
	s_cbranch_execz .LBB33_162
; %bb.161:
	v_lshl_add_u32 v36, v37, 2, v0
	s_waitcnt lgkmcnt(0)
	v_dual_mov_b32 v41, v37 :: v_dual_add_nc_u32 v40, 1, v37
	v_mov_b32_e32 v39, v42
	ds_load_b32 v43, v36 offset:4
	v_dual_mov_b32 v36, v35 :: v_dual_mov_b32 v37, v40
	s_waitcnt lgkmcnt(0)
	v_dual_mov_b32 v40, v38 :: v_dual_mov_b32 v35, v43
.LBB33_162:
	s_or_b32 exec_lo, exec_lo, s5
	v_cmp_le_i32_e64 s5, 0x80, v39
	s_waitcnt lgkmcnt(0)
	s_delay_alu instid0(VALU_DEP_2)
	v_cmp_lt_i32_e64 s6, v35, v40
	v_cmp_gt_i32_e64 s7, 0x100, v37
	v_cndmask_b32_e32 v11, v11, v16, vcc_lo
	v_cndmask_b32_e64 v19, v19, v20, s0
	v_cndmask_b32_e64 v23, v23, v24, s1
	s_or_b32 s5, s5, s6
	v_cndmask_b32_e64 v27, v27, v28, s2
	s_and_b32 s5, s7, s5
	v_cndmask_b32_e64 v33, v33, v34, s4
	v_cndmask_b32_e64 v31, v31, v32, s3
	;; [unrolled: 1-line block ×3, first 2 shown]
	; wave barrier
	ds_store_2addr_b32 v2, v3, v4 offset1:1
	ds_store_2addr_b32 v2, v5, v6 offset0:2 offset1:3
	ds_store_2addr_b32 v2, v7, v8 offset0:4 offset1:5
	;; [unrolled: 1-line block ×3, first 2 shown]
	v_cndmask_b32_e32 v10, v12, v13, vcc_lo
	v_lshl_add_u32 v2, v11, 2, v0
	v_lshl_add_u32 v3, v19, 2, v0
	;; [unrolled: 1-line block ×8, first 2 shown]
	; wave barrier
	ds_load_b32 v2, v2
	ds_load_b32 v3, v3
	;; [unrolled: 1-line block ×8, first 2 shown]
	v_cndmask_b32_e64 v11, v15, v14, s0
	v_cndmask_b32_e64 v12, v17, v18, s1
	;; [unrolled: 1-line block ×6, first 2 shown]
	v_lshlrev_b32_e32 v1, 2, v1
	s_add_u32 s0, s22, s24
	s_addc_u32 s1, s23, s25
	s_waitcnt lgkmcnt(7)
	v_add_nc_u32_e32 v2, v2, v10
	s_waitcnt lgkmcnt(6)
	v_add_nc_u32_e32 v3, v3, v11
	;; [unrolled: 2-line block ×8, first 2 shown]
	s_clause 0x1
	global_store_b128 v1, v[2:5], s[0:1]
	global_store_b128 v1, v[6:9], s[0:1] offset:16
	s_nop 0
	s_sendmsg sendmsg(MSG_DEALLOC_VGPRS)
	s_endpgm
	.section	.rodata,"a",@progbits
	.p2align	6, 0x0
	.amdhsa_kernel _Z10sort_pairsILj256ELj32ELj8EiN10test_utils4lessEEvPKT2_PS2_T3_
		.amdhsa_group_segment_fixed_size 8224
		.amdhsa_private_segment_fixed_size 0
		.amdhsa_kernarg_size 20
		.amdhsa_user_sgpr_count 15
		.amdhsa_user_sgpr_dispatch_ptr 0
		.amdhsa_user_sgpr_queue_ptr 0
		.amdhsa_user_sgpr_kernarg_segment_ptr 1
		.amdhsa_user_sgpr_dispatch_id 0
		.amdhsa_user_sgpr_private_segment_size 0
		.amdhsa_wavefront_size32 1
		.amdhsa_uses_dynamic_stack 0
		.amdhsa_enable_private_segment 0
		.amdhsa_system_sgpr_workgroup_id_x 1
		.amdhsa_system_sgpr_workgroup_id_y 0
		.amdhsa_system_sgpr_workgroup_id_z 0
		.amdhsa_system_sgpr_workgroup_info 0
		.amdhsa_system_vgpr_workitem_id 0
		.amdhsa_next_free_vgpr 52
		.amdhsa_next_free_sgpr 26
		.amdhsa_reserve_vcc 1
		.amdhsa_float_round_mode_32 0
		.amdhsa_float_round_mode_16_64 0
		.amdhsa_float_denorm_mode_32 3
		.amdhsa_float_denorm_mode_16_64 3
		.amdhsa_dx10_clamp 1
		.amdhsa_ieee_mode 1
		.amdhsa_fp16_overflow 0
		.amdhsa_workgroup_processor_mode 1
		.amdhsa_memory_ordered 1
		.amdhsa_forward_progress 0
		.amdhsa_shared_vgpr_count 0
		.amdhsa_exception_fp_ieee_invalid_op 0
		.amdhsa_exception_fp_denorm_src 0
		.amdhsa_exception_fp_ieee_div_zero 0
		.amdhsa_exception_fp_ieee_overflow 0
		.amdhsa_exception_fp_ieee_underflow 0
		.amdhsa_exception_fp_ieee_inexact 0
		.amdhsa_exception_int_div_zero 0
	.end_amdhsa_kernel
	.section	.text._Z10sort_pairsILj256ELj32ELj8EiN10test_utils4lessEEvPKT2_PS2_T3_,"axG",@progbits,_Z10sort_pairsILj256ELj32ELj8EiN10test_utils4lessEEvPKT2_PS2_T3_,comdat
.Lfunc_end33:
	.size	_Z10sort_pairsILj256ELj32ELj8EiN10test_utils4lessEEvPKT2_PS2_T3_, .Lfunc_end33-_Z10sort_pairsILj256ELj32ELj8EiN10test_utils4lessEEvPKT2_PS2_T3_
                                        ; -- End function
	.section	.AMDGPU.csdata,"",@progbits
; Kernel info:
; codeLenInByte = 9892
; NumSgprs: 28
; NumVgprs: 52
; ScratchSize: 0
; MemoryBound: 0
; FloatMode: 240
; IeeeMode: 1
; LDSByteSize: 8224 bytes/workgroup (compile time only)
; SGPRBlocks: 3
; VGPRBlocks: 6
; NumSGPRsForWavesPerEU: 28
; NumVGPRsForWavesPerEU: 52
; Occupancy: 16
; WaveLimiterHint : 0
; COMPUTE_PGM_RSRC2:SCRATCH_EN: 0
; COMPUTE_PGM_RSRC2:USER_SGPR: 15
; COMPUTE_PGM_RSRC2:TRAP_HANDLER: 0
; COMPUTE_PGM_RSRC2:TGID_X_EN: 1
; COMPUTE_PGM_RSRC2:TGID_Y_EN: 0
; COMPUTE_PGM_RSRC2:TGID_Z_EN: 0
; COMPUTE_PGM_RSRC2:TIDIG_COMP_CNT: 0
	.section	.text._Z19sort_keys_segmentedILj256ELj32ELj8EiN10test_utils4lessEEvPKT2_PS2_PKjT3_,"axG",@progbits,_Z19sort_keys_segmentedILj256ELj32ELj8EiN10test_utils4lessEEvPKT2_PS2_PKjT3_,comdat
	.protected	_Z19sort_keys_segmentedILj256ELj32ELj8EiN10test_utils4lessEEvPKT2_PS2_PKjT3_ ; -- Begin function _Z19sort_keys_segmentedILj256ELj32ELj8EiN10test_utils4lessEEvPKT2_PS2_PKjT3_
	.globl	_Z19sort_keys_segmentedILj256ELj32ELj8EiN10test_utils4lessEEvPKT2_PS2_PKjT3_
	.p2align	8
	.type	_Z19sort_keys_segmentedILj256ELj32ELj8EiN10test_utils4lessEEvPKT2_PS2_PKjT3_,@function
_Z19sort_keys_segmentedILj256ELj32ELj8EiN10test_utils4lessEEvPKT2_PS2_PKjT3_: ; @_Z19sort_keys_segmentedILj256ELj32ELj8EiN10test_utils4lessEEvPKT2_PS2_PKjT3_
; %bb.0:
	s_clause 0x1
	s_load_b64 s[2:3], s[0:1], 0x10
	s_load_b128 s[16:19], s[0:1], 0x0
	v_lshrrev_b32_e32 v17, 5, v0
	s_delay_alu instid0(VALU_DEP_1) | instskip(SKIP_1) | instid1(VALU_DEP_1)
	v_lshl_or_b32 v0, s15, 3, v17
	v_mov_b32_e32 v1, 0
	v_lshlrev_b64 v[2:3], 2, v[0:1]
	v_lshlrev_b32_e32 v0, 8, v0
	s_delay_alu instid0(VALU_DEP_1) | instskip(SKIP_1) | instid1(VALU_DEP_3)
	v_lshlrev_b64 v[8:9], 2, v[0:1]
	s_waitcnt lgkmcnt(0)
	v_add_co_u32 v2, vcc_lo, s2, v2
	s_delay_alu instid0(VALU_DEP_4) | instskip(NEXT) | instid1(VALU_DEP_3)
	v_add_co_ci_u32_e32 v3, vcc_lo, s3, v3, vcc_lo
	v_add_co_u32 v1, vcc_lo, s16, v8
	global_load_b32 v12, v[2:3], off
	v_mbcnt_lo_u32_b32 v2, -1, 0
	v_add_co_ci_u32_e32 v3, vcc_lo, s17, v9, vcc_lo
	s_delay_alu instid0(VALU_DEP_2) | instskip(SKIP_1) | instid1(VALU_DEP_2)
	v_lshlrev_b32_e32 v0, 5, v2
	v_lshlrev_b32_e32 v13, 3, v2
	v_add_co_u32 v10, vcc_lo, v1, v0
	s_delay_alu instid0(VALU_DEP_4) | instskip(SKIP_1) | instid1(VALU_DEP_3)
	v_add_co_ci_u32_e32 v11, vcc_lo, 0, v3, vcc_lo
                                        ; implicit-def: $vgpr0_vgpr1_vgpr2_vgpr3_vgpr4_vgpr5_vgpr6_vgpr7
	s_waitcnt vmcnt(0)
	v_cmp_lt_u32_e32 vcc_lo, v13, v12
	s_and_saveexec_b32 s0, vcc_lo
	s_cbranch_execz .LBB34_2
; %bb.1:
	global_load_b32 v0, v[10:11], off
.LBB34_2:
	s_or_b32 exec_lo, exec_lo, s0
	v_or_b32_e32 v14, 1, v13
	s_delay_alu instid0(VALU_DEP_1) | instskip(NEXT) | instid1(VALU_DEP_1)
	v_cmp_lt_u32_e64 s0, v14, v12
	s_and_saveexec_b32 s1, s0
	s_cbranch_execz .LBB34_4
; %bb.3:
	global_load_b32 v1, v[10:11], off offset:4
.LBB34_4:
	s_or_b32 exec_lo, exec_lo, s1
	v_or_b32_e32 v15, 2, v13
	s_delay_alu instid0(VALU_DEP_1) | instskip(NEXT) | instid1(VALU_DEP_1)
	v_cmp_lt_u32_e64 s1, v15, v12
	s_and_saveexec_b32 s2, s1
	s_cbranch_execz .LBB34_6
; %bb.5:
	global_load_b32 v2, v[10:11], off offset:8
.LBB34_6:
	;; [unrolled: 9-line block ×7, first 2 shown]
	s_or_b32 exec_lo, exec_lo, s7
	v_cmp_lt_i32_e64 s9, v20, v12
	v_cmp_lt_i32_e64 s10, v21, v12
	;; [unrolled: 1-line block ×6, first 2 shown]
	s_or_b32 s9, s10, s9
	v_cmp_lt_i32_e64 s7, v14, v12
	s_waitcnt vmcnt(0)
	v_cndmask_b32_e64 v6, 0x7fffffff, v6, s9
	s_or_b32 s9, s9, s12
	v_cndmask_b32_e64 v7, 0x7fffffff, v7, s10
	v_cndmask_b32_e64 v5, 0x7fffffff, v5, s9
	s_or_b32 s9, s9, s13
	s_mov_b32 s10, exec_lo
	v_cndmask_b32_e64 v4, 0x7fffffff, v4, s9
	s_or_b32 s9, s9, s11
	s_delay_alu instid0(SALU_CYCLE_1)
	s_or_b32 s8, s9, s8
	v_cndmask_b32_e64 v3, 0x7fffffff, v3, s9
	s_or_b32 s7, s8, s7
	v_cndmask_b32_e64 v2, 0x7fffffff, v2, s8
	v_cndmask_b32_e64 v1, 0x7fffffff, v1, s7
	v_cmpx_lt_i32_e64 v13, v12
	s_cbranch_execz .LBB34_18
; %bb.17:
	s_delay_alu instid0(VALU_DEP_2)
	v_cmp_lt_i32_e64 s7, v1, v0
	v_min_i32_e32 v11, v1, v0
	v_cmp_lt_i32_e64 s8, v3, v2
	v_max_i32_e32 v14, v1, v0
	v_max_i32_e32 v16, v3, v2
	v_cndmask_b32_e64 v10, v0, v1, s7
	v_cndmask_b32_e64 v0, v1, v0, s7
	v_cmp_lt_i32_e64 s7, v5, v4
	v_cndmask_b32_e64 v1, v3, v2, s8
	v_cndmask_b32_e64 v15, v2, v3, s8
	v_min_i32_e32 v2, v3, v2
	v_max_i32_e32 v19, v5, v4
	v_cndmask_b32_e64 v3, v5, v4, s7
	v_cndmask_b32_e64 v18, v4, v5, s7
	v_cmp_lt_i32_e64 s7, v7, v6
	v_min_i32_e32 v4, v5, v4
	v_cmp_lt_i32_e64 s8, v2, v14
	v_max_i32_e32 v21, v7, v6
	s_delay_alu instid0(VALU_DEP_4)
	v_cndmask_b32_e64 v5, v7, v6, s7
	v_cndmask_b32_e64 v20, v6, v7, s7
	v_min_i32_e32 v6, v7, v6
	v_cmp_lt_i32_e64 s7, v4, v16
	v_cndmask_b32_e64 v7, v15, v14, s8
	v_cndmask_b32_e64 v0, v0, v2, s8
	v_max_i32_e32 v15, v2, v14
	v_cmp_lt_i32_e64 s8, v6, v19
	v_cndmask_b32_e64 v1, v1, v4, s7
	v_max_i32_e32 v22, v4, v16
	v_min_i32_e32 v4, v4, v16
	v_min_i32_e32 v14, v2, v14
	v_cndmask_b32_e64 v18, v18, v16, s7
	v_cndmask_b32_e64 v16, v20, v19, s8
	;; [unrolled: 1-line block ×3, first 2 shown]
	v_cmp_lt_i32_e64 s7, v2, v11
	v_max_i32_e32 v2, v6, v19
	v_min_i32_e32 v6, v6, v19
	v_cmp_lt_i32_e64 s8, v4, v15
	s_delay_alu instid0(VALU_DEP_4)
	v_cndmask_b32_e64 v10, v10, v14, s7
	v_cndmask_b32_e64 v0, v0, v11, s7
	;; [unrolled: 1-line block ×6, first 2 shown]
	v_cmp_lt_i32_e64 s7, v6, v22
	v_max_i32_e32 v14, v4, v15
	v_min_i32_e32 v4, v4, v15
	v_cmp_gt_i32_e64 s8, v19, v21
	s_delay_alu instid0(VALU_DEP_4)
	v_cndmask_b32_e64 v3, v3, v22, s7
	v_cndmask_b32_e64 v15, v18, v6, s7
	v_max_i32_e32 v18, v6, v22
	v_min_i32_e32 v6, v6, v22
	v_cndmask_b32_e64 v5, v5, v2, s8
	v_cmp_lt_i32_e64 s7, v4, v11
	v_cndmask_b32_e64 v19, v21, v2, s8
	v_cndmask_b32_e64 v2, v2, v21, s8
	;; [unrolled: 1-line block ×3, first 2 shown]
	v_cmp_lt_i32_e64 s8, v6, v14
	v_cndmask_b32_e64 v7, v7, v11, s7
	v_cndmask_b32_e64 v0, v0, v4, s7
	v_max_i32_e32 v21, v4, v11
	v_min_i32_e32 v4, v4, v11
	v_cmp_lt_i32_e64 s7, v2, v18
	v_cndmask_b32_e64 v11, v15, v14, s8
	v_cndmask_b32_e64 v1, v1, v6, s8
	v_max_i32_e32 v15, v6, v14
	v_min_i32_e32 v6, v6, v14
	v_cndmask_b32_e64 v14, v16, v18, s7
	v_cmp_lt_i32_e64 s8, v4, v20
	v_cndmask_b32_e64 v3, v3, v2, s7
	v_max_i32_e32 v16, v2, v18
	v_min_i32_e32 v2, v2, v18
	v_cmp_lt_i32_e64 s7, v6, v21
	v_cndmask_b32_e64 v10, v10, v4, s8
	v_cndmask_b32_e64 v0, v0, v20, s8
	v_min_i32_e32 v18, v4, v20
	v_cmp_lt_i32_e64 s8, v2, v15
	v_max_i32_e32 v4, v4, v20
	v_cndmask_b32_e64 v1, v1, v21, s7
	v_cndmask_b32_e64 v7, v7, v6, s7
	v_max_i32_e32 v20, v6, v21
	v_min_i32_e32 v6, v6, v21
	v_cndmask_b32_e64 v11, v11, v2, s8
	v_cmp_lt_i32_e64 s7, v19, v16
	v_max_i32_e32 v21, v2, v15
	v_min_i32_e32 v2, v2, v15
	v_cndmask_b32_e64 v3, v3, v15, s8
	v_cmp_lt_i32_e64 s8, v6, v4
	v_cndmask_b32_e64 v5, v5, v16, s7
	v_cndmask_b32_e64 v14, v14, v19, s7
	v_max_i32_e32 v15, v19, v16
	v_min_i32_e32 v16, v19, v16
	v_cmp_lt_i32_e64 s7, v2, v20
	v_cndmask_b32_e64 v19, v0, v6, s8
	v_cndmask_b32_e64 v7, v7, v4, s8
	v_max_i32_e32 v22, v6, v4
	v_cmp_lt_i32_e64 s8, v16, v21
	v_cndmask_b32_e64 v1, v1, v2, s7
	v_max_i32_e32 v23, v2, v20
	v_min_i32_e32 v2, v2, v20
	v_min_i32_e32 v4, v6, v4
	v_cndmask_b32_e64 v11, v11, v20, s7
	v_cndmask_b32_e64 v14, v14, v21, s8
	;; [unrolled: 1-line block ×3, first 2 shown]
	v_cmp_lt_i32_e64 s7, v6, v18
	v_max_i32_e32 v6, v16, v21
	v_min_i32_e32 v16, v16, v21
	v_cmp_lt_i32_e64 s8, v2, v22
	v_max_i32_e32 v20, v2, v22
	v_cndmask_b32_e64 v0, v10, v4, s7
	v_cndmask_b32_e64 v10, v19, v18, s7
	;; [unrolled: 1-line block ×5, first 2 shown]
	v_cmp_lt_i32_e64 s7, v16, v23
	v_cmp_gt_i32_e64 s8, v21, v15
	v_min_i32_e32 v1, v2, v22
	s_delay_alu instid0(VALU_DEP_3)
	v_cndmask_b32_e64 v22, v3, v23, s7
	v_cndmask_b32_e64 v3, v11, v16, s7
	v_max_i32_e32 v11, v16, v23
	v_min_i32_e32 v16, v16, v23
	v_cndmask_b32_e64 v7, v5, v6, s8
	v_cndmask_b32_e64 v5, v6, v15, s8
	v_cmp_lt_i32_e64 s7, v1, v4
	v_cndmask_b32_e64 v6, v14, v15, s8
	v_cmp_lt_i32_e64 s8, v16, v20
	s_delay_alu instid0(VALU_DEP_4) | instskip(NEXT) | instid1(VALU_DEP_4)
	v_cmp_lt_i32_e64 s9, v5, v11
	v_cndmask_b32_e64 v2, v18, v4, s7
	v_cndmask_b32_e64 v1, v10, v1, s7
	s_delay_alu instid0(VALU_DEP_4)
	v_cndmask_b32_e64 v4, v3, v20, s8
	v_cndmask_b32_e64 v3, v19, v16, s8
	;; [unrolled: 1-line block ×4, first 2 shown]
.LBB34_18:
	s_or_b32 exec_lo, exec_lo, s10
	v_and_b32_e32 v10, 0xf0, v13
	v_and_b32_e32 v11, 8, v13
	s_mov_b32 s9, 0
	s_mov_b32 s8, exec_lo
	s_delay_alu instid0(VALU_DEP_2) | instskip(NEXT) | instid1(VALU_DEP_2)
	v_min_i32_e32 v18, v12, v10
	v_min_i32_e32 v19, v12, v11
	v_mul_u32_u24_e32 v11, 0x404, v17
	; wave barrier
	s_delay_alu instid0(VALU_DEP_3) | instskip(SKIP_1) | instid1(VALU_DEP_2)
	v_add_nc_u32_e32 v10, 8, v18
	v_lshlrev_b32_e32 v23, 2, v18
	v_min_i32_e32 v15, v12, v10
	s_delay_alu instid0(VALU_DEP_1) | instskip(SKIP_1) | instid1(VALU_DEP_2)
	v_add_nc_u32_e32 v10, 8, v15
	v_sub_nc_u32_e32 v20, v15, v18
	v_min_i32_e32 v16, v12, v10
	v_lshlrev_b32_e32 v10, 2, v13
	s_delay_alu instid0(VALU_DEP_3) | instskip(NEXT) | instid1(VALU_DEP_3)
	v_min_i32_e32 v21, v19, v20
	v_sub_nc_u32_e32 v14, v16, v15
	s_delay_alu instid0(VALU_DEP_1)
	v_sub_nc_u32_e32 v22, v19, v14
	v_cmp_ge_i32_e64 s7, v19, v14
	v_mad_u32_u24 v14, 0x404, v17, v10
	v_mad_u32_u24 v17, 0x404, v17, v23
	ds_store_2addr_b32 v14, v0, v1 offset1:1
	ds_store_2addr_b32 v14, v2, v3 offset0:2 offset1:3
	ds_store_2addr_b32 v14, v4, v5 offset0:4 offset1:5
	;; [unrolled: 1-line block ×3, first 2 shown]
	v_cndmask_b32_e64 v20, 0, v22, s7
	; wave barrier
	s_delay_alu instid0(VALU_DEP_1)
	v_cmpx_lt_i32_e64 v20, v21
	s_cbranch_execz .LBB34_22
; %bb.19:
	v_lshlrev_b32_e32 v0, 2, v15
	v_lshlrev_b32_e32 v1, 2, v19
	s_delay_alu instid0(VALU_DEP_1)
	v_add3_u32 v0, v11, v0, v1
	.p2align	6
.LBB34_20:                              ; =>This Inner Loop Header: Depth=1
	v_sub_nc_u32_e32 v1, v21, v20
	s_delay_alu instid0(VALU_DEP_1) | instskip(NEXT) | instid1(VALU_DEP_1)
	v_lshrrev_b32_e32 v2, 31, v1
	v_add_nc_u32_e32 v1, v1, v2
	s_delay_alu instid0(VALU_DEP_1) | instskip(NEXT) | instid1(VALU_DEP_1)
	v_ashrrev_i32_e32 v1, 1, v1
	v_add_nc_u32_e32 v1, v1, v20
	s_delay_alu instid0(VALU_DEP_1) | instskip(SKIP_2) | instid1(VALU_DEP_3)
	v_not_b32_e32 v2, v1
	v_lshl_add_u32 v3, v1, 2, v17
	v_add_nc_u32_e32 v4, 1, v1
	v_lshl_add_u32 v2, v2, 2, v0
	ds_load_b32 v3, v3
	ds_load_b32 v2, v2
	s_waitcnt lgkmcnt(0)
	v_cmp_lt_i32_e64 s7, v2, v3
	s_delay_alu instid0(VALU_DEP_1) | instskip(SKIP_1) | instid1(VALU_DEP_1)
	v_cndmask_b32_e64 v21, v21, v1, s7
	v_cndmask_b32_e64 v20, v4, v20, s7
	v_cmp_ge_i32_e64 s7, v20, v21
	s_delay_alu instid0(VALU_DEP_1) | instskip(NEXT) | instid1(SALU_CYCLE_1)
	s_or_b32 s9, s7, s9
	s_and_not1_b32 exec_lo, exec_lo, s9
	s_cbranch_execnz .LBB34_20
; %bb.21:
	s_or_b32 exec_lo, exec_lo, s9
.LBB34_22:
	s_delay_alu instid0(SALU_CYCLE_1) | instskip(SKIP_3) | instid1(VALU_DEP_3)
	s_or_b32 exec_lo, exec_lo, s8
	v_add_nc_u32_e32 v0, v15, v19
	v_lshl_add_u32 v7, v20, 2, v17
	v_add_nc_u32_e32 v5, v20, v18
                                        ; implicit-def: $vgpr2
                                        ; implicit-def: $vgpr4
	v_sub_nc_u32_e32 v0, v0, v20
	s_delay_alu instid0(VALU_DEP_2) | instskip(NEXT) | instid1(VALU_DEP_2)
	v_cmp_le_i32_e64 s7, v15, v5
	v_lshl_add_u32 v6, v0, 2, v11
	v_cmp_gt_i32_e64 s9, v16, v0
	ds_load_b32 v1, v7
	ds_load_b32 v3, v6
	s_waitcnt lgkmcnt(0)
	v_cmp_lt_i32_e64 s8, v3, v1
	s_delay_alu instid0(VALU_DEP_1) | instskip(NEXT) | instid1(SALU_CYCLE_1)
	s_or_b32 s7, s7, s8
	s_and_b32 s7, s9, s7
	s_delay_alu instid0(SALU_CYCLE_1) | instskip(NEXT) | instid1(SALU_CYCLE_1)
	s_xor_b32 s8, s7, -1
	s_and_saveexec_b32 s9, s8
	s_delay_alu instid0(SALU_CYCLE_1)
	s_xor_b32 s8, exec_lo, s9
	s_cbranch_execz .LBB34_24
; %bb.23:
	ds_load_b32 v4, v7 offset:4
	v_mov_b32_e32 v2, v3
                                        ; implicit-def: $vgpr6
.LBB34_24:
	s_and_not1_saveexec_b32 s8, s8
	s_cbranch_execz .LBB34_26
; %bb.25:
	ds_load_b32 v2, v6 offset:4
	s_waitcnt lgkmcnt(1)
	v_mov_b32_e32 v4, v1
.LBB34_26:
	s_or_b32 exec_lo, exec_lo, s8
	v_add_nc_u32_e32 v6, 1, v5
	v_add_nc_u32_e32 v17, 1, v0
	s_waitcnt lgkmcnt(0)
	v_cmp_lt_i32_e64 s9, v2, v4
	s_delay_alu instid0(VALU_DEP_3) | instskip(NEXT) | instid1(VALU_DEP_3)
	v_cndmask_b32_e64 v7, v6, v5, s7
	v_cndmask_b32_e64 v0, v0, v17, s7
                                        ; implicit-def: $vgpr5
	s_delay_alu instid0(VALU_DEP_2) | instskip(NEXT) | instid1(VALU_DEP_2)
	v_cmp_ge_i32_e64 s8, v7, v15
	v_cmp_lt_i32_e64 s10, v0, v16
	s_delay_alu instid0(VALU_DEP_2)
	s_or_b32 s8, s8, s9
	s_delay_alu instid0(VALU_DEP_1) | instid1(SALU_CYCLE_1)
	s_and_b32 s8, s10, s8
	s_delay_alu instid0(SALU_CYCLE_1) | instskip(NEXT) | instid1(SALU_CYCLE_1)
	s_xor_b32 s9, s8, -1
	s_and_saveexec_b32 s10, s9
	s_delay_alu instid0(SALU_CYCLE_1)
	s_xor_b32 s9, exec_lo, s10
	s_cbranch_execz .LBB34_28
; %bb.27:
	v_lshl_add_u32 v5, v7, 2, v11
	ds_load_b32 v5, v5 offset:4
.LBB34_28:
	s_or_saveexec_b32 s9, s9
	v_mov_b32_e32 v6, v2
	s_xor_b32 exec_lo, exec_lo, s9
	s_cbranch_execz .LBB34_30
; %bb.29:
	s_waitcnt lgkmcnt(0)
	v_lshl_add_u32 v5, v0, 2, v11
	ds_load_b32 v6, v5 offset:4
	v_mov_b32_e32 v5, v4
.LBB34_30:
	s_or_b32 exec_lo, exec_lo, s9
	v_add_nc_u32_e32 v17, 1, v7
	v_add_nc_u32_e32 v19, 1, v0
	s_waitcnt lgkmcnt(0)
	v_cmp_lt_i32_e64 s10, v6, v5
	s_delay_alu instid0(VALU_DEP_3) | instskip(NEXT) | instid1(VALU_DEP_3)
	v_cndmask_b32_e64 v18, v17, v7, s8
	v_cndmask_b32_e64 v0, v0, v19, s8
                                        ; implicit-def: $vgpr7
	s_delay_alu instid0(VALU_DEP_2) | instskip(NEXT) | instid1(VALU_DEP_2)
	v_cmp_ge_i32_e64 s9, v18, v15
	v_cmp_lt_i32_e64 s11, v0, v16
	s_delay_alu instid0(VALU_DEP_2)
	s_or_b32 s9, s9, s10
	s_delay_alu instid0(VALU_DEP_1) | instid1(SALU_CYCLE_1)
	s_and_b32 s9, s11, s9
	s_delay_alu instid0(SALU_CYCLE_1) | instskip(NEXT) | instid1(SALU_CYCLE_1)
	s_xor_b32 s10, s9, -1
	s_and_saveexec_b32 s11, s10
	s_delay_alu instid0(SALU_CYCLE_1)
	s_xor_b32 s10, exec_lo, s11
	s_cbranch_execz .LBB34_32
; %bb.31:
	v_lshl_add_u32 v7, v18, 2, v11
	ds_load_b32 v7, v7 offset:4
.LBB34_32:
	s_or_saveexec_b32 s10, s10
	v_mov_b32_e32 v17, v6
	s_xor_b32 exec_lo, exec_lo, s10
	s_cbranch_execz .LBB34_34
; %bb.33:
	s_waitcnt lgkmcnt(0)
	v_lshl_add_u32 v7, v0, 2, v11
	ds_load_b32 v17, v7 offset:4
	v_mov_b32_e32 v7, v5
.LBB34_34:
	s_or_b32 exec_lo, exec_lo, s10
	v_add_nc_u32_e32 v19, 1, v18
	v_add_nc_u32_e32 v21, 1, v0
	s_waitcnt lgkmcnt(0)
	v_cmp_lt_i32_e64 s11, v17, v7
	s_delay_alu instid0(VALU_DEP_3) | instskip(NEXT) | instid1(VALU_DEP_3)
	v_cndmask_b32_e64 v20, v19, v18, s9
	v_cndmask_b32_e64 v0, v0, v21, s9
                                        ; implicit-def: $vgpr18
	s_delay_alu instid0(VALU_DEP_2) | instskip(NEXT) | instid1(VALU_DEP_2)
	v_cmp_ge_i32_e64 s10, v20, v15
	v_cmp_lt_i32_e64 s12, v0, v16
	s_delay_alu instid0(VALU_DEP_2)
	s_or_b32 s10, s10, s11
	s_delay_alu instid0(VALU_DEP_1) | instid1(SALU_CYCLE_1)
	s_and_b32 s10, s12, s10
	s_delay_alu instid0(SALU_CYCLE_1) | instskip(NEXT) | instid1(SALU_CYCLE_1)
	s_xor_b32 s11, s10, -1
	s_and_saveexec_b32 s12, s11
	s_delay_alu instid0(SALU_CYCLE_1)
	s_xor_b32 s11, exec_lo, s12
	s_cbranch_execz .LBB34_36
; %bb.35:
	v_lshl_add_u32 v18, v20, 2, v11
	ds_load_b32 v18, v18 offset:4
.LBB34_36:
	s_or_saveexec_b32 s11, s11
	v_mov_b32_e32 v19, v17
	s_xor_b32 exec_lo, exec_lo, s11
	s_cbranch_execz .LBB34_38
; %bb.37:
	s_waitcnt lgkmcnt(0)
	v_lshl_add_u32 v18, v0, 2, v11
	ds_load_b32 v19, v18 offset:4
	v_mov_b32_e32 v18, v7
.LBB34_38:
	s_or_b32 exec_lo, exec_lo, s11
	v_add_nc_u32_e32 v21, 1, v20
	v_add_nc_u32_e32 v23, 1, v0
	s_waitcnt lgkmcnt(0)
	v_cmp_lt_i32_e64 s12, v19, v18
	s_delay_alu instid0(VALU_DEP_3) | instskip(NEXT) | instid1(VALU_DEP_3)
	v_cndmask_b32_e64 v22, v21, v20, s10
	v_cndmask_b32_e64 v0, v0, v23, s10
                                        ; implicit-def: $vgpr20
	s_delay_alu instid0(VALU_DEP_2) | instskip(NEXT) | instid1(VALU_DEP_2)
	v_cmp_ge_i32_e64 s11, v22, v15
	v_cmp_lt_i32_e64 s13, v0, v16
	s_delay_alu instid0(VALU_DEP_2)
	s_or_b32 s11, s11, s12
	s_delay_alu instid0(VALU_DEP_1) | instid1(SALU_CYCLE_1)
	s_and_b32 s11, s13, s11
	s_delay_alu instid0(SALU_CYCLE_1) | instskip(NEXT) | instid1(SALU_CYCLE_1)
	s_xor_b32 s12, s11, -1
	s_and_saveexec_b32 s13, s12
	s_delay_alu instid0(SALU_CYCLE_1)
	s_xor_b32 s12, exec_lo, s13
	s_cbranch_execz .LBB34_40
; %bb.39:
	v_lshl_add_u32 v20, v22, 2, v11
	ds_load_b32 v20, v20 offset:4
.LBB34_40:
	s_or_saveexec_b32 s12, s12
	v_mov_b32_e32 v21, v19
	s_xor_b32 exec_lo, exec_lo, s12
	s_cbranch_execz .LBB34_42
; %bb.41:
	s_waitcnt lgkmcnt(0)
	v_lshl_add_u32 v20, v0, 2, v11
	ds_load_b32 v21, v20 offset:4
	v_mov_b32_e32 v20, v18
.LBB34_42:
	s_or_b32 exec_lo, exec_lo, s12
	v_add_nc_u32_e32 v23, 1, v22
	v_add_nc_u32_e32 v24, 1, v0
	s_waitcnt lgkmcnt(0)
	v_cmp_lt_i32_e64 s13, v21, v20
	s_delay_alu instid0(VALU_DEP_3) | instskip(NEXT) | instid1(VALU_DEP_3)
	v_cndmask_b32_e64 v23, v23, v22, s11
	v_cndmask_b32_e64 v22, v0, v24, s11
                                        ; implicit-def: $vgpr0
	s_delay_alu instid0(VALU_DEP_2) | instskip(NEXT) | instid1(VALU_DEP_2)
	v_cmp_ge_i32_e64 s12, v23, v15
	v_cmp_lt_i32_e64 s14, v22, v16
	s_delay_alu instid0(VALU_DEP_2)
	s_or_b32 s12, s12, s13
	s_delay_alu instid0(VALU_DEP_1) | instid1(SALU_CYCLE_1)
	s_and_b32 s12, s14, s12
	s_delay_alu instid0(SALU_CYCLE_1) | instskip(NEXT) | instid1(SALU_CYCLE_1)
	s_xor_b32 s13, s12, -1
	s_and_saveexec_b32 s14, s13
	s_delay_alu instid0(SALU_CYCLE_1)
	s_xor_b32 s13, exec_lo, s14
	s_cbranch_execz .LBB34_44
; %bb.43:
	v_lshl_add_u32 v0, v23, 2, v11
	ds_load_b32 v0, v0 offset:4
.LBB34_44:
	s_or_saveexec_b32 s13, s13
	v_mov_b32_e32 v26, v21
	s_xor_b32 exec_lo, exec_lo, s13
	s_cbranch_execz .LBB34_46
; %bb.45:
	s_waitcnt lgkmcnt(0)
	v_lshl_add_u32 v0, v22, 2, v11
	ds_load_b32 v26, v0 offset:4
	v_mov_b32_e32 v0, v20
.LBB34_46:
	s_or_b32 exec_lo, exec_lo, s13
	v_add_nc_u32_e32 v24, 1, v23
	v_add_nc_u32_e32 v27, 1, v22
	s_waitcnt lgkmcnt(0)
	v_cmp_lt_i32_e64 s14, v26, v0
	s_delay_alu instid0(VALU_DEP_3) | instskip(NEXT) | instid1(VALU_DEP_3)
	v_cndmask_b32_e64 v25, v24, v23, s12
	v_cndmask_b32_e64 v24, v22, v27, s12
                                        ; implicit-def: $vgpr23
	s_delay_alu instid0(VALU_DEP_2) | instskip(NEXT) | instid1(VALU_DEP_2)
	v_cmp_ge_i32_e64 s13, v25, v15
	v_cmp_lt_i32_e64 s15, v24, v16
	s_delay_alu instid0(VALU_DEP_2)
	s_or_b32 s13, s13, s14
	s_delay_alu instid0(VALU_DEP_1) | instid1(SALU_CYCLE_1)
	s_and_b32 s13, s15, s13
	s_delay_alu instid0(SALU_CYCLE_1) | instskip(NEXT) | instid1(SALU_CYCLE_1)
	s_xor_b32 s14, s13, -1
	s_and_saveexec_b32 s15, s14
	s_delay_alu instid0(SALU_CYCLE_1)
	s_xor_b32 s14, exec_lo, s15
	s_cbranch_execz .LBB34_48
; %bb.47:
	v_lshl_add_u32 v22, v25, 2, v11
	ds_load_b32 v23, v22 offset:4
.LBB34_48:
	s_or_saveexec_b32 s14, s14
	v_mov_b32_e32 v27, v26
	s_xor_b32 exec_lo, exec_lo, s14
	s_cbranch_execz .LBB34_50
; %bb.49:
	v_lshl_add_u32 v22, v24, 2, v11
	s_waitcnt lgkmcnt(0)
	v_mov_b32_e32 v23, v0
	ds_load_b32 v27, v22 offset:4
.LBB34_50:
	s_or_b32 exec_lo, exec_lo, s14
	v_and_b32_e32 v22, 0xe0, v13
	v_cndmask_b32_e64 v26, v0, v26, s13
	v_cndmask_b32_e64 v18, v18, v19, s11
	v_add_nc_u32_e32 v29, 1, v25
	v_cndmask_b32_e64 v7, v7, v17, s10
	v_min_i32_e32 v22, v12, v22
	v_cndmask_b32_e64 v17, v4, v2, s8
	v_and_b32_e32 v4, 24, v13
	v_cndmask_b32_e64 v6, v5, v6, s9
	v_cndmask_b32_e64 v20, v20, v21, s12
	v_add_nc_u32_e32 v28, 16, v22
	; wave barrier
	s_delay_alu instid0(VALU_DEP_1) | instskip(SKIP_1) | instid1(VALU_DEP_2)
	v_min_i32_e32 v0, v12, v28
	v_add_nc_u32_e32 v28, 1, v24
	v_add_nc_u32_e32 v19, 16, v0
	s_delay_alu instid0(VALU_DEP_2) | instskip(SKIP_1) | instid1(VALU_DEP_3)
	v_cndmask_b32_e64 v5, v24, v28, s13
	v_sub_nc_u32_e32 v21, v0, v22
	v_min_i32_e32 v2, v12, v19
	v_cndmask_b32_e64 v19, v1, v3, s7
	v_min_i32_e32 v1, v12, v4
	v_cndmask_b32_e64 v4, v29, v25, s13
	s_waitcnt lgkmcnt(0)
	v_cmp_lt_i32_e64 s7, v27, v23
	v_sub_nc_u32_e32 v3, v2, v0
	v_cmp_lt_i32_e64 s9, v5, v16
	v_min_i32_e32 v5, v1, v21
	v_cmp_ge_i32_e64 s8, v4, v15
	v_lshl_add_u32 v4, v22, 2, v11
	v_sub_nc_u32_e32 v24, v1, v3
	v_cmp_ge_i32_e64 s10, v1, v3
	s_delay_alu instid0(VALU_DEP_4) | instskip(SKIP_2) | instid1(VALU_DEP_1)
	s_or_b32 s7, s8, s7
	s_mov_b32 s8, exec_lo
	s_and_b32 s7, s9, s7
	v_cndmask_b32_e64 v3, 0, v24, s10
	v_cndmask_b32_e64 v15, v23, v27, s7
	s_mov_b32 s9, 0
	ds_store_2addr_b32 v14, v19, v17 offset1:1
	ds_store_2addr_b32 v14, v6, v7 offset0:2 offset1:3
	ds_store_2addr_b32 v14, v18, v20 offset0:4 offset1:5
	;; [unrolled: 1-line block ×3, first 2 shown]
	; wave barrier
	v_cmpx_lt_i32_e64 v3, v5
	s_cbranch_execz .LBB34_54
; %bb.51:
	v_lshlrev_b32_e32 v6, 2, v0
	v_lshlrev_b32_e32 v7, 2, v1
	s_delay_alu instid0(VALU_DEP_1)
	v_add3_u32 v6, v11, v6, v7
	.p2align	6
.LBB34_52:                              ; =>This Inner Loop Header: Depth=1
	v_sub_nc_u32_e32 v7, v5, v3
	s_delay_alu instid0(VALU_DEP_1) | instskip(NEXT) | instid1(VALU_DEP_1)
	v_lshrrev_b32_e32 v15, 31, v7
	v_add_nc_u32_e32 v7, v7, v15
	s_delay_alu instid0(VALU_DEP_1) | instskip(NEXT) | instid1(VALU_DEP_1)
	v_ashrrev_i32_e32 v7, 1, v7
	v_add_nc_u32_e32 v7, v7, v3
	s_delay_alu instid0(VALU_DEP_1) | instskip(SKIP_2) | instid1(VALU_DEP_3)
	v_not_b32_e32 v15, v7
	v_lshl_add_u32 v16, v7, 2, v4
	v_add_nc_u32_e32 v17, 1, v7
	v_lshl_add_u32 v15, v15, 2, v6
	ds_load_b32 v16, v16
	ds_load_b32 v15, v15
	s_waitcnt lgkmcnt(0)
	v_cmp_lt_i32_e64 s7, v15, v16
	s_delay_alu instid0(VALU_DEP_1) | instskip(SKIP_1) | instid1(VALU_DEP_1)
	v_cndmask_b32_e64 v5, v5, v7, s7
	v_cndmask_b32_e64 v3, v17, v3, s7
	v_cmp_ge_i32_e64 s7, v3, v5
	s_delay_alu instid0(VALU_DEP_1) | instskip(NEXT) | instid1(SALU_CYCLE_1)
	s_or_b32 s9, s7, s9
	s_and_not1_b32 exec_lo, exec_lo, s9
	s_cbranch_execnz .LBB34_52
; %bb.53:
	s_or_b32 exec_lo, exec_lo, s9
.LBB34_54:
	s_delay_alu instid0(SALU_CYCLE_1) | instskip(SKIP_3) | instid1(VALU_DEP_3)
	s_or_b32 exec_lo, exec_lo, s8
	v_add_nc_u32_e32 v1, v0, v1
	v_lshl_add_u32 v16, v3, 2, v4
	v_add_nc_u32_e32 v7, v3, v22
                                        ; implicit-def: $vgpr6
	v_sub_nc_u32_e32 v1, v1, v3
                                        ; implicit-def: $vgpr3
	s_delay_alu instid0(VALU_DEP_2) | instskip(NEXT) | instid1(VALU_DEP_2)
	v_cmp_le_i32_e64 s7, v0, v7
	v_lshl_add_u32 v15, v1, 2, v11
	v_cmp_gt_i32_e64 s9, v2, v1
	ds_load_b32 v4, v16
	ds_load_b32 v5, v15
	s_waitcnt lgkmcnt(0)
	v_cmp_lt_i32_e64 s8, v5, v4
	s_delay_alu instid0(VALU_DEP_1) | instskip(NEXT) | instid1(SALU_CYCLE_1)
	s_or_b32 s7, s7, s8
	s_and_b32 s7, s9, s7
	s_delay_alu instid0(SALU_CYCLE_1) | instskip(NEXT) | instid1(SALU_CYCLE_1)
	s_xor_b32 s8, s7, -1
	s_and_saveexec_b32 s9, s8
	s_delay_alu instid0(SALU_CYCLE_1)
	s_xor_b32 s8, exec_lo, s9
	s_cbranch_execz .LBB34_56
; %bb.55:
	ds_load_b32 v6, v16 offset:4
	v_mov_b32_e32 v3, v5
                                        ; implicit-def: $vgpr15
.LBB34_56:
	s_and_not1_saveexec_b32 s8, s8
	s_cbranch_execz .LBB34_58
; %bb.57:
	ds_load_b32 v3, v15 offset:4
	s_waitcnt lgkmcnt(1)
	v_mov_b32_e32 v6, v4
.LBB34_58:
	s_or_b32 exec_lo, exec_lo, s8
	v_add_nc_u32_e32 v15, 1, v7
	v_add_nc_u32_e32 v17, 1, v1
	s_waitcnt lgkmcnt(0)
	v_cmp_lt_i32_e64 s9, v3, v6
	s_delay_alu instid0(VALU_DEP_3) | instskip(NEXT) | instid1(VALU_DEP_3)
	v_cndmask_b32_e64 v16, v15, v7, s7
	v_cndmask_b32_e64 v1, v1, v17, s7
                                        ; implicit-def: $vgpr7
	s_delay_alu instid0(VALU_DEP_2) | instskip(NEXT) | instid1(VALU_DEP_2)
	v_cmp_ge_i32_e64 s8, v16, v0
	v_cmp_lt_i32_e64 s10, v1, v2
	s_delay_alu instid0(VALU_DEP_2)
	s_or_b32 s8, s8, s9
	s_delay_alu instid0(VALU_DEP_1) | instid1(SALU_CYCLE_1)
	s_and_b32 s8, s10, s8
	s_delay_alu instid0(SALU_CYCLE_1) | instskip(NEXT) | instid1(SALU_CYCLE_1)
	s_xor_b32 s9, s8, -1
	s_and_saveexec_b32 s10, s9
	s_delay_alu instid0(SALU_CYCLE_1)
	s_xor_b32 s9, exec_lo, s10
	s_cbranch_execz .LBB34_60
; %bb.59:
	v_lshl_add_u32 v7, v16, 2, v11
	ds_load_b32 v7, v7 offset:4
.LBB34_60:
	s_or_saveexec_b32 s9, s9
	v_mov_b32_e32 v15, v3
	s_xor_b32 exec_lo, exec_lo, s9
	s_cbranch_execz .LBB34_62
; %bb.61:
	s_waitcnt lgkmcnt(0)
	v_lshl_add_u32 v7, v1, 2, v11
	ds_load_b32 v15, v7 offset:4
	v_mov_b32_e32 v7, v6
.LBB34_62:
	s_or_b32 exec_lo, exec_lo, s9
	v_add_nc_u32_e32 v17, 1, v16
	v_add_nc_u32_e32 v19, 1, v1
	s_waitcnt lgkmcnt(0)
	v_cmp_lt_i32_e64 s10, v15, v7
	s_delay_alu instid0(VALU_DEP_3) | instskip(NEXT) | instid1(VALU_DEP_3)
	v_cndmask_b32_e64 v18, v17, v16, s8
	v_cndmask_b32_e64 v1, v1, v19, s8
                                        ; implicit-def: $vgpr16
	s_delay_alu instid0(VALU_DEP_2) | instskip(NEXT) | instid1(VALU_DEP_2)
	v_cmp_ge_i32_e64 s9, v18, v0
	v_cmp_lt_i32_e64 s11, v1, v2
	s_delay_alu instid0(VALU_DEP_2)
	s_or_b32 s9, s9, s10
	s_delay_alu instid0(VALU_DEP_1) | instid1(SALU_CYCLE_1)
	s_and_b32 s9, s11, s9
	s_delay_alu instid0(SALU_CYCLE_1) | instskip(NEXT) | instid1(SALU_CYCLE_1)
	s_xor_b32 s10, s9, -1
	s_and_saveexec_b32 s11, s10
	s_delay_alu instid0(SALU_CYCLE_1)
	s_xor_b32 s10, exec_lo, s11
	s_cbranch_execz .LBB34_64
; %bb.63:
	v_lshl_add_u32 v16, v18, 2, v11
	ds_load_b32 v16, v16 offset:4
.LBB34_64:
	s_or_saveexec_b32 s10, s10
	v_mov_b32_e32 v17, v15
	s_xor_b32 exec_lo, exec_lo, s10
	s_cbranch_execz .LBB34_66
; %bb.65:
	s_waitcnt lgkmcnt(0)
	v_lshl_add_u32 v16, v1, 2, v11
	ds_load_b32 v17, v16 offset:4
	v_mov_b32_e32 v16, v7
.LBB34_66:
	s_or_b32 exec_lo, exec_lo, s10
	v_add_nc_u32_e32 v19, 1, v18
	v_add_nc_u32_e32 v21, 1, v1
	s_waitcnt lgkmcnt(0)
	v_cmp_lt_i32_e64 s11, v17, v16
	s_delay_alu instid0(VALU_DEP_3) | instskip(NEXT) | instid1(VALU_DEP_3)
	v_cndmask_b32_e64 v20, v19, v18, s9
	v_cndmask_b32_e64 v1, v1, v21, s9
                                        ; implicit-def: $vgpr18
	s_delay_alu instid0(VALU_DEP_2) | instskip(NEXT) | instid1(VALU_DEP_2)
	v_cmp_ge_i32_e64 s10, v20, v0
	v_cmp_lt_i32_e64 s12, v1, v2
	s_delay_alu instid0(VALU_DEP_2)
	s_or_b32 s10, s10, s11
	s_delay_alu instid0(VALU_DEP_1) | instid1(SALU_CYCLE_1)
	s_and_b32 s10, s12, s10
	s_delay_alu instid0(SALU_CYCLE_1) | instskip(NEXT) | instid1(SALU_CYCLE_1)
	s_xor_b32 s11, s10, -1
	s_and_saveexec_b32 s12, s11
	s_delay_alu instid0(SALU_CYCLE_1)
	s_xor_b32 s11, exec_lo, s12
	s_cbranch_execz .LBB34_68
; %bb.67:
	v_lshl_add_u32 v18, v20, 2, v11
	ds_load_b32 v18, v18 offset:4
.LBB34_68:
	s_or_saveexec_b32 s11, s11
	v_mov_b32_e32 v19, v17
	s_xor_b32 exec_lo, exec_lo, s11
	s_cbranch_execz .LBB34_70
; %bb.69:
	s_waitcnt lgkmcnt(0)
	v_lshl_add_u32 v18, v1, 2, v11
	ds_load_b32 v19, v18 offset:4
	v_mov_b32_e32 v18, v16
.LBB34_70:
	s_or_b32 exec_lo, exec_lo, s11
	v_add_nc_u32_e32 v21, 1, v20
	v_add_nc_u32_e32 v23, 1, v1
	s_waitcnt lgkmcnt(0)
	v_cmp_lt_i32_e64 s12, v19, v18
	s_delay_alu instid0(VALU_DEP_3) | instskip(NEXT) | instid1(VALU_DEP_3)
	v_cndmask_b32_e64 v22, v21, v20, s10
	v_cndmask_b32_e64 v1, v1, v23, s10
                                        ; implicit-def: $vgpr20
	s_delay_alu instid0(VALU_DEP_2) | instskip(NEXT) | instid1(VALU_DEP_2)
	v_cmp_ge_i32_e64 s11, v22, v0
	v_cmp_lt_i32_e64 s13, v1, v2
	s_delay_alu instid0(VALU_DEP_2)
	s_or_b32 s11, s11, s12
	s_delay_alu instid0(VALU_DEP_1) | instid1(SALU_CYCLE_1)
	s_and_b32 s11, s13, s11
	s_delay_alu instid0(SALU_CYCLE_1) | instskip(NEXT) | instid1(SALU_CYCLE_1)
	s_xor_b32 s12, s11, -1
	s_and_saveexec_b32 s13, s12
	s_delay_alu instid0(SALU_CYCLE_1)
	s_xor_b32 s12, exec_lo, s13
	s_cbranch_execz .LBB34_72
; %bb.71:
	v_lshl_add_u32 v20, v22, 2, v11
	ds_load_b32 v20, v20 offset:4
.LBB34_72:
	s_or_saveexec_b32 s12, s12
	v_mov_b32_e32 v21, v19
	s_xor_b32 exec_lo, exec_lo, s12
	s_cbranch_execz .LBB34_74
; %bb.73:
	s_waitcnt lgkmcnt(0)
	v_lshl_add_u32 v20, v1, 2, v11
	ds_load_b32 v21, v20 offset:4
	v_mov_b32_e32 v20, v18
.LBB34_74:
	s_or_b32 exec_lo, exec_lo, s12
	v_add_nc_u32_e32 v23, 1, v22
	v_add_nc_u32_e32 v24, 1, v1
	s_waitcnt lgkmcnt(0)
	v_cmp_lt_i32_e64 s13, v21, v20
	s_delay_alu instid0(VALU_DEP_3) | instskip(NEXT) | instid1(VALU_DEP_3)
	v_cndmask_b32_e64 v23, v23, v22, s11
	v_cndmask_b32_e64 v22, v1, v24, s11
                                        ; implicit-def: $vgpr1
	s_delay_alu instid0(VALU_DEP_2) | instskip(NEXT) | instid1(VALU_DEP_2)
	v_cmp_ge_i32_e64 s12, v23, v0
	v_cmp_lt_i32_e64 s14, v22, v2
	s_delay_alu instid0(VALU_DEP_2)
	s_or_b32 s12, s12, s13
	s_delay_alu instid0(VALU_DEP_1) | instid1(SALU_CYCLE_1)
	s_and_b32 s12, s14, s12
	s_delay_alu instid0(SALU_CYCLE_1) | instskip(NEXT) | instid1(SALU_CYCLE_1)
	s_xor_b32 s13, s12, -1
	s_and_saveexec_b32 s14, s13
	s_delay_alu instid0(SALU_CYCLE_1)
	s_xor_b32 s13, exec_lo, s14
	s_cbranch_execz .LBB34_76
; %bb.75:
	v_lshl_add_u32 v1, v23, 2, v11
	ds_load_b32 v1, v1 offset:4
.LBB34_76:
	s_or_saveexec_b32 s13, s13
	v_mov_b32_e32 v26, v21
	s_xor_b32 exec_lo, exec_lo, s13
	s_cbranch_execz .LBB34_78
; %bb.77:
	s_waitcnt lgkmcnt(0)
	v_lshl_add_u32 v1, v22, 2, v11
	ds_load_b32 v26, v1 offset:4
	v_mov_b32_e32 v1, v20
.LBB34_78:
	s_or_b32 exec_lo, exec_lo, s13
	v_add_nc_u32_e32 v24, 1, v23
	v_add_nc_u32_e32 v27, 1, v22
	s_waitcnt lgkmcnt(0)
	v_cmp_lt_i32_e64 s14, v26, v1
	s_delay_alu instid0(VALU_DEP_3) | instskip(NEXT) | instid1(VALU_DEP_3)
	v_cndmask_b32_e64 v25, v24, v23, s12
	v_cndmask_b32_e64 v24, v22, v27, s12
                                        ; implicit-def: $vgpr23
	s_delay_alu instid0(VALU_DEP_2) | instskip(NEXT) | instid1(VALU_DEP_2)
	v_cmp_ge_i32_e64 s13, v25, v0
	v_cmp_lt_i32_e64 s15, v24, v2
	s_delay_alu instid0(VALU_DEP_2)
	s_or_b32 s13, s13, s14
	s_delay_alu instid0(VALU_DEP_1) | instid1(SALU_CYCLE_1)
	s_and_b32 s13, s15, s13
	s_delay_alu instid0(SALU_CYCLE_1) | instskip(NEXT) | instid1(SALU_CYCLE_1)
	s_xor_b32 s14, s13, -1
	s_and_saveexec_b32 s15, s14
	s_delay_alu instid0(SALU_CYCLE_1)
	s_xor_b32 s14, exec_lo, s15
	s_cbranch_execz .LBB34_80
; %bb.79:
	v_lshl_add_u32 v22, v25, 2, v11
	ds_load_b32 v23, v22 offset:4
.LBB34_80:
	s_or_saveexec_b32 s14, s14
	v_mov_b32_e32 v27, v26
	s_xor_b32 exec_lo, exec_lo, s14
	s_cbranch_execz .LBB34_82
; %bb.81:
	v_lshl_add_u32 v22, v24, 2, v11
	s_waitcnt lgkmcnt(0)
	v_mov_b32_e32 v23, v1
	ds_load_b32 v27, v22 offset:4
.LBB34_82:
	s_or_b32 exec_lo, exec_lo, s14
	v_and_b32_e32 v22, 0xc0, v13
	v_cndmask_b32_e64 v26, v1, v26, s13
	v_cndmask_b32_e64 v18, v18, v19, s11
	v_add_nc_u32_e32 v29, 1, v25
	v_cndmask_b32_e64 v7, v7, v15, s9
	v_min_i32_e32 v22, v12, v22
	v_cndmask_b32_e64 v6, v6, v3, s8
	v_and_b32_e32 v15, 56, v13
	v_cndmask_b32_e64 v16, v16, v17, s10
	v_cndmask_b32_e64 v17, v4, v5, s7
	v_add_nc_u32_e32 v28, 32, v22
	v_cndmask_b32_e64 v5, v29, v25, s13
	v_min_i32_e32 v4, v12, v15
	s_waitcnt lgkmcnt(0)
	v_cmp_lt_i32_e64 s7, v27, v23
	v_cndmask_b32_e64 v20, v20, v21, s12
	v_min_i32_e32 v1, v12, v28
	v_add_nc_u32_e32 v28, 1, v24
	v_cmp_ge_i32_e64 s8, v5, v0
	; wave barrier
	s_delay_alu instid0(VALU_DEP_3) | instskip(SKIP_1) | instid1(VALU_DEP_3)
	v_add_nc_u32_e32 v19, 32, v1
	v_sub_nc_u32_e32 v21, v1, v22
	s_or_b32 s7, s8, s7
	s_mov_b32 s8, exec_lo
	s_delay_alu instid0(VALU_DEP_2) | instskip(SKIP_2) | instid1(VALU_DEP_3)
	v_min_i32_e32 v3, v12, v19
	v_cndmask_b32_e64 v19, v24, v28, s13
	v_min_i32_e32 v5, v4, v21
	v_sub_nc_u32_e32 v15, v3, v1
	s_delay_alu instid0(VALU_DEP_3) | instskip(SKIP_1) | instid1(VALU_DEP_3)
	v_cmp_lt_i32_e64 s9, v19, v2
	v_lshl_add_u32 v2, v22, 2, v11
	v_sub_nc_u32_e32 v24, v4, v15
	v_cmp_ge_i32_e64 s10, v4, v15
	s_delay_alu instid0(VALU_DEP_4)
	s_and_b32 s7, s9, s7
	s_mov_b32 s9, 0
	v_cndmask_b32_e64 v15, v23, v27, s7
	ds_store_2addr_b32 v14, v17, v6 offset1:1
	ds_store_2addr_b32 v14, v7, v16 offset0:2 offset1:3
	ds_store_2addr_b32 v14, v18, v20 offset0:4 offset1:5
	;; [unrolled: 1-line block ×3, first 2 shown]
	v_cndmask_b32_e64 v0, 0, v24, s10
	; wave barrier
	s_delay_alu instid0(VALU_DEP_1)
	v_cmpx_lt_i32_e64 v0, v5
	s_cbranch_execz .LBB34_86
; %bb.83:
	v_lshlrev_b32_e32 v6, 2, v1
	v_lshlrev_b32_e32 v7, 2, v4
	s_delay_alu instid0(VALU_DEP_1)
	v_add3_u32 v6, v11, v6, v7
	.p2align	6
.LBB34_84:                              ; =>This Inner Loop Header: Depth=1
	v_sub_nc_u32_e32 v7, v5, v0
	s_delay_alu instid0(VALU_DEP_1) | instskip(NEXT) | instid1(VALU_DEP_1)
	v_lshrrev_b32_e32 v15, 31, v7
	v_add_nc_u32_e32 v7, v7, v15
	s_delay_alu instid0(VALU_DEP_1) | instskip(NEXT) | instid1(VALU_DEP_1)
	v_ashrrev_i32_e32 v7, 1, v7
	v_add_nc_u32_e32 v7, v7, v0
	s_delay_alu instid0(VALU_DEP_1) | instskip(SKIP_2) | instid1(VALU_DEP_3)
	v_not_b32_e32 v15, v7
	v_lshl_add_u32 v16, v7, 2, v2
	v_add_nc_u32_e32 v17, 1, v7
	v_lshl_add_u32 v15, v15, 2, v6
	ds_load_b32 v16, v16
	ds_load_b32 v15, v15
	s_waitcnt lgkmcnt(0)
	v_cmp_lt_i32_e64 s7, v15, v16
	s_delay_alu instid0(VALU_DEP_1) | instskip(SKIP_1) | instid1(VALU_DEP_1)
	v_cndmask_b32_e64 v5, v5, v7, s7
	v_cndmask_b32_e64 v0, v17, v0, s7
	v_cmp_ge_i32_e64 s7, v0, v5
	s_delay_alu instid0(VALU_DEP_1) | instskip(NEXT) | instid1(SALU_CYCLE_1)
	s_or_b32 s9, s7, s9
	s_and_not1_b32 exec_lo, exec_lo, s9
	s_cbranch_execnz .LBB34_84
; %bb.85:
	s_or_b32 exec_lo, exec_lo, s9
.LBB34_86:
	s_delay_alu instid0(SALU_CYCLE_1) | instskip(SKIP_2) | instid1(VALU_DEP_2)
	s_or_b32 exec_lo, exec_lo, s8
	v_add_nc_u32_e32 v4, v1, v4
	v_lshl_add_u32 v16, v0, 2, v2
                                        ; implicit-def: $vgpr6
	v_sub_nc_u32_e32 v7, v4, v0
	v_add_nc_u32_e32 v0, v0, v22
                                        ; implicit-def: $vgpr4
	s_delay_alu instid0(VALU_DEP_2) | instskip(NEXT) | instid1(VALU_DEP_2)
	v_lshl_add_u32 v15, v7, 2, v11
	v_cmp_le_i32_e64 s7, v1, v0
	v_cmp_gt_i32_e64 s9, v3, v7
	ds_load_b32 v2, v16
	ds_load_b32 v5, v15
	s_waitcnt lgkmcnt(0)
	v_cmp_lt_i32_e64 s8, v5, v2
	s_delay_alu instid0(VALU_DEP_1) | instskip(NEXT) | instid1(SALU_CYCLE_1)
	s_or_b32 s7, s7, s8
	s_and_b32 s7, s9, s7
	s_delay_alu instid0(SALU_CYCLE_1) | instskip(NEXT) | instid1(SALU_CYCLE_1)
	s_xor_b32 s8, s7, -1
	s_and_saveexec_b32 s9, s8
	s_delay_alu instid0(SALU_CYCLE_1)
	s_xor_b32 s8, exec_lo, s9
	s_cbranch_execz .LBB34_88
; %bb.87:
	ds_load_b32 v6, v16 offset:4
	v_mov_b32_e32 v4, v5
                                        ; implicit-def: $vgpr15
.LBB34_88:
	s_and_not1_saveexec_b32 s8, s8
	s_cbranch_execz .LBB34_90
; %bb.89:
	ds_load_b32 v4, v15 offset:4
	s_waitcnt lgkmcnt(1)
	v_mov_b32_e32 v6, v2
.LBB34_90:
	s_or_b32 exec_lo, exec_lo, s8
	v_add_nc_u32_e32 v15, 1, v0
	v_add_nc_u32_e32 v17, 1, v7
	s_waitcnt lgkmcnt(0)
	v_cmp_lt_i32_e64 s9, v4, v6
	s_delay_alu instid0(VALU_DEP_3) | instskip(NEXT) | instid1(VALU_DEP_3)
	v_cndmask_b32_e64 v16, v15, v0, s7
	v_cndmask_b32_e64 v0, v7, v17, s7
                                        ; implicit-def: $vgpr7
	s_delay_alu instid0(VALU_DEP_2) | instskip(NEXT) | instid1(VALU_DEP_2)
	v_cmp_ge_i32_e64 s8, v16, v1
	v_cmp_lt_i32_e64 s10, v0, v3
	s_delay_alu instid0(VALU_DEP_2)
	s_or_b32 s8, s8, s9
	s_delay_alu instid0(VALU_DEP_1) | instid1(SALU_CYCLE_1)
	s_and_b32 s8, s10, s8
	s_delay_alu instid0(SALU_CYCLE_1) | instskip(NEXT) | instid1(SALU_CYCLE_1)
	s_xor_b32 s9, s8, -1
	s_and_saveexec_b32 s10, s9
	s_delay_alu instid0(SALU_CYCLE_1)
	s_xor_b32 s9, exec_lo, s10
	s_cbranch_execz .LBB34_92
; %bb.91:
	v_lshl_add_u32 v7, v16, 2, v11
	ds_load_b32 v7, v7 offset:4
.LBB34_92:
	s_or_saveexec_b32 s9, s9
	v_mov_b32_e32 v15, v4
	s_xor_b32 exec_lo, exec_lo, s9
	s_cbranch_execz .LBB34_94
; %bb.93:
	s_waitcnt lgkmcnt(0)
	v_lshl_add_u32 v7, v0, 2, v11
	ds_load_b32 v15, v7 offset:4
	v_mov_b32_e32 v7, v6
.LBB34_94:
	s_or_b32 exec_lo, exec_lo, s9
	v_add_nc_u32_e32 v17, 1, v16
	v_add_nc_u32_e32 v19, 1, v0
	s_waitcnt lgkmcnt(0)
	v_cmp_lt_i32_e64 s10, v15, v7
	s_delay_alu instid0(VALU_DEP_3) | instskip(NEXT) | instid1(VALU_DEP_3)
	v_cndmask_b32_e64 v18, v17, v16, s8
	v_cndmask_b32_e64 v0, v0, v19, s8
                                        ; implicit-def: $vgpr16
	s_delay_alu instid0(VALU_DEP_2) | instskip(NEXT) | instid1(VALU_DEP_2)
	v_cmp_ge_i32_e64 s9, v18, v1
	v_cmp_lt_i32_e64 s11, v0, v3
	s_delay_alu instid0(VALU_DEP_2)
	s_or_b32 s9, s9, s10
	s_delay_alu instid0(VALU_DEP_1) | instid1(SALU_CYCLE_1)
	s_and_b32 s9, s11, s9
	s_delay_alu instid0(SALU_CYCLE_1) | instskip(NEXT) | instid1(SALU_CYCLE_1)
	s_xor_b32 s10, s9, -1
	s_and_saveexec_b32 s11, s10
	s_delay_alu instid0(SALU_CYCLE_1)
	s_xor_b32 s10, exec_lo, s11
	s_cbranch_execz .LBB34_96
; %bb.95:
	v_lshl_add_u32 v16, v18, 2, v11
	ds_load_b32 v16, v16 offset:4
.LBB34_96:
	s_or_saveexec_b32 s10, s10
	v_mov_b32_e32 v17, v15
	s_xor_b32 exec_lo, exec_lo, s10
	s_cbranch_execz .LBB34_98
; %bb.97:
	s_waitcnt lgkmcnt(0)
	v_lshl_add_u32 v16, v0, 2, v11
	ds_load_b32 v17, v16 offset:4
	v_mov_b32_e32 v16, v7
.LBB34_98:
	s_or_b32 exec_lo, exec_lo, s10
	v_add_nc_u32_e32 v19, 1, v18
	v_add_nc_u32_e32 v21, 1, v0
	s_waitcnt lgkmcnt(0)
	v_cmp_lt_i32_e64 s11, v17, v16
	s_delay_alu instid0(VALU_DEP_3) | instskip(NEXT) | instid1(VALU_DEP_3)
	v_cndmask_b32_e64 v20, v19, v18, s9
	v_cndmask_b32_e64 v0, v0, v21, s9
                                        ; implicit-def: $vgpr18
	s_delay_alu instid0(VALU_DEP_2) | instskip(NEXT) | instid1(VALU_DEP_2)
	v_cmp_ge_i32_e64 s10, v20, v1
	v_cmp_lt_i32_e64 s12, v0, v3
	s_delay_alu instid0(VALU_DEP_2)
	s_or_b32 s10, s10, s11
	s_delay_alu instid0(VALU_DEP_1) | instid1(SALU_CYCLE_1)
	s_and_b32 s10, s12, s10
	s_delay_alu instid0(SALU_CYCLE_1) | instskip(NEXT) | instid1(SALU_CYCLE_1)
	s_xor_b32 s11, s10, -1
	s_and_saveexec_b32 s12, s11
	s_delay_alu instid0(SALU_CYCLE_1)
	s_xor_b32 s11, exec_lo, s12
	s_cbranch_execz .LBB34_100
; %bb.99:
	v_lshl_add_u32 v18, v20, 2, v11
	ds_load_b32 v18, v18 offset:4
.LBB34_100:
	s_or_saveexec_b32 s11, s11
	v_mov_b32_e32 v19, v17
	s_xor_b32 exec_lo, exec_lo, s11
	s_cbranch_execz .LBB34_102
; %bb.101:
	s_waitcnt lgkmcnt(0)
	v_lshl_add_u32 v18, v0, 2, v11
	ds_load_b32 v19, v18 offset:4
	v_mov_b32_e32 v18, v16
.LBB34_102:
	s_or_b32 exec_lo, exec_lo, s11
	v_add_nc_u32_e32 v21, 1, v20
	v_add_nc_u32_e32 v23, 1, v0
	s_waitcnt lgkmcnt(0)
	v_cmp_lt_i32_e64 s12, v19, v18
	s_delay_alu instid0(VALU_DEP_3) | instskip(NEXT) | instid1(VALU_DEP_3)
	v_cndmask_b32_e64 v22, v21, v20, s10
	v_cndmask_b32_e64 v0, v0, v23, s10
                                        ; implicit-def: $vgpr20
	s_delay_alu instid0(VALU_DEP_2) | instskip(NEXT) | instid1(VALU_DEP_2)
	v_cmp_ge_i32_e64 s11, v22, v1
	v_cmp_lt_i32_e64 s13, v0, v3
	s_delay_alu instid0(VALU_DEP_2)
	s_or_b32 s11, s11, s12
	s_delay_alu instid0(VALU_DEP_1) | instid1(SALU_CYCLE_1)
	s_and_b32 s11, s13, s11
	s_delay_alu instid0(SALU_CYCLE_1) | instskip(NEXT) | instid1(SALU_CYCLE_1)
	s_xor_b32 s12, s11, -1
	s_and_saveexec_b32 s13, s12
	s_delay_alu instid0(SALU_CYCLE_1)
	s_xor_b32 s12, exec_lo, s13
	s_cbranch_execz .LBB34_104
; %bb.103:
	v_lshl_add_u32 v20, v22, 2, v11
	ds_load_b32 v20, v20 offset:4
.LBB34_104:
	s_or_saveexec_b32 s12, s12
	v_mov_b32_e32 v21, v19
	s_xor_b32 exec_lo, exec_lo, s12
	s_cbranch_execz .LBB34_106
; %bb.105:
	s_waitcnt lgkmcnt(0)
	v_lshl_add_u32 v20, v0, 2, v11
	ds_load_b32 v21, v20 offset:4
	v_mov_b32_e32 v20, v18
.LBB34_106:
	s_or_b32 exec_lo, exec_lo, s12
	v_add_nc_u32_e32 v23, 1, v22
	v_add_nc_u32_e32 v24, 1, v0
	s_waitcnt lgkmcnt(0)
	v_cmp_lt_i32_e64 s13, v21, v20
	s_delay_alu instid0(VALU_DEP_3) | instskip(NEXT) | instid1(VALU_DEP_3)
	v_cndmask_b32_e64 v23, v23, v22, s11
	v_cndmask_b32_e64 v22, v0, v24, s11
                                        ; implicit-def: $vgpr0
	s_delay_alu instid0(VALU_DEP_2) | instskip(NEXT) | instid1(VALU_DEP_2)
	v_cmp_ge_i32_e64 s12, v23, v1
	v_cmp_lt_i32_e64 s14, v22, v3
	s_delay_alu instid0(VALU_DEP_2)
	s_or_b32 s12, s12, s13
	s_delay_alu instid0(VALU_DEP_1) | instid1(SALU_CYCLE_1)
	s_and_b32 s12, s14, s12
	s_delay_alu instid0(SALU_CYCLE_1) | instskip(NEXT) | instid1(SALU_CYCLE_1)
	s_xor_b32 s13, s12, -1
	s_and_saveexec_b32 s14, s13
	s_delay_alu instid0(SALU_CYCLE_1)
	s_xor_b32 s13, exec_lo, s14
	s_cbranch_execz .LBB34_108
; %bb.107:
	v_lshl_add_u32 v0, v23, 2, v11
	ds_load_b32 v0, v0 offset:4
.LBB34_108:
	s_or_saveexec_b32 s13, s13
	v_mov_b32_e32 v26, v21
	s_xor_b32 exec_lo, exec_lo, s13
	s_cbranch_execz .LBB34_110
; %bb.109:
	s_waitcnt lgkmcnt(0)
	v_lshl_add_u32 v0, v22, 2, v11
	ds_load_b32 v26, v0 offset:4
	v_mov_b32_e32 v0, v20
.LBB34_110:
	s_or_b32 exec_lo, exec_lo, s13
	v_add_nc_u32_e32 v24, 1, v23
	v_add_nc_u32_e32 v27, 1, v22
	s_waitcnt lgkmcnt(0)
	v_cmp_lt_i32_e64 s14, v26, v0
	s_delay_alu instid0(VALU_DEP_3) | instskip(NEXT) | instid1(VALU_DEP_3)
	v_cndmask_b32_e64 v25, v24, v23, s12
	v_cndmask_b32_e64 v24, v22, v27, s12
                                        ; implicit-def: $vgpr23
	s_delay_alu instid0(VALU_DEP_2) | instskip(NEXT) | instid1(VALU_DEP_2)
	v_cmp_ge_i32_e64 s13, v25, v1
	v_cmp_lt_i32_e64 s15, v24, v3
	s_delay_alu instid0(VALU_DEP_2)
	s_or_b32 s13, s13, s14
	s_delay_alu instid0(VALU_DEP_1) | instid1(SALU_CYCLE_1)
	s_and_b32 s13, s15, s13
	s_delay_alu instid0(SALU_CYCLE_1) | instskip(NEXT) | instid1(SALU_CYCLE_1)
	s_xor_b32 s14, s13, -1
	s_and_saveexec_b32 s15, s14
	s_delay_alu instid0(SALU_CYCLE_1)
	s_xor_b32 s14, exec_lo, s15
	s_cbranch_execz .LBB34_112
; %bb.111:
	v_lshl_add_u32 v22, v25, 2, v11
	ds_load_b32 v23, v22 offset:4
.LBB34_112:
	s_or_saveexec_b32 s14, s14
	v_mov_b32_e32 v27, v26
	s_xor_b32 exec_lo, exec_lo, s14
	s_cbranch_execz .LBB34_114
; %bb.113:
	v_lshl_add_u32 v22, v24, 2, v11
	s_waitcnt lgkmcnt(0)
	v_mov_b32_e32 v23, v0
	ds_load_b32 v27, v22 offset:4
.LBB34_114:
	s_or_b32 exec_lo, exec_lo, s14
	v_and_b32_e32 v22, 0x80, v13
	v_cndmask_b32_e64 v26, v0, v26, s13
	v_cndmask_b32_e64 v18, v18, v19, s11
	v_add_nc_u32_e32 v29, 1, v25
	v_cndmask_b32_e64 v7, v7, v15, s9
	v_min_i32_e32 v22, v12, v22
	v_cndmask_b32_e64 v6, v6, v4, s8
	v_and_b32_e32 v15, 0x78, v13
	v_cndmask_b32_e64 v16, v16, v17, s10
	v_cndmask_b32_e64 v17, v2, v5, s7
	v_add_nc_u32_e32 v28, 64, v22
	v_cndmask_b32_e64 v5, v29, v25, s13
	v_min_i32_e32 v2, v12, v15
	s_waitcnt lgkmcnt(0)
	v_cmp_lt_i32_e64 s7, v27, v23
	v_cndmask_b32_e64 v20, v20, v21, s12
	v_min_i32_e32 v0, v12, v28
	v_add_nc_u32_e32 v28, 1, v24
	v_cmp_ge_i32_e64 s8, v5, v1
	v_lshl_add_u32 v1, v22, 2, v11
	s_delay_alu instid0(VALU_DEP_4) | instskip(SKIP_1) | instid1(VALU_DEP_4)
	v_add_nc_u32_e32 v19, 64, v0
	v_sub_nc_u32_e32 v21, v0, v22
	s_or_b32 s7, s8, s7
	s_mov_b32 s8, exec_lo
	; wave barrier
	s_delay_alu instid0(VALU_DEP_2) | instskip(SKIP_2) | instid1(VALU_DEP_3)
	v_min_i32_e32 v4, v12, v19
	v_cndmask_b32_e64 v19, v24, v28, s13
	v_min_i32_e32 v5, v2, v21
	v_sub_nc_u32_e32 v15, v4, v0
	s_delay_alu instid0(VALU_DEP_3) | instskip(NEXT) | instid1(VALU_DEP_2)
	v_cmp_lt_i32_e64 s9, v19, v3
	v_sub_nc_u32_e32 v24, v2, v15
	v_cmp_ge_i32_e64 s10, v2, v15
	s_delay_alu instid0(VALU_DEP_3)
	s_and_b32 s7, s9, s7
	s_mov_b32 s9, 0
	v_cndmask_b32_e64 v15, v23, v27, s7
	ds_store_2addr_b32 v14, v17, v6 offset1:1
	ds_store_2addr_b32 v14, v7, v16 offset0:2 offset1:3
	ds_store_2addr_b32 v14, v18, v20 offset0:4 offset1:5
	;; [unrolled: 1-line block ×3, first 2 shown]
	v_cndmask_b32_e64 v3, 0, v24, s10
	; wave barrier
	s_delay_alu instid0(VALU_DEP_1)
	v_cmpx_lt_i32_e64 v3, v5
	s_cbranch_execz .LBB34_118
; %bb.115:
	v_lshlrev_b32_e32 v6, 2, v0
	v_lshlrev_b32_e32 v7, 2, v2
	s_delay_alu instid0(VALU_DEP_1)
	v_add3_u32 v6, v11, v6, v7
	.p2align	6
.LBB34_116:                             ; =>This Inner Loop Header: Depth=1
	v_sub_nc_u32_e32 v7, v5, v3
	s_delay_alu instid0(VALU_DEP_1) | instskip(NEXT) | instid1(VALU_DEP_1)
	v_lshrrev_b32_e32 v15, 31, v7
	v_add_nc_u32_e32 v7, v7, v15
	s_delay_alu instid0(VALU_DEP_1) | instskip(NEXT) | instid1(VALU_DEP_1)
	v_ashrrev_i32_e32 v7, 1, v7
	v_add_nc_u32_e32 v7, v7, v3
	s_delay_alu instid0(VALU_DEP_1) | instskip(SKIP_2) | instid1(VALU_DEP_3)
	v_not_b32_e32 v15, v7
	v_lshl_add_u32 v16, v7, 2, v1
	v_add_nc_u32_e32 v17, 1, v7
	v_lshl_add_u32 v15, v15, 2, v6
	ds_load_b32 v16, v16
	ds_load_b32 v15, v15
	s_waitcnt lgkmcnt(0)
	v_cmp_lt_i32_e64 s7, v15, v16
	s_delay_alu instid0(VALU_DEP_1) | instskip(SKIP_1) | instid1(VALU_DEP_1)
	v_cndmask_b32_e64 v5, v5, v7, s7
	v_cndmask_b32_e64 v3, v17, v3, s7
	v_cmp_ge_i32_e64 s7, v3, v5
	s_delay_alu instid0(VALU_DEP_1) | instskip(NEXT) | instid1(SALU_CYCLE_1)
	s_or_b32 s9, s7, s9
	s_and_not1_b32 exec_lo, exec_lo, s9
	s_cbranch_execnz .LBB34_116
; %bb.117:
	s_or_b32 exec_lo, exec_lo, s9
.LBB34_118:
	s_delay_alu instid0(SALU_CYCLE_1) | instskip(SKIP_3) | instid1(VALU_DEP_3)
	s_or_b32 exec_lo, exec_lo, s8
	v_add_nc_u32_e32 v2, v0, v2
	v_lshl_add_u32 v16, v3, 2, v1
	v_add_nc_u32_e32 v7, v3, v22
                                        ; implicit-def: $vgpr6
	v_sub_nc_u32_e32 v2, v2, v3
                                        ; implicit-def: $vgpr3
	s_delay_alu instid0(VALU_DEP_2) | instskip(NEXT) | instid1(VALU_DEP_2)
	v_cmp_le_i32_e64 s7, v0, v7
	v_lshl_add_u32 v15, v2, 2, v11
	v_cmp_gt_i32_e64 s9, v4, v2
	ds_load_b32 v1, v16
	ds_load_b32 v5, v15
	s_waitcnt lgkmcnt(0)
	v_cmp_lt_i32_e64 s8, v5, v1
	s_delay_alu instid0(VALU_DEP_1) | instskip(NEXT) | instid1(SALU_CYCLE_1)
	s_or_b32 s7, s7, s8
	s_and_b32 s7, s9, s7
	s_delay_alu instid0(SALU_CYCLE_1) | instskip(NEXT) | instid1(SALU_CYCLE_1)
	s_xor_b32 s8, s7, -1
	s_and_saveexec_b32 s9, s8
	s_delay_alu instid0(SALU_CYCLE_1)
	s_xor_b32 s8, exec_lo, s9
	s_cbranch_execz .LBB34_120
; %bb.119:
	ds_load_b32 v6, v16 offset:4
	v_mov_b32_e32 v3, v5
                                        ; implicit-def: $vgpr15
.LBB34_120:
	s_and_not1_saveexec_b32 s8, s8
	s_cbranch_execz .LBB34_122
; %bb.121:
	ds_load_b32 v3, v15 offset:4
	s_waitcnt lgkmcnt(1)
	v_mov_b32_e32 v6, v1
.LBB34_122:
	s_or_b32 exec_lo, exec_lo, s8
	v_add_nc_u32_e32 v15, 1, v7
	v_add_nc_u32_e32 v17, 1, v2
	s_waitcnt lgkmcnt(0)
	v_cmp_lt_i32_e64 s9, v3, v6
	s_delay_alu instid0(VALU_DEP_3) | instskip(NEXT) | instid1(VALU_DEP_3)
	v_cndmask_b32_e64 v16, v15, v7, s7
	v_cndmask_b32_e64 v2, v2, v17, s7
                                        ; implicit-def: $vgpr7
	s_delay_alu instid0(VALU_DEP_2) | instskip(NEXT) | instid1(VALU_DEP_2)
	v_cmp_ge_i32_e64 s8, v16, v0
	v_cmp_lt_i32_e64 s10, v2, v4
	s_delay_alu instid0(VALU_DEP_2)
	s_or_b32 s8, s8, s9
	s_delay_alu instid0(VALU_DEP_1) | instid1(SALU_CYCLE_1)
	s_and_b32 s8, s10, s8
	s_delay_alu instid0(SALU_CYCLE_1) | instskip(NEXT) | instid1(SALU_CYCLE_1)
	s_xor_b32 s9, s8, -1
	s_and_saveexec_b32 s10, s9
	s_delay_alu instid0(SALU_CYCLE_1)
	s_xor_b32 s9, exec_lo, s10
	s_cbranch_execz .LBB34_124
; %bb.123:
	v_lshl_add_u32 v7, v16, 2, v11
	ds_load_b32 v7, v7 offset:4
.LBB34_124:
	s_or_saveexec_b32 s9, s9
	v_mov_b32_e32 v15, v3
	s_xor_b32 exec_lo, exec_lo, s9
	s_cbranch_execz .LBB34_126
; %bb.125:
	s_waitcnt lgkmcnt(0)
	v_lshl_add_u32 v7, v2, 2, v11
	ds_load_b32 v15, v7 offset:4
	v_mov_b32_e32 v7, v6
.LBB34_126:
	s_or_b32 exec_lo, exec_lo, s9
	v_add_nc_u32_e32 v17, 1, v16
	v_add_nc_u32_e32 v19, 1, v2
	s_waitcnt lgkmcnt(0)
	v_cmp_lt_i32_e64 s10, v15, v7
	s_delay_alu instid0(VALU_DEP_3) | instskip(NEXT) | instid1(VALU_DEP_3)
	v_cndmask_b32_e64 v18, v17, v16, s8
	v_cndmask_b32_e64 v2, v2, v19, s8
                                        ; implicit-def: $vgpr16
	s_delay_alu instid0(VALU_DEP_2) | instskip(NEXT) | instid1(VALU_DEP_2)
	v_cmp_ge_i32_e64 s9, v18, v0
	v_cmp_lt_i32_e64 s11, v2, v4
	s_delay_alu instid0(VALU_DEP_2)
	s_or_b32 s9, s9, s10
	s_delay_alu instid0(VALU_DEP_1) | instid1(SALU_CYCLE_1)
	s_and_b32 s9, s11, s9
	s_delay_alu instid0(SALU_CYCLE_1) | instskip(NEXT) | instid1(SALU_CYCLE_1)
	s_xor_b32 s10, s9, -1
	s_and_saveexec_b32 s11, s10
	s_delay_alu instid0(SALU_CYCLE_1)
	s_xor_b32 s10, exec_lo, s11
	s_cbranch_execz .LBB34_128
; %bb.127:
	v_lshl_add_u32 v16, v18, 2, v11
	ds_load_b32 v16, v16 offset:4
.LBB34_128:
	s_or_saveexec_b32 s10, s10
	v_mov_b32_e32 v17, v15
	s_xor_b32 exec_lo, exec_lo, s10
	s_cbranch_execz .LBB34_130
; %bb.129:
	s_waitcnt lgkmcnt(0)
	v_lshl_add_u32 v16, v2, 2, v11
	ds_load_b32 v17, v16 offset:4
	v_mov_b32_e32 v16, v7
.LBB34_130:
	s_or_b32 exec_lo, exec_lo, s10
	v_add_nc_u32_e32 v19, 1, v18
	v_add_nc_u32_e32 v21, 1, v2
	s_waitcnt lgkmcnt(0)
	v_cmp_lt_i32_e64 s11, v17, v16
	s_delay_alu instid0(VALU_DEP_3) | instskip(NEXT) | instid1(VALU_DEP_3)
	v_cndmask_b32_e64 v20, v19, v18, s9
	v_cndmask_b32_e64 v2, v2, v21, s9
                                        ; implicit-def: $vgpr18
	s_delay_alu instid0(VALU_DEP_2) | instskip(NEXT) | instid1(VALU_DEP_2)
	v_cmp_ge_i32_e64 s10, v20, v0
	v_cmp_lt_i32_e64 s12, v2, v4
	s_delay_alu instid0(VALU_DEP_2)
	s_or_b32 s10, s10, s11
	s_delay_alu instid0(VALU_DEP_1) | instid1(SALU_CYCLE_1)
	s_and_b32 s10, s12, s10
	s_delay_alu instid0(SALU_CYCLE_1) | instskip(NEXT) | instid1(SALU_CYCLE_1)
	s_xor_b32 s11, s10, -1
	s_and_saveexec_b32 s12, s11
	s_delay_alu instid0(SALU_CYCLE_1)
	s_xor_b32 s11, exec_lo, s12
	s_cbranch_execz .LBB34_132
; %bb.131:
	v_lshl_add_u32 v18, v20, 2, v11
	ds_load_b32 v18, v18 offset:4
.LBB34_132:
	s_or_saveexec_b32 s11, s11
	v_mov_b32_e32 v19, v17
	s_xor_b32 exec_lo, exec_lo, s11
	s_cbranch_execz .LBB34_134
; %bb.133:
	s_waitcnt lgkmcnt(0)
	v_lshl_add_u32 v18, v2, 2, v11
	ds_load_b32 v19, v18 offset:4
	v_mov_b32_e32 v18, v16
.LBB34_134:
	s_or_b32 exec_lo, exec_lo, s11
	v_add_nc_u32_e32 v21, 1, v20
	v_add_nc_u32_e32 v23, 1, v2
	s_waitcnt lgkmcnt(0)
	v_cmp_lt_i32_e64 s12, v19, v18
	s_delay_alu instid0(VALU_DEP_3) | instskip(NEXT) | instid1(VALU_DEP_3)
	v_cndmask_b32_e64 v22, v21, v20, s10
	v_cndmask_b32_e64 v2, v2, v23, s10
                                        ; implicit-def: $vgpr20
	s_delay_alu instid0(VALU_DEP_2) | instskip(NEXT) | instid1(VALU_DEP_2)
	v_cmp_ge_i32_e64 s11, v22, v0
	v_cmp_lt_i32_e64 s13, v2, v4
	s_delay_alu instid0(VALU_DEP_2)
	s_or_b32 s11, s11, s12
	s_delay_alu instid0(VALU_DEP_1) | instid1(SALU_CYCLE_1)
	s_and_b32 s11, s13, s11
	s_delay_alu instid0(SALU_CYCLE_1) | instskip(NEXT) | instid1(SALU_CYCLE_1)
	s_xor_b32 s12, s11, -1
	s_and_saveexec_b32 s13, s12
	s_delay_alu instid0(SALU_CYCLE_1)
	s_xor_b32 s12, exec_lo, s13
	s_cbranch_execz .LBB34_136
; %bb.135:
	v_lshl_add_u32 v20, v22, 2, v11
	ds_load_b32 v20, v20 offset:4
.LBB34_136:
	s_or_saveexec_b32 s12, s12
	v_mov_b32_e32 v21, v19
	s_xor_b32 exec_lo, exec_lo, s12
	s_cbranch_execz .LBB34_138
; %bb.137:
	s_waitcnt lgkmcnt(0)
	v_lshl_add_u32 v20, v2, 2, v11
	ds_load_b32 v21, v20 offset:4
	v_mov_b32_e32 v20, v18
.LBB34_138:
	s_or_b32 exec_lo, exec_lo, s12
	v_add_nc_u32_e32 v23, 1, v22
	v_add_nc_u32_e32 v24, 1, v2
	s_waitcnt lgkmcnt(0)
	v_cmp_lt_i32_e64 s13, v21, v20
	s_delay_alu instid0(VALU_DEP_3) | instskip(NEXT) | instid1(VALU_DEP_3)
	v_cndmask_b32_e64 v23, v23, v22, s11
	v_cndmask_b32_e64 v22, v2, v24, s11
                                        ; implicit-def: $vgpr2
	s_delay_alu instid0(VALU_DEP_2) | instskip(NEXT) | instid1(VALU_DEP_2)
	v_cmp_ge_i32_e64 s12, v23, v0
	v_cmp_lt_i32_e64 s14, v22, v4
	s_delay_alu instid0(VALU_DEP_2)
	s_or_b32 s12, s12, s13
	s_delay_alu instid0(VALU_DEP_1) | instid1(SALU_CYCLE_1)
	s_and_b32 s12, s14, s12
	s_delay_alu instid0(SALU_CYCLE_1) | instskip(NEXT) | instid1(SALU_CYCLE_1)
	s_xor_b32 s13, s12, -1
	s_and_saveexec_b32 s14, s13
	s_delay_alu instid0(SALU_CYCLE_1)
	s_xor_b32 s13, exec_lo, s14
	s_cbranch_execz .LBB34_140
; %bb.139:
	v_lshl_add_u32 v2, v23, 2, v11
	ds_load_b32 v2, v2 offset:4
.LBB34_140:
	s_or_saveexec_b32 s13, s13
	v_mov_b32_e32 v26, v21
	s_xor_b32 exec_lo, exec_lo, s13
	s_cbranch_execz .LBB34_142
; %bb.141:
	s_waitcnt lgkmcnt(0)
	v_lshl_add_u32 v2, v22, 2, v11
	ds_load_b32 v26, v2 offset:4
	v_mov_b32_e32 v2, v20
.LBB34_142:
	s_or_b32 exec_lo, exec_lo, s13
	v_add_nc_u32_e32 v24, 1, v23
	v_add_nc_u32_e32 v27, 1, v22
	s_waitcnt lgkmcnt(0)
	v_cmp_lt_i32_e64 s14, v26, v2
	s_delay_alu instid0(VALU_DEP_3) | instskip(NEXT) | instid1(VALU_DEP_3)
	v_cndmask_b32_e64 v25, v24, v23, s12
	v_cndmask_b32_e64 v24, v22, v27, s12
                                        ; implicit-def: $vgpr23
	s_delay_alu instid0(VALU_DEP_2) | instskip(NEXT) | instid1(VALU_DEP_2)
	v_cmp_ge_i32_e64 s13, v25, v0
	v_cmp_lt_i32_e64 s15, v24, v4
	s_delay_alu instid0(VALU_DEP_2)
	s_or_b32 s13, s13, s14
	s_delay_alu instid0(VALU_DEP_1) | instid1(SALU_CYCLE_1)
	s_and_b32 s13, s15, s13
	s_delay_alu instid0(SALU_CYCLE_1) | instskip(NEXT) | instid1(SALU_CYCLE_1)
	s_xor_b32 s14, s13, -1
	s_and_saveexec_b32 s15, s14
	s_delay_alu instid0(SALU_CYCLE_1)
	s_xor_b32 s14, exec_lo, s15
	s_cbranch_execz .LBB34_144
; %bb.143:
	v_lshl_add_u32 v22, v25, 2, v11
	ds_load_b32 v23, v22 offset:4
.LBB34_144:
	s_or_saveexec_b32 s14, s14
	v_mov_b32_e32 v27, v26
	s_xor_b32 exec_lo, exec_lo, s14
	s_cbranch_execz .LBB34_146
; %bb.145:
	v_lshl_add_u32 v22, v24, 2, v11
	s_waitcnt lgkmcnt(0)
	v_mov_b32_e32 v23, v2
	ds_load_b32 v27, v22 offset:4
.LBB34_146:
	s_or_b32 exec_lo, exec_lo, s14
	v_min_i32_e32 v22, 0, v12
	v_cndmask_b32_e64 v26, v2, v26, s13
	v_cndmask_b32_e64 v18, v18, v19, s11
	v_add_nc_u32_e32 v29, 1, v25
	v_cndmask_b32_e64 v6, v6, v3, s8
	v_add_nc_u32_e32 v28, 0x80, v22
	v_and_b32_e32 v13, 0xf8, v13
	v_cndmask_b32_e64 v7, v7, v15, s9
	v_cndmask_b32_e64 v15, v1, v5, s7
	;; [unrolled: 1-line block ×3, first 2 shown]
	v_min_i32_e32 v2, v12, v28
	v_add_nc_u32_e32 v28, 1, v24
	v_min_i32_e32 v1, v12, v13
	s_waitcnt lgkmcnt(0)
	v_cmp_lt_i32_e64 s7, v27, v23
	v_cmp_ge_i32_e64 s8, v5, v0
	v_add_nc_u32_e32 v19, 0x80, v2
	v_cndmask_b32_e64 v13, v24, v28, s13
	v_cndmask_b32_e64 v16, v16, v17, s10
	v_sub_nc_u32_e32 v17, v2, v22
	s_or_b32 s7, s8, s7
	v_min_i32_e32 v3, v12, v19
	v_cmp_lt_i32_e64 s9, v13, v4
	v_lshl_add_u32 v4, v22, 2, v11
	v_min_i32_e32 v5, v1, v17
	v_cndmask_b32_e64 v20, v20, v21, s12
	v_sub_nc_u32_e32 v12, v3, v2
	s_and_b32 s7, s9, s7
	s_mov_b32 s9, 0
	s_mov_b32 s8, exec_lo
	s_delay_alu instid0(VALU_DEP_1)
	v_sub_nc_u32_e32 v19, v1, v12
	v_cmp_ge_i32_e64 s10, v1, v12
	v_cndmask_b32_e64 v12, v23, v27, s7
	; wave barrier
	ds_store_2addr_b32 v14, v15, v6 offset1:1
	ds_store_2addr_b32 v14, v7, v16 offset0:2 offset1:3
	ds_store_2addr_b32 v14, v18, v20 offset0:4 offset1:5
	;; [unrolled: 1-line block ×3, first 2 shown]
	v_cndmask_b32_e64 v0, 0, v19, s10
	; wave barrier
	s_delay_alu instid0(VALU_DEP_1)
	v_cmpx_lt_i32_e64 v0, v5
	s_cbranch_execz .LBB34_150
; %bb.147:
	v_lshlrev_b32_e32 v6, 2, v2
	v_lshlrev_b32_e32 v7, 2, v1
	s_delay_alu instid0(VALU_DEP_1)
	v_add3_u32 v6, v11, v6, v7
	.p2align	6
.LBB34_148:                             ; =>This Inner Loop Header: Depth=1
	v_sub_nc_u32_e32 v7, v5, v0
	s_delay_alu instid0(VALU_DEP_1) | instskip(NEXT) | instid1(VALU_DEP_1)
	v_lshrrev_b32_e32 v12, 31, v7
	v_add_nc_u32_e32 v7, v7, v12
	s_delay_alu instid0(VALU_DEP_1) | instskip(NEXT) | instid1(VALU_DEP_1)
	v_ashrrev_i32_e32 v7, 1, v7
	v_add_nc_u32_e32 v7, v7, v0
	s_delay_alu instid0(VALU_DEP_1) | instskip(SKIP_2) | instid1(VALU_DEP_3)
	v_not_b32_e32 v12, v7
	v_lshl_add_u32 v13, v7, 2, v4
	v_add_nc_u32_e32 v14, 1, v7
	v_lshl_add_u32 v12, v12, 2, v6
	ds_load_b32 v13, v13
	ds_load_b32 v12, v12
	s_waitcnt lgkmcnt(0)
	v_cmp_lt_i32_e64 s7, v12, v13
	s_delay_alu instid0(VALU_DEP_1) | instskip(SKIP_1) | instid1(VALU_DEP_1)
	v_cndmask_b32_e64 v5, v5, v7, s7
	v_cndmask_b32_e64 v0, v14, v0, s7
	v_cmp_ge_i32_e64 s7, v0, v5
	s_delay_alu instid0(VALU_DEP_1) | instskip(NEXT) | instid1(SALU_CYCLE_1)
	s_or_b32 s9, s7, s9
	s_and_not1_b32 exec_lo, exec_lo, s9
	s_cbranch_execnz .LBB34_148
; %bb.149:
	s_or_b32 exec_lo, exec_lo, s9
.LBB34_150:
	s_delay_alu instid0(SALU_CYCLE_1) | instskip(SKIP_2) | instid1(VALU_DEP_2)
	s_or_b32 exec_lo, exec_lo, s8
	v_add_nc_u32_e32 v1, v2, v1
	v_lshl_add_u32 v13, v0, 2, v4
                                        ; implicit-def: $vgpr6
                                        ; implicit-def: $vgpr7
	v_sub_nc_u32_e32 v1, v1, v0
	v_add_nc_u32_e32 v0, v0, v22
	s_delay_alu instid0(VALU_DEP_2) | instskip(NEXT) | instid1(VALU_DEP_2)
	v_lshl_add_u32 v12, v1, 2, v11
	v_cmp_le_i32_e64 s7, v2, v0
	v_cmp_gt_i32_e64 s9, v3, v1
	ds_load_b32 v4, v13
	ds_load_b32 v5, v12
	s_waitcnt lgkmcnt(0)
	v_cmp_lt_i32_e64 s8, v5, v4
	s_delay_alu instid0(VALU_DEP_1) | instskip(NEXT) | instid1(SALU_CYCLE_1)
	s_or_b32 s7, s7, s8
	s_and_b32 s7, s9, s7
	s_delay_alu instid0(SALU_CYCLE_1) | instskip(NEXT) | instid1(SALU_CYCLE_1)
	s_xor_b32 s8, s7, -1
	s_and_saveexec_b32 s9, s8
	s_delay_alu instid0(SALU_CYCLE_1)
	s_xor_b32 s8, exec_lo, s9
	s_cbranch_execz .LBB34_152
; %bb.151:
	ds_load_b32 v7, v13 offset:4
	v_mov_b32_e32 v6, v5
                                        ; implicit-def: $vgpr12
.LBB34_152:
	s_and_not1_saveexec_b32 s8, s8
	s_cbranch_execz .LBB34_154
; %bb.153:
	ds_load_b32 v6, v12 offset:4
	s_waitcnt lgkmcnt(1)
	v_mov_b32_e32 v7, v4
.LBB34_154:
	s_or_b32 exec_lo, exec_lo, s8
	v_add_nc_u32_e32 v12, 1, v0
	v_add_nc_u32_e32 v13, 1, v1
	s_waitcnt lgkmcnt(0)
	v_cmp_lt_i32_e64 s9, v6, v7
	s_delay_alu instid0(VALU_DEP_3) | instskip(NEXT) | instid1(VALU_DEP_3)
	v_cndmask_b32_e64 v14, v12, v0, s7
	v_cndmask_b32_e64 v0, v1, v13, s7
                                        ; implicit-def: $vgpr12
	s_delay_alu instid0(VALU_DEP_2) | instskip(NEXT) | instid1(VALU_DEP_2)
	v_cmp_ge_i32_e64 s8, v14, v2
	v_cmp_lt_i32_e64 s10, v0, v3
	s_delay_alu instid0(VALU_DEP_2)
	s_or_b32 s8, s8, s9
	s_delay_alu instid0(VALU_DEP_1) | instid1(SALU_CYCLE_1)
	s_and_b32 s8, s10, s8
	s_delay_alu instid0(SALU_CYCLE_1) | instskip(NEXT) | instid1(SALU_CYCLE_1)
	s_xor_b32 s9, s8, -1
	s_and_saveexec_b32 s10, s9
	s_delay_alu instid0(SALU_CYCLE_1)
	s_xor_b32 s9, exec_lo, s10
	s_cbranch_execz .LBB34_156
; %bb.155:
	v_lshl_add_u32 v1, v14, 2, v11
	ds_load_b32 v12, v1 offset:4
.LBB34_156:
	s_or_saveexec_b32 s9, s9
	v_mov_b32_e32 v13, v6
	s_xor_b32 exec_lo, exec_lo, s9
	s_cbranch_execz .LBB34_158
; %bb.157:
	v_lshl_add_u32 v1, v0, 2, v11
	s_waitcnt lgkmcnt(0)
	v_mov_b32_e32 v12, v7
	ds_load_b32 v13, v1 offset:4
.LBB34_158:
	s_or_b32 exec_lo, exec_lo, s9
	v_add_nc_u32_e32 v1, 1, v14
	v_add_nc_u32_e32 v15, 1, v0
	s_waitcnt lgkmcnt(0)
	v_cmp_lt_i32_e64 s10, v13, v12
	s_delay_alu instid0(VALU_DEP_3) | instskip(NEXT) | instid1(VALU_DEP_3)
	v_cndmask_b32_e64 v1, v1, v14, s8
	v_cndmask_b32_e64 v0, v0, v15, s8
                                        ; implicit-def: $vgpr14
	s_delay_alu instid0(VALU_DEP_2) | instskip(NEXT) | instid1(VALU_DEP_2)
	v_cmp_ge_i32_e64 s9, v1, v2
	v_cmp_lt_i32_e64 s11, v0, v3
	s_delay_alu instid0(VALU_DEP_2)
	s_or_b32 s9, s9, s10
	s_delay_alu instid0(VALU_DEP_1) | instid1(SALU_CYCLE_1)
	s_and_b32 s9, s11, s9
	s_delay_alu instid0(SALU_CYCLE_1) | instskip(NEXT) | instid1(SALU_CYCLE_1)
	s_xor_b32 s10, s9, -1
	s_and_saveexec_b32 s11, s10
	s_delay_alu instid0(SALU_CYCLE_1)
	s_xor_b32 s10, exec_lo, s11
	s_cbranch_execz .LBB34_160
; %bb.159:
	v_lshl_add_u32 v14, v1, 2, v11
	ds_load_b32 v14, v14 offset:4
.LBB34_160:
	s_or_saveexec_b32 s10, s10
	v_mov_b32_e32 v15, v13
	s_xor_b32 exec_lo, exec_lo, s10
	s_cbranch_execz .LBB34_162
; %bb.161:
	s_waitcnt lgkmcnt(0)
	v_lshl_add_u32 v14, v0, 2, v11
	ds_load_b32 v15, v14 offset:4
	v_mov_b32_e32 v14, v12
.LBB34_162:
	s_or_b32 exec_lo, exec_lo, s10
	v_add_nc_u32_e32 v16, 1, v1
	v_add_nc_u32_e32 v17, 1, v0
	s_waitcnt lgkmcnt(0)
	v_cmp_lt_i32_e64 s11, v15, v14
	s_delay_alu instid0(VALU_DEP_3) | instskip(NEXT) | instid1(VALU_DEP_3)
	v_cndmask_b32_e64 v1, v16, v1, s9
	v_cndmask_b32_e64 v0, v0, v17, s9
                                        ; implicit-def: $vgpr16
	s_delay_alu instid0(VALU_DEP_2) | instskip(NEXT) | instid1(VALU_DEP_2)
	v_cmp_ge_i32_e64 s10, v1, v2
	v_cmp_lt_i32_e64 s12, v0, v3
	s_delay_alu instid0(VALU_DEP_2)
	s_or_b32 s10, s10, s11
	s_delay_alu instid0(VALU_DEP_1) | instid1(SALU_CYCLE_1)
	s_and_b32 s10, s12, s10
	s_delay_alu instid0(SALU_CYCLE_1) | instskip(NEXT) | instid1(SALU_CYCLE_1)
	s_xor_b32 s11, s10, -1
	s_and_saveexec_b32 s12, s11
	s_delay_alu instid0(SALU_CYCLE_1)
	s_xor_b32 s11, exec_lo, s12
	s_cbranch_execz .LBB34_164
; %bb.163:
	v_lshl_add_u32 v16, v1, 2, v11
	ds_load_b32 v16, v16 offset:4
.LBB34_164:
	s_or_saveexec_b32 s11, s11
	v_mov_b32_e32 v17, v15
	s_xor_b32 exec_lo, exec_lo, s11
	s_cbranch_execz .LBB34_166
; %bb.165:
	s_waitcnt lgkmcnt(0)
	v_lshl_add_u32 v16, v0, 2, v11
	ds_load_b32 v17, v16 offset:4
	v_mov_b32_e32 v16, v14
.LBB34_166:
	s_or_b32 exec_lo, exec_lo, s11
	v_add_nc_u32_e32 v18, 1, v1
	v_add_nc_u32_e32 v19, 1, v0
	s_waitcnt lgkmcnt(0)
	v_cmp_lt_i32_e64 s12, v17, v16
	s_delay_alu instid0(VALU_DEP_3) | instskip(NEXT) | instid1(VALU_DEP_3)
	v_cndmask_b32_e64 v1, v18, v1, s10
	v_cndmask_b32_e64 v0, v0, v19, s10
                                        ; implicit-def: $vgpr18
	s_delay_alu instid0(VALU_DEP_2) | instskip(NEXT) | instid1(VALU_DEP_2)
	v_cmp_ge_i32_e64 s11, v1, v2
	v_cmp_lt_i32_e64 s13, v0, v3
	s_delay_alu instid0(VALU_DEP_2)
	s_or_b32 s11, s11, s12
	s_delay_alu instid0(VALU_DEP_1) | instid1(SALU_CYCLE_1)
	s_and_b32 s11, s13, s11
	s_delay_alu instid0(SALU_CYCLE_1) | instskip(NEXT) | instid1(SALU_CYCLE_1)
	s_xor_b32 s12, s11, -1
	s_and_saveexec_b32 s13, s12
	s_delay_alu instid0(SALU_CYCLE_1)
	s_xor_b32 s12, exec_lo, s13
	s_cbranch_execz .LBB34_168
; %bb.167:
	v_lshl_add_u32 v18, v1, 2, v11
	ds_load_b32 v18, v18 offset:4
.LBB34_168:
	s_or_saveexec_b32 s12, s12
	v_mov_b32_e32 v19, v17
	s_xor_b32 exec_lo, exec_lo, s12
	s_cbranch_execz .LBB34_170
; %bb.169:
	s_waitcnt lgkmcnt(0)
	v_lshl_add_u32 v18, v0, 2, v11
	ds_load_b32 v19, v18 offset:4
	v_mov_b32_e32 v18, v16
.LBB34_170:
	s_or_b32 exec_lo, exec_lo, s12
	v_add_nc_u32_e32 v20, 1, v1
	v_add_nc_u32_e32 v21, 1, v0
	s_waitcnt lgkmcnt(0)
	v_cmp_lt_i32_e64 s13, v19, v18
	s_delay_alu instid0(VALU_DEP_3) | instskip(NEXT) | instid1(VALU_DEP_3)
	v_cndmask_b32_e64 v22, v20, v1, s11
	v_cndmask_b32_e64 v1, v0, v21, s11
                                        ; implicit-def: $vgpr20
	s_delay_alu instid0(VALU_DEP_2) | instskip(NEXT) | instid1(VALU_DEP_2)
	v_cmp_ge_i32_e64 s12, v22, v2
	v_cmp_lt_i32_e64 s14, v1, v3
	s_delay_alu instid0(VALU_DEP_2)
	s_or_b32 s12, s12, s13
	s_delay_alu instid0(VALU_DEP_1) | instid1(SALU_CYCLE_1)
	s_and_b32 s12, s14, s12
	s_delay_alu instid0(SALU_CYCLE_1) | instskip(NEXT) | instid1(SALU_CYCLE_1)
	s_xor_b32 s13, s12, -1
	s_and_saveexec_b32 s14, s13
	s_delay_alu instid0(SALU_CYCLE_1)
	s_xor_b32 s13, exec_lo, s14
	s_cbranch_execz .LBB34_172
; %bb.171:
	v_lshl_add_u32 v0, v22, 2, v11
	ds_load_b32 v20, v0 offset:4
.LBB34_172:
	s_or_saveexec_b32 s13, s13
	v_mov_b32_e32 v21, v19
	s_xor_b32 exec_lo, exec_lo, s13
	s_cbranch_execz .LBB34_174
; %bb.173:
	v_lshl_add_u32 v0, v1, 2, v11
	s_waitcnt lgkmcnt(0)
	v_mov_b32_e32 v20, v18
	ds_load_b32 v21, v0 offset:4
.LBB34_174:
	s_or_b32 exec_lo, exec_lo, s13
	v_add_nc_u32_e32 v0, 1, v22
	v_add_nc_u32_e32 v23, 1, v1
	s_waitcnt lgkmcnt(0)
	v_cmp_lt_i32_e64 s14, v21, v20
                                        ; implicit-def: $vgpr24
	s_delay_alu instid0(VALU_DEP_3) | instskip(NEXT) | instid1(VALU_DEP_3)
	v_cndmask_b32_e64 v0, v0, v22, s12
	v_cndmask_b32_e64 v22, v1, v23, s12
                                        ; implicit-def: $vgpr23
	s_delay_alu instid0(VALU_DEP_2) | instskip(NEXT) | instid1(VALU_DEP_2)
	v_cmp_ge_i32_e64 s13, v0, v2
	v_cmp_lt_i32_e64 s15, v22, v3
	s_delay_alu instid0(VALU_DEP_2)
	s_or_b32 s13, s13, s14
	s_delay_alu instid0(VALU_DEP_1) | instid1(SALU_CYCLE_1)
	s_and_b32 s13, s15, s13
	s_delay_alu instid0(SALU_CYCLE_1) | instskip(NEXT) | instid1(SALU_CYCLE_1)
	s_xor_b32 s14, s13, -1
	s_and_saveexec_b32 s15, s14
	s_delay_alu instid0(SALU_CYCLE_1)
	s_xor_b32 s14, exec_lo, s15
	s_cbranch_execz .LBB34_176
; %bb.175:
	v_lshl_add_u32 v1, v0, 2, v11
	v_add_nc_u32_e32 v24, 1, v0
                                        ; implicit-def: $vgpr0
                                        ; implicit-def: $vgpr11
	ds_load_b32 v23, v1 offset:4
.LBB34_176:
	s_or_saveexec_b32 s14, s14
	v_mov_b32_e32 v25, v21
	s_xor_b32 exec_lo, exec_lo, s14
	s_cbranch_execz .LBB34_178
; %bb.177:
	v_lshl_add_u32 v1, v22, 2, v11
	s_waitcnt lgkmcnt(0)
	v_dual_mov_b32 v23, v20 :: v_dual_add_nc_u32 v22, 1, v22
	v_mov_b32_e32 v24, v0
	ds_load_b32 v25, v1 offset:4
.LBB34_178:
	s_or_b32 exec_lo, exec_lo, s14
	v_add_co_u32 v0, s14, s18, v8
	s_delay_alu instid0(VALU_DEP_1) | instskip(NEXT) | instid1(VALU_DEP_2)
	v_add_co_ci_u32_e64 v1, s14, s19, v9, s14
	v_add_co_u32 v0, s14, v0, v10
	s_delay_alu instid0(VALU_DEP_1)
	v_add_co_ci_u32_e64 v1, s14, 0, v1, s14
	s_and_saveexec_b32 s14, vcc_lo
	s_cbranch_execnz .LBB34_187
; %bb.179:
	s_or_b32 exec_lo, exec_lo, s14
	s_and_saveexec_b32 s7, s0
	s_cbranch_execnz .LBB34_188
.LBB34_180:
	s_or_b32 exec_lo, exec_lo, s7
	s_and_saveexec_b32 s0, s1
	s_cbranch_execnz .LBB34_189
.LBB34_181:
	s_or_b32 exec_lo, exec_lo, s0
	s_and_saveexec_b32 s0, s2
	s_cbranch_execnz .LBB34_190
.LBB34_182:
	s_or_b32 exec_lo, exec_lo, s0
	s_and_saveexec_b32 s0, s3
	s_cbranch_execnz .LBB34_191
.LBB34_183:
	s_or_b32 exec_lo, exec_lo, s0
	s_and_saveexec_b32 s0, s4
	s_cbranch_execnz .LBB34_192
.LBB34_184:
	s_or_b32 exec_lo, exec_lo, s0
	s_and_saveexec_b32 s0, s5
	s_cbranch_execnz .LBB34_193
.LBB34_185:
	s_or_b32 exec_lo, exec_lo, s0
	s_and_saveexec_b32 s0, s6
	s_cbranch_execnz .LBB34_194
.LBB34_186:
	s_nop 0
	s_sendmsg sendmsg(MSG_DEALLOC_VGPRS)
	s_endpgm
.LBB34_187:
	v_cndmask_b32_e64 v4, v4, v5, s7
	global_store_b32 v[0:1], v4, off
	s_or_b32 exec_lo, exec_lo, s14
	s_and_saveexec_b32 s7, s0
	s_cbranch_execz .LBB34_180
.LBB34_188:
	v_cndmask_b32_e64 v4, v7, v6, s8
	global_store_b32 v[0:1], v4, off offset:4
	s_or_b32 exec_lo, exec_lo, s7
	s_and_saveexec_b32 s0, s1
	s_cbranch_execz .LBB34_181
.LBB34_189:
	v_cndmask_b32_e64 v4, v12, v13, s9
	global_store_b32 v[0:1], v4, off offset:8
	s_or_b32 exec_lo, exec_lo, s0
	s_and_saveexec_b32 s0, s2
	s_cbranch_execz .LBB34_182
.LBB34_190:
	v_cndmask_b32_e64 v4, v14, v15, s10
	global_store_b32 v[0:1], v4, off offset:12
	s_or_b32 exec_lo, exec_lo, s0
	s_and_saveexec_b32 s0, s3
	s_cbranch_execz .LBB34_183
.LBB34_191:
	v_cndmask_b32_e64 v4, v16, v17, s11
	global_store_b32 v[0:1], v4, off offset:16
	s_or_b32 exec_lo, exec_lo, s0
	s_and_saveexec_b32 s0, s4
	s_cbranch_execz .LBB34_184
.LBB34_192:
	v_cndmask_b32_e64 v4, v18, v19, s12
	global_store_b32 v[0:1], v4, off offset:20
	s_or_b32 exec_lo, exec_lo, s0
	s_and_saveexec_b32 s0, s5
	s_cbranch_execz .LBB34_185
.LBB34_193:
	v_cndmask_b32_e64 v4, v20, v21, s13
	global_store_b32 v[0:1], v4, off offset:24
	s_or_b32 exec_lo, exec_lo, s0
	s_and_saveexec_b32 s0, s6
	s_cbranch_execz .LBB34_186
.LBB34_194:
	v_cmp_ge_i32_e32 vcc_lo, v24, v2
	s_waitcnt lgkmcnt(0)
	v_cmp_lt_i32_e64 s0, v25, v23
	v_cmp_lt_i32_e64 s1, v22, v3
	s_delay_alu instid0(VALU_DEP_2)
	s_or_b32 s0, vcc_lo, s0
	s_delay_alu instid0(VALU_DEP_1) | instid1(SALU_CYCLE_1)
	s_and_b32 vcc_lo, s1, s0
	v_cndmask_b32_e32 v2, v23, v25, vcc_lo
	global_store_b32 v[0:1], v2, off offset:28
	s_nop 0
	s_sendmsg sendmsg(MSG_DEALLOC_VGPRS)
	s_endpgm
	.section	.rodata,"a",@progbits
	.p2align	6, 0x0
	.amdhsa_kernel _Z19sort_keys_segmentedILj256ELj32ELj8EiN10test_utils4lessEEvPKT2_PS2_PKjT3_
		.amdhsa_group_segment_fixed_size 8224
		.amdhsa_private_segment_fixed_size 0
		.amdhsa_kernarg_size 28
		.amdhsa_user_sgpr_count 15
		.amdhsa_user_sgpr_dispatch_ptr 0
		.amdhsa_user_sgpr_queue_ptr 0
		.amdhsa_user_sgpr_kernarg_segment_ptr 1
		.amdhsa_user_sgpr_dispatch_id 0
		.amdhsa_user_sgpr_private_segment_size 0
		.amdhsa_wavefront_size32 1
		.amdhsa_uses_dynamic_stack 0
		.amdhsa_enable_private_segment 0
		.amdhsa_system_sgpr_workgroup_id_x 1
		.amdhsa_system_sgpr_workgroup_id_y 0
		.amdhsa_system_sgpr_workgroup_id_z 0
		.amdhsa_system_sgpr_workgroup_info 0
		.amdhsa_system_vgpr_workitem_id 0
		.amdhsa_next_free_vgpr 30
		.amdhsa_next_free_sgpr 20
		.amdhsa_reserve_vcc 1
		.amdhsa_float_round_mode_32 0
		.amdhsa_float_round_mode_16_64 0
		.amdhsa_float_denorm_mode_32 3
		.amdhsa_float_denorm_mode_16_64 3
		.amdhsa_dx10_clamp 1
		.amdhsa_ieee_mode 1
		.amdhsa_fp16_overflow 0
		.amdhsa_workgroup_processor_mode 1
		.amdhsa_memory_ordered 1
		.amdhsa_forward_progress 0
		.amdhsa_shared_vgpr_count 0
		.amdhsa_exception_fp_ieee_invalid_op 0
		.amdhsa_exception_fp_denorm_src 0
		.amdhsa_exception_fp_ieee_div_zero 0
		.amdhsa_exception_fp_ieee_overflow 0
		.amdhsa_exception_fp_ieee_underflow 0
		.amdhsa_exception_fp_ieee_inexact 0
		.amdhsa_exception_int_div_zero 0
	.end_amdhsa_kernel
	.section	.text._Z19sort_keys_segmentedILj256ELj32ELj8EiN10test_utils4lessEEvPKT2_PS2_PKjT3_,"axG",@progbits,_Z19sort_keys_segmentedILj256ELj32ELj8EiN10test_utils4lessEEvPKT2_PS2_PKjT3_,comdat
.Lfunc_end34:
	.size	_Z19sort_keys_segmentedILj256ELj32ELj8EiN10test_utils4lessEEvPKT2_PS2_PKjT3_, .Lfunc_end34-_Z19sort_keys_segmentedILj256ELj32ELj8EiN10test_utils4lessEEvPKT2_PS2_PKjT3_
                                        ; -- End function
	.section	.AMDGPU.csdata,"",@progbits
; Kernel info:
; codeLenInByte = 9564
; NumSgprs: 22
; NumVgprs: 30
; ScratchSize: 0
; MemoryBound: 0
; FloatMode: 240
; IeeeMode: 1
; LDSByteSize: 8224 bytes/workgroup (compile time only)
; SGPRBlocks: 2
; VGPRBlocks: 3
; NumSGPRsForWavesPerEU: 22
; NumVGPRsForWavesPerEU: 30
; Occupancy: 16
; WaveLimiterHint : 0
; COMPUTE_PGM_RSRC2:SCRATCH_EN: 0
; COMPUTE_PGM_RSRC2:USER_SGPR: 15
; COMPUTE_PGM_RSRC2:TRAP_HANDLER: 0
; COMPUTE_PGM_RSRC2:TGID_X_EN: 1
; COMPUTE_PGM_RSRC2:TGID_Y_EN: 0
; COMPUTE_PGM_RSRC2:TGID_Z_EN: 0
; COMPUTE_PGM_RSRC2:TIDIG_COMP_CNT: 0
	.section	.text._Z20sort_pairs_segmentedILj256ELj32ELj8EiN10test_utils4lessEEvPKT2_PS2_PKjT3_,"axG",@progbits,_Z20sort_pairs_segmentedILj256ELj32ELj8EiN10test_utils4lessEEvPKT2_PS2_PKjT3_,comdat
	.protected	_Z20sort_pairs_segmentedILj256ELj32ELj8EiN10test_utils4lessEEvPKT2_PS2_PKjT3_ ; -- Begin function _Z20sort_pairs_segmentedILj256ELj32ELj8EiN10test_utils4lessEEvPKT2_PS2_PKjT3_
	.globl	_Z20sort_pairs_segmentedILj256ELj32ELj8EiN10test_utils4lessEEvPKT2_PS2_PKjT3_
	.p2align	8
	.type	_Z20sort_pairs_segmentedILj256ELj32ELj8EiN10test_utils4lessEEvPKT2_PS2_PKjT3_,@function
_Z20sort_pairs_segmentedILj256ELj32ELj8EiN10test_utils4lessEEvPKT2_PS2_PKjT3_: ; @_Z20sort_pairs_segmentedILj256ELj32ELj8EiN10test_utils4lessEEvPKT2_PS2_PKjT3_
; %bb.0:
	s_clause 0x1
	s_load_b64 s[2:3], s[0:1], 0x10
	s_load_b128 s[16:19], s[0:1], 0x0
	v_lshrrev_b32_e32 v20, 5, v0
	s_delay_alu instid0(VALU_DEP_1) | instskip(SKIP_1) | instid1(VALU_DEP_1)
	v_lshl_or_b32 v0, s15, 3, v20
	v_mov_b32_e32 v1, 0
	v_lshlrev_b64 v[2:3], 2, v[0:1]
	v_lshlrev_b32_e32 v0, 8, v0
	s_delay_alu instid0(VALU_DEP_1) | instskip(SKIP_1) | instid1(VALU_DEP_3)
	v_lshlrev_b64 v[8:9], 2, v[0:1]
	s_waitcnt lgkmcnt(0)
	v_add_co_u32 v2, vcc_lo, s2, v2
	s_delay_alu instid0(VALU_DEP_4) | instskip(NEXT) | instid1(VALU_DEP_3)
	v_add_co_ci_u32_e32 v3, vcc_lo, s3, v3, vcc_lo
	v_add_co_u32 v1, vcc_lo, s16, v8
	global_load_b32 v12, v[2:3], off
	v_mbcnt_lo_u32_b32 v2, -1, 0
	v_add_co_ci_u32_e32 v3, vcc_lo, s17, v9, vcc_lo
	s_delay_alu instid0(VALU_DEP_2) | instskip(SKIP_1) | instid1(VALU_DEP_2)
	v_lshlrev_b32_e32 v0, 5, v2
	v_lshlrev_b32_e32 v13, 3, v2
	v_add_co_u32 v10, vcc_lo, v1, v0
	s_delay_alu instid0(VALU_DEP_4) | instskip(SKIP_1) | instid1(VALU_DEP_3)
	v_add_co_ci_u32_e32 v11, vcc_lo, 0, v3, vcc_lo
                                        ; implicit-def: $vgpr0_vgpr1_vgpr2_vgpr3_vgpr4_vgpr5_vgpr6_vgpr7
	s_waitcnt vmcnt(0)
	v_cmp_lt_u32_e32 vcc_lo, v13, v12
	s_and_saveexec_b32 s0, vcc_lo
	s_cbranch_execz .LBB35_2
; %bb.1:
	global_load_b32 v0, v[10:11], off
.LBB35_2:
	s_or_b32 exec_lo, exec_lo, s0
	v_or_b32_e32 v21, 1, v13
	s_delay_alu instid0(VALU_DEP_1) | instskip(NEXT) | instid1(VALU_DEP_1)
	v_cmp_lt_u32_e64 s0, v21, v12
	s_and_saveexec_b32 s1, s0
	s_cbranch_execz .LBB35_4
; %bb.3:
	global_load_b32 v1, v[10:11], off offset:4
.LBB35_4:
	s_or_b32 exec_lo, exec_lo, s1
	v_or_b32_e32 v22, 2, v13
	s_delay_alu instid0(VALU_DEP_1) | instskip(NEXT) | instid1(VALU_DEP_1)
	v_cmp_lt_u32_e64 s1, v22, v12
	s_and_saveexec_b32 s2, s1
	s_cbranch_execz .LBB35_6
; %bb.5:
	global_load_b32 v2, v[10:11], off offset:8
.LBB35_6:
	s_or_b32 exec_lo, exec_lo, s2
	v_or_b32_e32 v23, 3, v13
	s_delay_alu instid0(VALU_DEP_1) | instskip(NEXT) | instid1(VALU_DEP_1)
	v_cmp_lt_u32_e64 s2, v23, v12
	s_and_saveexec_b32 s3, s2
	s_cbranch_execz .LBB35_8
; %bb.7:
	global_load_b32 v3, v[10:11], off offset:12
.LBB35_8:
	s_or_b32 exec_lo, exec_lo, s3
	v_or_b32_e32 v24, 4, v13
	s_delay_alu instid0(VALU_DEP_1) | instskip(NEXT) | instid1(VALU_DEP_1)
	v_cmp_lt_u32_e64 s3, v24, v12
	s_and_saveexec_b32 s4, s3
	s_cbranch_execz .LBB35_10
; %bb.9:
	global_load_b32 v4, v[10:11], off offset:16
.LBB35_10:
	s_or_b32 exec_lo, exec_lo, s4
	v_or_b32_e32 v25, 5, v13
	s_delay_alu instid0(VALU_DEP_1) | instskip(NEXT) | instid1(VALU_DEP_1)
	v_cmp_lt_u32_e64 s4, v25, v12
	s_and_saveexec_b32 s5, s4
	s_cbranch_execz .LBB35_12
; %bb.11:
	global_load_b32 v5, v[10:11], off offset:20
.LBB35_12:
	s_or_b32 exec_lo, exec_lo, s5
	v_or_b32_e32 v26, 6, v13
	s_delay_alu instid0(VALU_DEP_1) | instskip(NEXT) | instid1(VALU_DEP_1)
	v_cmp_lt_u32_e64 s5, v26, v12
	s_and_saveexec_b32 s6, s5
	s_cbranch_execz .LBB35_14
; %bb.13:
	global_load_b32 v6, v[10:11], off offset:24
.LBB35_14:
	s_or_b32 exec_lo, exec_lo, s6
	v_or_b32_e32 v27, 7, v13
	s_delay_alu instid0(VALU_DEP_1) | instskip(NEXT) | instid1(VALU_DEP_1)
	v_cmp_lt_u32_e64 s6, v27, v12
	s_and_saveexec_b32 s7, s6
	s_cbranch_execz .LBB35_16
; %bb.15:
	global_load_b32 v7, v[10:11], off offset:28
.LBB35_16:
	s_or_b32 exec_lo, exec_lo, s7
	v_cmp_lt_i32_e64 s9, v26, v12
	v_cmp_lt_i32_e64 s10, v27, v12
	;; [unrolled: 1-line block ×5, first 2 shown]
	s_waitcnt vmcnt(0)
	v_add_nc_u32_e32 v10, 1, v6
	s_or_b32 s9, s10, s9
	v_cmp_lt_i32_e64 s8, v22, v12
	v_cndmask_b32_e64 v6, 0x7fffffff, v6, s9
	s_or_b32 s9, s9, s12
	v_cmp_lt_i32_e64 s7, v21, v12
	v_cndmask_b32_e64 v21, 0x7fffffff, v5, s9
	s_or_b32 s9, s9, s13
	v_add_nc_u32_e32 v18, 1, v0
	v_cndmask_b32_e64 v22, 0x7fffffff, v4, s9
	s_or_b32 s9, s9, s11
	v_add_nc_u32_e32 v19, 1, v1
	s_or_b32 s8, s9, s8
	v_add_nc_u32_e32 v16, 1, v2
	;; [unrolled: 2-line block ×3, first 2 shown]
	v_add_nc_u32_e32 v15, 1, v4
	v_add_nc_u32_e32 v11, 1, v5
	;; [unrolled: 1-line block ×3, first 2 shown]
	v_cndmask_b32_e64 v7, 0x7fffffff, v7, s10
	v_cndmask_b32_e64 v24, 0x7fffffff, v3, s9
	;; [unrolled: 1-line block ×4, first 2 shown]
	s_mov_b32 s12, exec_lo
	v_cmpx_lt_i32_e64 v13, v12
	s_cbranch_execz .LBB35_20
; %bb.17:
	s_delay_alu instid0(VALU_DEP_2) | instskip(SKIP_2) | instid1(VALU_DEP_2)
	v_cmp_lt_i32_e64 s7, v25, v0
	v_cmp_lt_i32_e64 s8, v24, v23
	s_mov_b32 s13, exec_lo
	v_cndmask_b32_e64 v1, v19, v18, s7
	v_cndmask_b32_e64 v2, v18, v19, s7
	;; [unrolled: 1-line block ×5, first 2 shown]
	v_cmp_lt_i32_e64 s7, v21, v22
	v_cndmask_b32_e64 v5, v16, v17, s8
	v_cndmask_b32_e64 v16, v24, v23, s8
	;; [unrolled: 1-line block ×3, first 2 shown]
	v_cmp_lt_i32_e64 s8, v7, v6
	v_cndmask_b32_e64 v18, v11, v15, s7
	v_cndmask_b32_e64 v11, v15, v11, s7
	;; [unrolled: 1-line block ×5, first 2 shown]
	v_cmp_lt_i32_e64 s7, v17, v0
	v_cndmask_b32_e64 v10, v10, v14, s8
	v_cndmask_b32_e64 v14, v7, v6, s8
	;; [unrolled: 1-line block ×3, first 2 shown]
	v_cmp_lt_i32_e64 s8, v19, v16
	v_cndmask_b32_e64 v7, v5, v1, s7
	v_cndmask_b32_e64 v1, v1, v5, s7
	;; [unrolled: 1-line block ×4, first 2 shown]
	v_cmp_lt_i32_e64 s7, v6, v15
	v_cndmask_b32_e64 v17, v11, v4, s8
	v_cndmask_b32_e64 v4, v4, v11, s8
	;; [unrolled: 1-line block ×6, first 2 shown]
	v_cmp_lt_i32_e64 s8, v0, v3
	v_cndmask_b32_e64 v18, v6, v15, s7
	v_cndmask_b32_e64 v6, v15, v6, s7
	v_cmp_lt_i32_e64 s7, v16, v5
	s_delay_alu instid0(VALU_DEP_4)
	v_cndmask_b32_e64 v15, v1, v2, s8
	v_cndmask_b32_e64 v1, v2, v1, s8
	;; [unrolled: 1-line block ×4, first 2 shown]
	v_cmp_lt_i32_e64 s8, v6, v11
	v_cndmask_b32_e64 v3, v4, v7, s7
	v_cndmask_b32_e64 v4, v7, v4, s7
	;; [unrolled: 1-line block ×5, first 2 shown]
	v_cmp_lt_i32_e64 s7, v14, v18
	v_cndmask_b32_e64 v10, v17, v10, s8
	v_cndmask_b32_e64 v17, v6, v11, s8
	;; [unrolled: 1-line block ×3, first 2 shown]
	v_cmp_lt_i32_e64 s8, v5, v0
	v_cndmask_b32_e64 v11, v21, v19, s7
	v_cndmask_b32_e64 v19, v19, v21, s7
	;; [unrolled: 1-line block ×4, first 2 shown]
	v_cmp_lt_i32_e64 s7, v6, v7
	v_cndmask_b32_e64 v18, v4, v15, s8
	v_cndmask_b32_e64 v4, v15, v4, s8
	v_cndmask_b32_e64 v15, v5, v0, s8
	v_cndmask_b32_e64 v0, v0, v5, s8
	v_cndmask_b32_e64 v5, v10, v3, s7
	v_cndmask_b32_e64 v3, v3, v10, s7
	v_cmp_lt_i32_e64 s8, v14, v17
	v_cndmask_b32_e64 v10, v6, v7, s7
	v_cndmask_b32_e64 v6, v7, v6, s7
	v_cmp_lt_i32_e64 s7, v0, v2
	s_delay_alu instid0(VALU_DEP_4)
	v_cndmask_b32_e64 v7, v19, v16, s8
	v_cndmask_b32_e64 v16, v16, v19, s8
	;; [unrolled: 1-line block ×4, first 2 shown]
	v_cmp_lt_i32_e64 s8, v6, v15
	v_cndmask_b32_e64 v17, v4, v1, s7
	v_cndmask_b32_e64 v1, v1, v4, s7
	;; [unrolled: 1-line block ×5, first 2 shown]
	v_cmp_lt_i32_e64 s7, v14, v10
	v_cndmask_b32_e64 v3, v18, v3, s8
	v_cndmask_b32_e64 v18, v6, v15, s8
	;; [unrolled: 1-line block ×3, first 2 shown]
	v_cmp_lt_i32_e64 s8, v21, v19
	v_cndmask_b32_e64 v15, v16, v5, s7
	v_cndmask_b32_e64 v5, v5, v16, s7
	;; [unrolled: 1-line block ×6, first 2 shown]
	v_cmp_lt_i32_e64 s7, v6, v0
	v_cndmask_b32_e64 v7, v7, v11, s8
	v_cndmask_b32_e64 v11, v21, v19, s8
	v_cmp_lt_i32_e64 s8, v10, v18
	v_cmp_lt_i32_e64 s9, v14, v16
	v_cndmask_b32_e64 v21, v6, v0, s7
	v_cndmask_b32_e64 v6, v0, v6, s7
	;; [unrolled: 1-line block ×12, first 2 shown]
	v_cmp_lt_i32_e64 s7, v6, v22
	v_cmp_lt_i32_e64 s8, v10, v21
	;; [unrolled: 1-line block ×3, first 2 shown]
	s_delay_alu instid0(VALU_DEP_3) | instskip(SKIP_1) | instid1(VALU_DEP_4)
	v_cndmask_b32_e64 v0, v22, v6, s7
	v_cndmask_b32_e64 v22, v6, v22, s7
	;; [unrolled: 1-line block ×9, first 2 shown]
	v_cmp_lt_i32_e64 s8, v11, v18
	v_cndmask_b32_e64 v21, v16, v25, s9
	v_cmp_lt_i32_e64 s9, v24, v22
	v_cmp_lt_i32_e64 s10, v27, v19
	v_cndmask_b32_e64 v5, v3, v1, s7
	v_cndmask_b32_e64 v10, v4, v2, s8
	;; [unrolled: 1-line block ×8, first 2 shown]
	v_mov_b32_e32 v11, v14
	v_cmpx_lt_i32_e64 v6, v21
; %bb.18:
	v_mov_b32_e32 v16, v6
	v_swap_b32 v6, v21
	v_mov_b32_e32 v11, v10
	v_mov_b32_e32 v10, v14
; %bb.19:
	s_or_b32 exec_lo, exec_lo, s13
	v_cndmask_b32_e64 v18, v1, v3, s7
	v_cndmask_b32_e64 v14, v2, v4, s8
	;; [unrolled: 1-line block ×6, first 2 shown]
.LBB35_20:
	s_or_b32 exec_lo, exec_lo, s12
	v_and_b32_e32 v1, 0xf0, v13
	v_and_b32_e32 v2, 8, v13
	s_mov_b32 s9, 0
	s_mov_b32 s8, exec_lo
	s_delay_alu instid0(VALU_DEP_2) | instskip(NEXT) | instid1(VALU_DEP_2)
	v_min_i32_e32 v26, v12, v1
	v_min_i32_e32 v27, v12, v2
	v_mul_u32_u24_e32 v2, 0x404, v20
	; wave barrier
	s_delay_alu instid0(VALU_DEP_3) | instskip(SKIP_1) | instid1(VALU_DEP_2)
	v_add_nc_u32_e32 v1, 8, v26
	v_lshlrev_b32_e32 v31, 2, v26
	v_min_i32_e32 v5, v12, v1
	s_delay_alu instid0(VALU_DEP_1) | instskip(SKIP_1) | instid1(VALU_DEP_2)
	v_add_nc_u32_e32 v1, 8, v5
	v_sub_nc_u32_e32 v28, v5, v26
	v_min_i32_e32 v4, v12, v1
	v_lshlrev_b32_e32 v1, 2, v13
	s_delay_alu instid0(VALU_DEP_3) | instskip(NEXT) | instid1(VALU_DEP_3)
	v_min_i32_e32 v29, v27, v28
	v_sub_nc_u32_e32 v3, v4, v5
	s_delay_alu instid0(VALU_DEP_1)
	v_sub_nc_u32_e32 v30, v27, v3
	v_cmp_ge_i32_e64 s7, v27, v3
	v_mad_u32_u24 v3, 0x404, v20, v1
	v_mad_u32_u24 v20, 0x404, v20, v31
	ds_store_2addr_b32 v3, v0, v25 offset1:1
	ds_store_2addr_b32 v3, v23, v24 offset0:2 offset1:3
	ds_store_2addr_b32 v3, v22, v21 offset0:4 offset1:5
	;; [unrolled: 1-line block ×3, first 2 shown]
	v_cndmask_b32_e64 v28, 0, v30, s7
	; wave barrier
	s_delay_alu instid0(VALU_DEP_1)
	v_cmpx_lt_i32_e64 v28, v29
	s_cbranch_execz .LBB35_24
; %bb.21:
	v_lshlrev_b32_e32 v0, 2, v5
	v_lshlrev_b32_e32 v6, 2, v27
	s_delay_alu instid0(VALU_DEP_1)
	v_add3_u32 v0, v2, v0, v6
	.p2align	6
.LBB35_22:                              ; =>This Inner Loop Header: Depth=1
	v_sub_nc_u32_e32 v6, v29, v28
	s_delay_alu instid0(VALU_DEP_1) | instskip(NEXT) | instid1(VALU_DEP_1)
	v_lshrrev_b32_e32 v7, 31, v6
	v_add_nc_u32_e32 v6, v6, v7
	s_delay_alu instid0(VALU_DEP_1) | instskip(NEXT) | instid1(VALU_DEP_1)
	v_ashrrev_i32_e32 v6, 1, v6
	v_add_nc_u32_e32 v6, v6, v28
	s_delay_alu instid0(VALU_DEP_1) | instskip(SKIP_2) | instid1(VALU_DEP_3)
	v_not_b32_e32 v7, v6
	v_lshl_add_u32 v21, v6, 2, v20
	v_add_nc_u32_e32 v22, 1, v6
	v_lshl_add_u32 v7, v7, 2, v0
	ds_load_b32 v21, v21
	ds_load_b32 v7, v7
	s_waitcnt lgkmcnt(0)
	v_cmp_lt_i32_e64 s7, v7, v21
	s_delay_alu instid0(VALU_DEP_1) | instskip(SKIP_1) | instid1(VALU_DEP_1)
	v_cndmask_b32_e64 v29, v29, v6, s7
	v_cndmask_b32_e64 v28, v22, v28, s7
	v_cmp_ge_i32_e64 s7, v28, v29
	s_delay_alu instid0(VALU_DEP_1) | instskip(NEXT) | instid1(SALU_CYCLE_1)
	s_or_b32 s9, s7, s9
	s_and_not1_b32 exec_lo, exec_lo, s9
	s_cbranch_execnz .LBB35_22
; %bb.23:
	s_or_b32 exec_lo, exec_lo, s9
.LBB35_24:
	s_delay_alu instid0(SALU_CYCLE_1) | instskip(SKIP_3) | instid1(VALU_DEP_3)
	s_or_b32 exec_lo, exec_lo, s8
	v_add_nc_u32_e32 v0, v5, v27
	v_lshl_add_u32 v24, v28, 2, v20
	v_add_nc_u32_e32 v6, v28, v26
                                        ; implicit-def: $vgpr22
                                        ; implicit-def: $vgpr23
	v_sub_nc_u32_e32 v0, v0, v28
	s_delay_alu instid0(VALU_DEP_2) | instskip(NEXT) | instid1(VALU_DEP_2)
	v_cmp_le_i32_e64 s7, v5, v6
	v_lshl_add_u32 v7, v0, 2, v2
	v_cmp_gt_i32_e64 s9, v4, v0
	ds_load_b32 v20, v24
	ds_load_b32 v21, v7
	s_waitcnt lgkmcnt(0)
	v_cmp_lt_i32_e64 s8, v21, v20
	s_delay_alu instid0(VALU_DEP_1) | instskip(NEXT) | instid1(SALU_CYCLE_1)
	s_or_b32 s7, s7, s8
	s_and_b32 s7, s9, s7
	s_delay_alu instid0(SALU_CYCLE_1) | instskip(NEXT) | instid1(SALU_CYCLE_1)
	s_xor_b32 s8, s7, -1
	s_and_saveexec_b32 s9, s8
	s_delay_alu instid0(SALU_CYCLE_1)
	s_xor_b32 s8, exec_lo, s9
	s_cbranch_execz .LBB35_26
; %bb.25:
	ds_load_b32 v23, v24 offset:4
	v_mov_b32_e32 v22, v21
                                        ; implicit-def: $vgpr7
.LBB35_26:
	s_and_not1_saveexec_b32 s8, s8
	s_cbranch_execz .LBB35_28
; %bb.27:
	ds_load_b32 v22, v7 offset:4
	s_waitcnt lgkmcnt(1)
	v_mov_b32_e32 v23, v20
.LBB35_28:
	s_or_b32 exec_lo, exec_lo, s8
	v_add_nc_u32_e32 v7, 1, v6
	v_add_nc_u32_e32 v24, 1, v0
	s_waitcnt lgkmcnt(0)
	v_cmp_lt_i32_e64 s9, v22, v23
	s_delay_alu instid0(VALU_DEP_3) | instskip(NEXT) | instid1(VALU_DEP_3)
	v_cndmask_b32_e64 v7, v7, v6, s7
	v_cndmask_b32_e64 v26, v0, v24, s7
                                        ; implicit-def: $vgpr24
	s_delay_alu instid0(VALU_DEP_2) | instskip(NEXT) | instid1(VALU_DEP_2)
	v_cmp_ge_i32_e64 s8, v7, v5
	v_cmp_lt_i32_e64 s10, v26, v4
	s_delay_alu instid0(VALU_DEP_2)
	s_or_b32 s8, s8, s9
	s_delay_alu instid0(VALU_DEP_1) | instid1(SALU_CYCLE_1)
	s_and_b32 s8, s10, s8
	s_delay_alu instid0(SALU_CYCLE_1) | instskip(NEXT) | instid1(SALU_CYCLE_1)
	s_xor_b32 s9, s8, -1
	s_and_saveexec_b32 s10, s9
	s_delay_alu instid0(SALU_CYCLE_1)
	s_xor_b32 s9, exec_lo, s10
	s_cbranch_execz .LBB35_30
; %bb.29:
	v_lshl_add_u32 v24, v7, 2, v2
	ds_load_b32 v24, v24 offset:4
.LBB35_30:
	s_or_saveexec_b32 s9, s9
	v_mov_b32_e32 v25, v22
	s_xor_b32 exec_lo, exec_lo, s9
	s_cbranch_execz .LBB35_32
; %bb.31:
	s_waitcnt lgkmcnt(0)
	v_lshl_add_u32 v24, v26, 2, v2
	ds_load_b32 v25, v24 offset:4
	v_mov_b32_e32 v24, v23
.LBB35_32:
	s_or_b32 exec_lo, exec_lo, s9
	v_add_nc_u32_e32 v27, 1, v7
	v_add_nc_u32_e32 v28, 1, v26
	s_waitcnt lgkmcnt(0)
	v_cmp_lt_i32_e64 s10, v25, v24
                                        ; implicit-def: $vgpr29
	s_delay_alu instid0(VALU_DEP_3) | instskip(NEXT) | instid1(VALU_DEP_3)
	v_cndmask_b32_e64 v27, v27, v7, s8
	v_cndmask_b32_e64 v28, v26, v28, s8
	s_delay_alu instid0(VALU_DEP_2) | instskip(NEXT) | instid1(VALU_DEP_2)
	v_cmp_ge_i32_e64 s9, v27, v5
	v_cmp_lt_i32_e64 s11, v28, v4
	s_delay_alu instid0(VALU_DEP_2)
	s_or_b32 s9, s9, s10
	s_delay_alu instid0(VALU_DEP_1) | instid1(SALU_CYCLE_1)
	s_and_b32 s9, s11, s9
	s_delay_alu instid0(SALU_CYCLE_1) | instskip(NEXT) | instid1(SALU_CYCLE_1)
	s_xor_b32 s10, s9, -1
	s_and_saveexec_b32 s11, s10
	s_delay_alu instid0(SALU_CYCLE_1)
	s_xor_b32 s10, exec_lo, s11
	s_cbranch_execz .LBB35_34
; %bb.33:
	v_lshl_add_u32 v29, v27, 2, v2
	ds_load_b32 v29, v29 offset:4
.LBB35_34:
	s_or_saveexec_b32 s10, s10
	v_mov_b32_e32 v30, v25
	s_xor_b32 exec_lo, exec_lo, s10
	s_cbranch_execz .LBB35_36
; %bb.35:
	s_waitcnt lgkmcnt(0)
	v_lshl_add_u32 v29, v28, 2, v2
	ds_load_b32 v30, v29 offset:4
	v_mov_b32_e32 v29, v24
.LBB35_36:
	s_or_b32 exec_lo, exec_lo, s10
	v_add_nc_u32_e32 v31, 1, v27
	v_add_nc_u32_e32 v32, 1, v28
	s_waitcnt lgkmcnt(0)
	v_cmp_lt_i32_e64 s11, v30, v29
                                        ; implicit-def: $vgpr33
	s_delay_alu instid0(VALU_DEP_3) | instskip(NEXT) | instid1(VALU_DEP_3)
	v_cndmask_b32_e64 v31, v31, v27, s9
	v_cndmask_b32_e64 v32, v28, v32, s9
	s_delay_alu instid0(VALU_DEP_2) | instskip(NEXT) | instid1(VALU_DEP_2)
	v_cmp_ge_i32_e64 s10, v31, v5
	v_cmp_lt_i32_e64 s12, v32, v4
	s_delay_alu instid0(VALU_DEP_2)
	s_or_b32 s10, s10, s11
	s_delay_alu instid0(VALU_DEP_1) | instid1(SALU_CYCLE_1)
	s_and_b32 s10, s12, s10
	s_delay_alu instid0(SALU_CYCLE_1) | instskip(NEXT) | instid1(SALU_CYCLE_1)
	s_xor_b32 s11, s10, -1
	s_and_saveexec_b32 s12, s11
	s_delay_alu instid0(SALU_CYCLE_1)
	s_xor_b32 s11, exec_lo, s12
	s_cbranch_execz .LBB35_38
; %bb.37:
	v_lshl_add_u32 v33, v31, 2, v2
	ds_load_b32 v33, v33 offset:4
.LBB35_38:
	s_or_saveexec_b32 s11, s11
	v_mov_b32_e32 v34, v30
	s_xor_b32 exec_lo, exec_lo, s11
	s_cbranch_execz .LBB35_40
; %bb.39:
	s_waitcnt lgkmcnt(0)
	v_lshl_add_u32 v33, v32, 2, v2
	ds_load_b32 v34, v33 offset:4
	v_mov_b32_e32 v33, v29
.LBB35_40:
	s_or_b32 exec_lo, exec_lo, s11
	v_add_nc_u32_e32 v35, 1, v31
	v_add_nc_u32_e32 v36, 1, v32
	s_waitcnt lgkmcnt(0)
	v_cmp_lt_i32_e64 s12, v34, v33
                                        ; implicit-def: $vgpr37
	s_delay_alu instid0(VALU_DEP_3) | instskip(NEXT) | instid1(VALU_DEP_3)
	v_cndmask_b32_e64 v35, v35, v31, s10
	v_cndmask_b32_e64 v36, v32, v36, s10
	s_delay_alu instid0(VALU_DEP_2) | instskip(NEXT) | instid1(VALU_DEP_2)
	v_cmp_ge_i32_e64 s11, v35, v5
	v_cmp_lt_i32_e64 s13, v36, v4
	s_delay_alu instid0(VALU_DEP_2)
	s_or_b32 s11, s11, s12
	s_delay_alu instid0(VALU_DEP_1) | instid1(SALU_CYCLE_1)
	s_and_b32 s11, s13, s11
	s_delay_alu instid0(SALU_CYCLE_1) | instskip(NEXT) | instid1(SALU_CYCLE_1)
	s_xor_b32 s12, s11, -1
	s_and_saveexec_b32 s13, s12
	s_delay_alu instid0(SALU_CYCLE_1)
	s_xor_b32 s12, exec_lo, s13
	s_cbranch_execz .LBB35_42
; %bb.41:
	v_lshl_add_u32 v37, v35, 2, v2
	ds_load_b32 v37, v37 offset:4
.LBB35_42:
	s_or_saveexec_b32 s12, s12
	v_mov_b32_e32 v38, v34
	s_xor_b32 exec_lo, exec_lo, s12
	s_cbranch_execz .LBB35_44
; %bb.43:
	s_waitcnt lgkmcnt(0)
	v_lshl_add_u32 v37, v36, 2, v2
	ds_load_b32 v38, v37 offset:4
	v_mov_b32_e32 v37, v33
.LBB35_44:
	s_or_b32 exec_lo, exec_lo, s12
	v_add_nc_u32_e32 v39, 1, v35
	v_add_nc_u32_e32 v41, 1, v36
	s_waitcnt lgkmcnt(0)
	v_cmp_lt_i32_e64 s13, v38, v37
                                        ; implicit-def: $vgpr43
	s_delay_alu instid0(VALU_DEP_3) | instskip(NEXT) | instid1(VALU_DEP_3)
	v_cndmask_b32_e64 v40, v39, v35, s11
	v_cndmask_b32_e64 v41, v36, v41, s11
	s_delay_alu instid0(VALU_DEP_2) | instskip(NEXT) | instid1(VALU_DEP_2)
	v_cmp_ge_i32_e64 s12, v40, v5
	v_cmp_lt_i32_e64 s14, v41, v4
	s_delay_alu instid0(VALU_DEP_2)
	s_or_b32 s12, s12, s13
	s_delay_alu instid0(VALU_DEP_1) | instid1(SALU_CYCLE_1)
	s_and_b32 s12, s14, s12
	s_delay_alu instid0(SALU_CYCLE_1) | instskip(NEXT) | instid1(SALU_CYCLE_1)
	s_xor_b32 s13, s12, -1
	s_and_saveexec_b32 s14, s13
	s_delay_alu instid0(SALU_CYCLE_1)
	s_xor_b32 s13, exec_lo, s14
	s_cbranch_execz .LBB35_46
; %bb.45:
	v_lshl_add_u32 v39, v40, 2, v2
	ds_load_b32 v43, v39 offset:4
.LBB35_46:
	s_or_saveexec_b32 s13, s13
	v_mov_b32_e32 v44, v38
	s_xor_b32 exec_lo, exec_lo, s13
	s_cbranch_execz .LBB35_48
; %bb.47:
	v_lshl_add_u32 v39, v41, 2, v2
	s_waitcnt lgkmcnt(0)
	v_mov_b32_e32 v43, v37
	ds_load_b32 v44, v39 offset:4
.LBB35_48:
	s_or_b32 exec_lo, exec_lo, s13
	v_add_nc_u32_e32 v39, 1, v40
	v_add_nc_u32_e32 v42, 1, v41
	s_waitcnt lgkmcnt(0)
	v_cmp_lt_i32_e64 s14, v44, v43
	s_delay_alu instid0(VALU_DEP_3) | instskip(NEXT) | instid1(VALU_DEP_3)
	v_cndmask_b32_e64 v45, v39, v40, s12
	v_cndmask_b32_e64 v46, v41, v42, s12
                                        ; implicit-def: $vgpr39
	s_delay_alu instid0(VALU_DEP_2) | instskip(NEXT) | instid1(VALU_DEP_2)
	v_cmp_ge_i32_e64 s13, v45, v5
	v_cmp_lt_i32_e64 s15, v46, v4
	s_delay_alu instid0(VALU_DEP_2)
	s_or_b32 s13, s13, s14
	s_delay_alu instid0(VALU_DEP_1) | instid1(SALU_CYCLE_1)
	s_and_b32 s13, s15, s13
	s_delay_alu instid0(SALU_CYCLE_1) | instskip(NEXT) | instid1(SALU_CYCLE_1)
	s_xor_b32 s14, s13, -1
	s_and_saveexec_b32 s15, s14
	s_delay_alu instid0(SALU_CYCLE_1)
	s_xor_b32 s14, exec_lo, s15
	s_cbranch_execz .LBB35_50
; %bb.49:
	v_lshl_add_u32 v39, v45, 2, v2
	ds_load_b32 v39, v39 offset:4
.LBB35_50:
	s_or_saveexec_b32 s14, s14
	v_mov_b32_e32 v42, v44
	s_xor_b32 exec_lo, exec_lo, s14
	s_cbranch_execz .LBB35_52
; %bb.51:
	s_waitcnt lgkmcnt(0)
	v_lshl_add_u32 v39, v46, 2, v2
	ds_load_b32 v42, v39 offset:4
	v_mov_b32_e32 v39, v43
.LBB35_52:
	s_or_b32 exec_lo, exec_lo, s14
	v_add_nc_u32_e32 v48, 1, v45
	v_add_nc_u32_e32 v47, 1, v46
	v_cndmask_b32_e64 v43, v43, v44, s13
	v_cndmask_b32_e64 v44, v45, v46, s13
	;; [unrolled: 1-line block ×8, first 2 shown]
	v_cmp_ge_i32_e64 s10, v45, v5
	v_and_b32_e32 v5, 0xe0, v13
	v_cmp_lt_i32_e64 s12, v46, v4
	v_cndmask_b32_e64 v4, v7, v26, s8
	v_cndmask_b32_e64 v0, v6, v0, s7
	;; [unrolled: 1-line block ×3, first 2 shown]
	v_min_i32_e32 v26, v12, v5
	v_cndmask_b32_e64 v34, v35, v36, s11
	s_waitcnt lgkmcnt(0)
	v_cmp_lt_i32_e64 s11, v42, v39
	; wave barrier
	s_delay_alu instid0(VALU_DEP_3)
	v_add_nc_u32_e32 v6, 16, v26
	ds_store_2addr_b32 v3, v18, v19 offset1:1
	ds_store_2addr_b32 v3, v16, v17 offset0:2 offset1:3
	ds_store_2addr_b32 v3, v15, v11 offset0:4 offset1:5
	;; [unrolled: 1-line block ×3, first 2 shown]
	s_or_b32 s10, s10, s11
	v_cndmask_b32_e64 v27, v27, v28, s9
	s_and_b32 s10, s12, s10
	v_min_i32_e32 v16, v12, v6
	v_cndmask_b32_e64 v5, v45, v46, s10
	v_lshl_add_u32 v0, v0, 2, v2
	v_and_b32_e32 v14, 24, v13
	v_lshl_add_u32 v4, v4, 2, v2
	v_add_nc_u32_e32 v6, 16, v16
	v_lshl_add_u32 v7, v27, 2, v2
	v_lshl_add_u32 v10, v30, 2, v2
	;; [unrolled: 1-line block ×3, first 2 shown]
	; wave barrier
	s_delay_alu instid0(VALU_DEP_4)
	v_min_i32_e32 v15, v12, v6
	v_lshl_add_u32 v18, v38, 2, v2
	v_lshl_add_u32 v19, v44, 2, v2
	;; [unrolled: 1-line block ×3, first 2 shown]
	v_min_i32_e32 v17, v12, v14
	ds_load_b32 v0, v0
	ds_load_b32 v4, v4
	;; [unrolled: 1-line block ×8, first 2 shown]
	v_sub_nc_u32_e32 v30, v15, v16
	v_sub_nc_u32_e32 v27, v16, v26
	v_cndmask_b32_e64 v23, v23, v22, s8
	v_cndmask_b32_e64 v20, v20, v21, s7
	;; [unrolled: 1-line block ×3, first 2 shown]
	v_sub_nc_u32_e32 v18, v17, v30
	v_cmp_ge_i32_e64 s8, v17, v30
	v_min_i32_e32 v22, v17, v27
	v_cndmask_b32_e64 v28, v39, v42, s10
	s_mov_b32 s9, 0
	s_delay_alu instid0(VALU_DEP_3)
	v_cndmask_b32_e64 v19, 0, v18, s8
	v_lshl_add_u32 v18, v26, 2, v2
	s_mov_b32 s8, exec_lo
	; wave barrier
	ds_store_2addr_b32 v3, v20, v23 offset1:1
	ds_store_2addr_b32 v3, v24, v29 offset0:2 offset1:3
	ds_store_2addr_b32 v3, v33, v37 offset0:4 offset1:5
	;; [unrolled: 1-line block ×3, first 2 shown]
	; wave barrier
	v_cmpx_lt_i32_e64 v19, v22
	s_cbranch_execz .LBB35_56
; %bb.53:
	v_lshlrev_b32_e32 v20, 2, v16
	v_lshlrev_b32_e32 v21, 2, v17
	s_delay_alu instid0(VALU_DEP_1)
	v_add3_u32 v20, v2, v20, v21
	.p2align	6
.LBB35_54:                              ; =>This Inner Loop Header: Depth=1
	v_sub_nc_u32_e32 v21, v22, v19
	s_delay_alu instid0(VALU_DEP_1) | instskip(NEXT) | instid1(VALU_DEP_1)
	v_lshrrev_b32_e32 v23, 31, v21
	v_add_nc_u32_e32 v21, v21, v23
	s_delay_alu instid0(VALU_DEP_1) | instskip(NEXT) | instid1(VALU_DEP_1)
	v_ashrrev_i32_e32 v21, 1, v21
	v_add_nc_u32_e32 v21, v21, v19
	s_delay_alu instid0(VALU_DEP_1) | instskip(SKIP_2) | instid1(VALU_DEP_3)
	v_not_b32_e32 v23, v21
	v_lshl_add_u32 v24, v21, 2, v18
	v_add_nc_u32_e32 v25, 1, v21
	v_lshl_add_u32 v23, v23, 2, v20
	ds_load_b32 v24, v24
	ds_load_b32 v23, v23
	s_waitcnt lgkmcnt(0)
	v_cmp_lt_i32_e64 s7, v23, v24
	s_delay_alu instid0(VALU_DEP_1) | instskip(SKIP_1) | instid1(VALU_DEP_1)
	v_cndmask_b32_e64 v22, v22, v21, s7
	v_cndmask_b32_e64 v19, v25, v19, s7
	v_cmp_ge_i32_e64 s7, v19, v22
	s_delay_alu instid0(VALU_DEP_1) | instskip(NEXT) | instid1(SALU_CYCLE_1)
	s_or_b32 s9, s7, s9
	s_and_not1_b32 exec_lo, exec_lo, s9
	s_cbranch_execnz .LBB35_54
; %bb.55:
	s_or_b32 exec_lo, exec_lo, s9
.LBB35_56:
	s_delay_alu instid0(SALU_CYCLE_1) | instskip(SKIP_3) | instid1(VALU_DEP_3)
	s_or_b32 exec_lo, exec_lo, s8
	v_add_nc_u32_e32 v17, v16, v17
	v_lshl_add_u32 v24, v19, 2, v18
	v_add_nc_u32_e32 v22, v19, v26
                                        ; implicit-def: $vgpr20
	v_sub_nc_u32_e32 v21, v17, v19
                                        ; implicit-def: $vgpr19
	s_delay_alu instid0(VALU_DEP_2) | instskip(NEXT) | instid1(VALU_DEP_2)
	v_cmp_le_i32_e64 s7, v16, v22
	v_lshl_add_u32 v23, v21, 2, v2
	v_cmp_gt_i32_e64 s9, v15, v21
	ds_load_b32 v17, v24
	ds_load_b32 v18, v23
	s_waitcnt lgkmcnt(0)
	v_cmp_lt_i32_e64 s8, v18, v17
	s_delay_alu instid0(VALU_DEP_1) | instskip(NEXT) | instid1(SALU_CYCLE_1)
	s_or_b32 s7, s7, s8
	s_and_b32 s7, s9, s7
	s_delay_alu instid0(SALU_CYCLE_1) | instskip(NEXT) | instid1(SALU_CYCLE_1)
	s_xor_b32 s8, s7, -1
	s_and_saveexec_b32 s9, s8
	s_delay_alu instid0(SALU_CYCLE_1)
	s_xor_b32 s8, exec_lo, s9
	s_cbranch_execz .LBB35_58
; %bb.57:
	ds_load_b32 v20, v24 offset:4
	v_mov_b32_e32 v19, v18
                                        ; implicit-def: $vgpr23
.LBB35_58:
	s_and_not1_saveexec_b32 s8, s8
	s_cbranch_execz .LBB35_60
; %bb.59:
	ds_load_b32 v19, v23 offset:4
	s_waitcnt lgkmcnt(1)
	v_mov_b32_e32 v20, v17
.LBB35_60:
	s_or_b32 exec_lo, exec_lo, s8
	v_add_nc_u32_e32 v23, 1, v22
	v_add_nc_u32_e32 v24, 1, v21
	s_waitcnt lgkmcnt(0)
	v_cmp_lt_i32_e64 s9, v19, v20
	s_delay_alu instid0(VALU_DEP_3) | instskip(NEXT) | instid1(VALU_DEP_3)
	v_cndmask_b32_e64 v25, v23, v22, s7
	v_cndmask_b32_e64 v26, v21, v24, s7
                                        ; implicit-def: $vgpr23
	s_delay_alu instid0(VALU_DEP_2) | instskip(NEXT) | instid1(VALU_DEP_2)
	v_cmp_ge_i32_e64 s8, v25, v16
	v_cmp_lt_i32_e64 s10, v26, v15
	s_delay_alu instid0(VALU_DEP_2)
	s_or_b32 s8, s8, s9
	s_delay_alu instid0(VALU_DEP_1) | instid1(SALU_CYCLE_1)
	s_and_b32 s8, s10, s8
	s_delay_alu instid0(SALU_CYCLE_1) | instskip(NEXT) | instid1(SALU_CYCLE_1)
	s_xor_b32 s9, s8, -1
	s_and_saveexec_b32 s10, s9
	s_delay_alu instid0(SALU_CYCLE_1)
	s_xor_b32 s9, exec_lo, s10
	s_cbranch_execz .LBB35_62
; %bb.61:
	v_lshl_add_u32 v23, v25, 2, v2
	ds_load_b32 v23, v23 offset:4
.LBB35_62:
	s_or_saveexec_b32 s9, s9
	v_mov_b32_e32 v24, v19
	s_xor_b32 exec_lo, exec_lo, s9
	s_cbranch_execz .LBB35_64
; %bb.63:
	s_waitcnt lgkmcnt(0)
	v_lshl_add_u32 v23, v26, 2, v2
	ds_load_b32 v24, v23 offset:4
	v_mov_b32_e32 v23, v20
.LBB35_64:
	s_or_b32 exec_lo, exec_lo, s9
	v_add_nc_u32_e32 v27, 1, v25
	v_add_nc_u32_e32 v28, 1, v26
	s_waitcnt lgkmcnt(0)
	v_cmp_lt_i32_e64 s10, v24, v23
                                        ; implicit-def: $vgpr29
	s_delay_alu instid0(VALU_DEP_3) | instskip(NEXT) | instid1(VALU_DEP_3)
	v_cndmask_b32_e64 v27, v27, v25, s8
	v_cndmask_b32_e64 v28, v26, v28, s8
	s_delay_alu instid0(VALU_DEP_2) | instskip(NEXT) | instid1(VALU_DEP_2)
	v_cmp_ge_i32_e64 s9, v27, v16
	v_cmp_lt_i32_e64 s11, v28, v15
	s_delay_alu instid0(VALU_DEP_2)
	s_or_b32 s9, s9, s10
	s_delay_alu instid0(VALU_DEP_1) | instid1(SALU_CYCLE_1)
	s_and_b32 s9, s11, s9
	s_delay_alu instid0(SALU_CYCLE_1) | instskip(NEXT) | instid1(SALU_CYCLE_1)
	s_xor_b32 s10, s9, -1
	s_and_saveexec_b32 s11, s10
	s_delay_alu instid0(SALU_CYCLE_1)
	s_xor_b32 s10, exec_lo, s11
	s_cbranch_execz .LBB35_66
; %bb.65:
	v_lshl_add_u32 v29, v27, 2, v2
	ds_load_b32 v29, v29 offset:4
.LBB35_66:
	s_or_saveexec_b32 s10, s10
	v_mov_b32_e32 v30, v24
	s_xor_b32 exec_lo, exec_lo, s10
	s_cbranch_execz .LBB35_68
; %bb.67:
	s_waitcnt lgkmcnt(0)
	v_lshl_add_u32 v29, v28, 2, v2
	ds_load_b32 v30, v29 offset:4
	v_mov_b32_e32 v29, v23
.LBB35_68:
	s_or_b32 exec_lo, exec_lo, s10
	v_add_nc_u32_e32 v31, 1, v27
	v_add_nc_u32_e32 v32, 1, v28
	s_waitcnt lgkmcnt(0)
	v_cmp_lt_i32_e64 s11, v30, v29
                                        ; implicit-def: $vgpr33
	s_delay_alu instid0(VALU_DEP_3) | instskip(NEXT) | instid1(VALU_DEP_3)
	v_cndmask_b32_e64 v31, v31, v27, s9
	v_cndmask_b32_e64 v32, v28, v32, s9
	s_delay_alu instid0(VALU_DEP_2) | instskip(NEXT) | instid1(VALU_DEP_2)
	v_cmp_ge_i32_e64 s10, v31, v16
	v_cmp_lt_i32_e64 s12, v32, v15
	s_delay_alu instid0(VALU_DEP_2)
	s_or_b32 s10, s10, s11
	s_delay_alu instid0(VALU_DEP_1) | instid1(SALU_CYCLE_1)
	s_and_b32 s10, s12, s10
	s_delay_alu instid0(SALU_CYCLE_1) | instskip(NEXT) | instid1(SALU_CYCLE_1)
	s_xor_b32 s11, s10, -1
	s_and_saveexec_b32 s12, s11
	s_delay_alu instid0(SALU_CYCLE_1)
	s_xor_b32 s11, exec_lo, s12
	s_cbranch_execz .LBB35_70
; %bb.69:
	v_lshl_add_u32 v33, v31, 2, v2
	ds_load_b32 v33, v33 offset:4
.LBB35_70:
	s_or_saveexec_b32 s11, s11
	v_mov_b32_e32 v34, v30
	s_xor_b32 exec_lo, exec_lo, s11
	s_cbranch_execz .LBB35_72
; %bb.71:
	s_waitcnt lgkmcnt(0)
	v_lshl_add_u32 v33, v32, 2, v2
	ds_load_b32 v34, v33 offset:4
	v_mov_b32_e32 v33, v29
.LBB35_72:
	s_or_b32 exec_lo, exec_lo, s11
	v_add_nc_u32_e32 v35, 1, v31
	v_add_nc_u32_e32 v36, 1, v32
	s_waitcnt lgkmcnt(0)
	v_cmp_lt_i32_e64 s12, v34, v33
                                        ; implicit-def: $vgpr37
	s_delay_alu instid0(VALU_DEP_3) | instskip(NEXT) | instid1(VALU_DEP_3)
	v_cndmask_b32_e64 v35, v35, v31, s10
	v_cndmask_b32_e64 v36, v32, v36, s10
	s_delay_alu instid0(VALU_DEP_2) | instskip(NEXT) | instid1(VALU_DEP_2)
	v_cmp_ge_i32_e64 s11, v35, v16
	v_cmp_lt_i32_e64 s13, v36, v15
	s_delay_alu instid0(VALU_DEP_2)
	s_or_b32 s11, s11, s12
	s_delay_alu instid0(VALU_DEP_1) | instid1(SALU_CYCLE_1)
	s_and_b32 s11, s13, s11
	s_delay_alu instid0(SALU_CYCLE_1) | instskip(NEXT) | instid1(SALU_CYCLE_1)
	s_xor_b32 s12, s11, -1
	s_and_saveexec_b32 s13, s12
	s_delay_alu instid0(SALU_CYCLE_1)
	s_xor_b32 s12, exec_lo, s13
	s_cbranch_execz .LBB35_74
; %bb.73:
	v_lshl_add_u32 v37, v35, 2, v2
	ds_load_b32 v37, v37 offset:4
.LBB35_74:
	s_or_saveexec_b32 s12, s12
	v_mov_b32_e32 v38, v34
	s_xor_b32 exec_lo, exec_lo, s12
	s_cbranch_execz .LBB35_76
; %bb.75:
	s_waitcnt lgkmcnt(0)
	v_lshl_add_u32 v37, v36, 2, v2
	ds_load_b32 v38, v37 offset:4
	v_mov_b32_e32 v37, v33
.LBB35_76:
	s_or_b32 exec_lo, exec_lo, s12
	v_add_nc_u32_e32 v39, 1, v35
	v_add_nc_u32_e32 v41, 1, v36
	s_waitcnt lgkmcnt(0)
	v_cmp_lt_i32_e64 s13, v38, v37
                                        ; implicit-def: $vgpr43
	s_delay_alu instid0(VALU_DEP_3) | instskip(NEXT) | instid1(VALU_DEP_3)
	v_cndmask_b32_e64 v40, v39, v35, s11
	v_cndmask_b32_e64 v41, v36, v41, s11
	s_delay_alu instid0(VALU_DEP_2) | instskip(NEXT) | instid1(VALU_DEP_2)
	v_cmp_ge_i32_e64 s12, v40, v16
	v_cmp_lt_i32_e64 s14, v41, v15
	s_delay_alu instid0(VALU_DEP_2)
	s_or_b32 s12, s12, s13
	s_delay_alu instid0(VALU_DEP_1) | instid1(SALU_CYCLE_1)
	s_and_b32 s12, s14, s12
	s_delay_alu instid0(SALU_CYCLE_1) | instskip(NEXT) | instid1(SALU_CYCLE_1)
	s_xor_b32 s13, s12, -1
	s_and_saveexec_b32 s14, s13
	s_delay_alu instid0(SALU_CYCLE_1)
	s_xor_b32 s13, exec_lo, s14
	s_cbranch_execz .LBB35_78
; %bb.77:
	v_lshl_add_u32 v39, v40, 2, v2
	ds_load_b32 v43, v39 offset:4
.LBB35_78:
	s_or_saveexec_b32 s13, s13
	v_mov_b32_e32 v44, v38
	s_xor_b32 exec_lo, exec_lo, s13
	s_cbranch_execz .LBB35_80
; %bb.79:
	v_lshl_add_u32 v39, v41, 2, v2
	s_waitcnt lgkmcnt(0)
	v_mov_b32_e32 v43, v37
	ds_load_b32 v44, v39 offset:4
.LBB35_80:
	s_or_b32 exec_lo, exec_lo, s13
	v_add_nc_u32_e32 v39, 1, v40
	v_add_nc_u32_e32 v42, 1, v41
	s_waitcnt lgkmcnt(0)
	v_cmp_lt_i32_e64 s14, v44, v43
	s_delay_alu instid0(VALU_DEP_3) | instskip(NEXT) | instid1(VALU_DEP_3)
	v_cndmask_b32_e64 v45, v39, v40, s12
	v_cndmask_b32_e64 v46, v41, v42, s12
                                        ; implicit-def: $vgpr39
	s_delay_alu instid0(VALU_DEP_2) | instskip(NEXT) | instid1(VALU_DEP_2)
	v_cmp_ge_i32_e64 s13, v45, v16
	v_cmp_lt_i32_e64 s15, v46, v15
	s_delay_alu instid0(VALU_DEP_2)
	s_or_b32 s13, s13, s14
	s_delay_alu instid0(VALU_DEP_1) | instid1(SALU_CYCLE_1)
	s_and_b32 s13, s15, s13
	s_delay_alu instid0(SALU_CYCLE_1) | instskip(NEXT) | instid1(SALU_CYCLE_1)
	s_xor_b32 s14, s13, -1
	s_and_saveexec_b32 s15, s14
	s_delay_alu instid0(SALU_CYCLE_1)
	s_xor_b32 s14, exec_lo, s15
	s_cbranch_execz .LBB35_82
; %bb.81:
	v_lshl_add_u32 v39, v45, 2, v2
	ds_load_b32 v39, v39 offset:4
.LBB35_82:
	s_or_saveexec_b32 s14, s14
	v_mov_b32_e32 v42, v44
	s_xor_b32 exec_lo, exec_lo, s14
	s_cbranch_execz .LBB35_84
; %bb.83:
	s_waitcnt lgkmcnt(0)
	v_lshl_add_u32 v39, v46, 2, v2
	ds_load_b32 v42, v39 offset:4
	v_mov_b32_e32 v39, v43
.LBB35_84:
	s_or_b32 exec_lo, exec_lo, s14
	v_add_nc_u32_e32 v48, 1, v45
	v_cndmask_b32_e64 v43, v43, v44, s13
	v_cndmask_b32_e64 v44, v45, v46, s13
	;; [unrolled: 1-line block ×5, first 2 shown]
	v_add_nc_u32_e32 v47, 1, v46
	v_cndmask_b32_e64 v21, v22, v21, s7
	v_cndmask_b32_e64 v33, v33, v34, s11
	;; [unrolled: 1-line block ×3, first 2 shown]
	v_cmp_ge_i32_e64 s10, v45, v16
	v_and_b32_e32 v16, 0xc0, v13
	v_cndmask_b32_e64 v46, v46, v47, s13
	s_waitcnt lgkmcnt(0)
	v_cmp_lt_i32_e64 s11, v42, v39
	v_cndmask_b32_e64 v37, v37, v38, s12
	v_cndmask_b32_e64 v38, v40, v41, s12
	v_min_i32_e32 v22, v12, v16
	v_cmp_lt_i32_e64 s12, v46, v15
	v_cndmask_b32_e64 v15, v25, v26, s8
	s_or_b32 s10, s10, s11
	v_cndmask_b32_e64 v27, v27, v28, s9
	v_add_nc_u32_e32 v16, 32, v22
	s_and_b32 s10, s12, s10
	s_delay_alu instid0(SALU_CYCLE_1) | instskip(NEXT) | instid1(VALU_DEP_2)
	v_cndmask_b32_e64 v26, v45, v46, s10
	; wave barrier
	v_min_i32_e32 v16, v12, v16
	ds_store_2addr_b32 v3, v0, v4 offset1:1
	ds_store_2addr_b32 v3, v5, v6 offset0:2 offset1:3
	ds_store_2addr_b32 v3, v7, v10 offset0:4 offset1:5
	;; [unrolled: 1-line block ×3, first 2 shown]
	v_lshl_add_u32 v0, v21, 2, v2
	v_and_b32_e32 v11, 56, v13
	v_lshl_add_u32 v4, v15, 2, v2
	v_add_nc_u32_e32 v5, 32, v16
	v_lshl_add_u32 v6, v27, 2, v2
	v_lshl_add_u32 v7, v30, 2, v2
	;; [unrolled: 1-line block ×4, first 2 shown]
	; wave barrier
	v_min_i32_e32 v15, v12, v5
	v_lshl_add_u32 v27, v44, 2, v2
	v_lshl_add_u32 v26, v26, 2, v2
	v_min_i32_e32 v21, v12, v11
	ds_load_b32 v0, v0
	ds_load_b32 v4, v4
	;; [unrolled: 1-line block ×8, first 2 shown]
	v_sub_nc_u32_e32 v28, v15, v16
	v_sub_nc_u32_e32 v27, v16, v22
	v_cndmask_b32_e64 v23, v23, v24, s9
	v_cndmask_b32_e64 v24, v20, v19, s8
	;; [unrolled: 1-line block ×3, first 2 shown]
	v_sub_nc_u32_e32 v26, v21, v28
	v_cmp_ge_i32_e64 s8, v21, v28
	v_min_i32_e32 v20, v21, v27
	v_lshl_add_u32 v17, v22, 2, v2
	v_cndmask_b32_e64 v25, v39, v42, s10
	s_mov_b32 s9, 0
	v_cndmask_b32_e64 v19, 0, v26, s8
	s_mov_b32 s8, exec_lo
	; wave barrier
	ds_store_2addr_b32 v3, v18, v24 offset1:1
	ds_store_2addr_b32 v3, v23, v29 offset0:2 offset1:3
	ds_store_2addr_b32 v3, v33, v37 offset0:4 offset1:5
	;; [unrolled: 1-line block ×3, first 2 shown]
	; wave barrier
	v_cmpx_lt_i32_e64 v19, v20
	s_cbranch_execz .LBB35_88
; %bb.85:
	v_lshlrev_b32_e32 v18, 2, v16
	v_lshlrev_b32_e32 v23, 2, v21
	s_delay_alu instid0(VALU_DEP_1)
	v_add3_u32 v18, v2, v18, v23
	.p2align	6
.LBB35_86:                              ; =>This Inner Loop Header: Depth=1
	v_sub_nc_u32_e32 v23, v20, v19
	s_delay_alu instid0(VALU_DEP_1) | instskip(NEXT) | instid1(VALU_DEP_1)
	v_lshrrev_b32_e32 v24, 31, v23
	v_add_nc_u32_e32 v23, v23, v24
	s_delay_alu instid0(VALU_DEP_1) | instskip(NEXT) | instid1(VALU_DEP_1)
	v_ashrrev_i32_e32 v23, 1, v23
	v_add_nc_u32_e32 v23, v23, v19
	s_delay_alu instid0(VALU_DEP_1) | instskip(SKIP_2) | instid1(VALU_DEP_3)
	v_not_b32_e32 v24, v23
	v_lshl_add_u32 v25, v23, 2, v17
	v_add_nc_u32_e32 v26, 1, v23
	v_lshl_add_u32 v24, v24, 2, v18
	ds_load_b32 v25, v25
	ds_load_b32 v24, v24
	s_waitcnt lgkmcnt(0)
	v_cmp_lt_i32_e64 s7, v24, v25
	s_delay_alu instid0(VALU_DEP_1) | instskip(SKIP_1) | instid1(VALU_DEP_1)
	v_cndmask_b32_e64 v20, v20, v23, s7
	v_cndmask_b32_e64 v19, v26, v19, s7
	v_cmp_ge_i32_e64 s7, v19, v20
	s_delay_alu instid0(VALU_DEP_1) | instskip(NEXT) | instid1(SALU_CYCLE_1)
	s_or_b32 s9, s7, s9
	s_and_not1_b32 exec_lo, exec_lo, s9
	s_cbranch_execnz .LBB35_86
; %bb.87:
	s_or_b32 exec_lo, exec_lo, s9
.LBB35_88:
	s_delay_alu instid0(SALU_CYCLE_1) | instskip(SKIP_3) | instid1(VALU_DEP_3)
	s_or_b32 exec_lo, exec_lo, s8
	v_add_nc_u32_e32 v18, v16, v21
	v_lshl_add_u32 v24, v19, 2, v17
	v_add_nc_u32_e32 v22, v19, v22
                                        ; implicit-def: $vgpr20
	v_sub_nc_u32_e32 v21, v18, v19
                                        ; implicit-def: $vgpr19
	s_delay_alu instid0(VALU_DEP_2) | instskip(NEXT) | instid1(VALU_DEP_2)
	v_cmp_le_i32_e64 s7, v16, v22
	v_lshl_add_u32 v23, v21, 2, v2
	v_cmp_gt_i32_e64 s9, v15, v21
	ds_load_b32 v17, v24
	ds_load_b32 v18, v23
	s_waitcnt lgkmcnt(0)
	v_cmp_lt_i32_e64 s8, v18, v17
	s_delay_alu instid0(VALU_DEP_1) | instskip(NEXT) | instid1(SALU_CYCLE_1)
	s_or_b32 s7, s7, s8
	s_and_b32 s7, s9, s7
	s_delay_alu instid0(SALU_CYCLE_1) | instskip(NEXT) | instid1(SALU_CYCLE_1)
	s_xor_b32 s8, s7, -1
	s_and_saveexec_b32 s9, s8
	s_delay_alu instid0(SALU_CYCLE_1)
	s_xor_b32 s8, exec_lo, s9
	s_cbranch_execz .LBB35_90
; %bb.89:
	ds_load_b32 v20, v24 offset:4
	v_mov_b32_e32 v19, v18
                                        ; implicit-def: $vgpr23
.LBB35_90:
	s_and_not1_saveexec_b32 s8, s8
	s_cbranch_execz .LBB35_92
; %bb.91:
	ds_load_b32 v19, v23 offset:4
	s_waitcnt lgkmcnt(1)
	v_mov_b32_e32 v20, v17
.LBB35_92:
	s_or_b32 exec_lo, exec_lo, s8
	v_add_nc_u32_e32 v23, 1, v22
	v_add_nc_u32_e32 v24, 1, v21
	s_waitcnt lgkmcnt(0)
	v_cmp_lt_i32_e64 s9, v19, v20
	s_delay_alu instid0(VALU_DEP_3) | instskip(NEXT) | instid1(VALU_DEP_3)
	v_cndmask_b32_e64 v25, v23, v22, s7
	v_cndmask_b32_e64 v26, v21, v24, s7
                                        ; implicit-def: $vgpr23
	s_delay_alu instid0(VALU_DEP_2) | instskip(NEXT) | instid1(VALU_DEP_2)
	v_cmp_ge_i32_e64 s8, v25, v16
	v_cmp_lt_i32_e64 s10, v26, v15
	s_delay_alu instid0(VALU_DEP_2)
	s_or_b32 s8, s8, s9
	s_delay_alu instid0(VALU_DEP_1) | instid1(SALU_CYCLE_1)
	s_and_b32 s8, s10, s8
	s_delay_alu instid0(SALU_CYCLE_1) | instskip(NEXT) | instid1(SALU_CYCLE_1)
	s_xor_b32 s9, s8, -1
	s_and_saveexec_b32 s10, s9
	s_delay_alu instid0(SALU_CYCLE_1)
	s_xor_b32 s9, exec_lo, s10
	s_cbranch_execz .LBB35_94
; %bb.93:
	v_lshl_add_u32 v23, v25, 2, v2
	ds_load_b32 v23, v23 offset:4
.LBB35_94:
	s_or_saveexec_b32 s9, s9
	v_mov_b32_e32 v24, v19
	s_xor_b32 exec_lo, exec_lo, s9
	s_cbranch_execz .LBB35_96
; %bb.95:
	s_waitcnt lgkmcnt(0)
	v_lshl_add_u32 v23, v26, 2, v2
	ds_load_b32 v24, v23 offset:4
	v_mov_b32_e32 v23, v20
.LBB35_96:
	s_or_b32 exec_lo, exec_lo, s9
	v_add_nc_u32_e32 v27, 1, v25
	v_add_nc_u32_e32 v28, 1, v26
	s_waitcnt lgkmcnt(0)
	v_cmp_lt_i32_e64 s10, v24, v23
                                        ; implicit-def: $vgpr29
	s_delay_alu instid0(VALU_DEP_3) | instskip(NEXT) | instid1(VALU_DEP_3)
	v_cndmask_b32_e64 v27, v27, v25, s8
	v_cndmask_b32_e64 v28, v26, v28, s8
	s_delay_alu instid0(VALU_DEP_2) | instskip(NEXT) | instid1(VALU_DEP_2)
	v_cmp_ge_i32_e64 s9, v27, v16
	v_cmp_lt_i32_e64 s11, v28, v15
	s_delay_alu instid0(VALU_DEP_2)
	s_or_b32 s9, s9, s10
	s_delay_alu instid0(VALU_DEP_1) | instid1(SALU_CYCLE_1)
	s_and_b32 s9, s11, s9
	s_delay_alu instid0(SALU_CYCLE_1) | instskip(NEXT) | instid1(SALU_CYCLE_1)
	s_xor_b32 s10, s9, -1
	s_and_saveexec_b32 s11, s10
	s_delay_alu instid0(SALU_CYCLE_1)
	s_xor_b32 s10, exec_lo, s11
	s_cbranch_execz .LBB35_98
; %bb.97:
	v_lshl_add_u32 v29, v27, 2, v2
	ds_load_b32 v29, v29 offset:4
.LBB35_98:
	s_or_saveexec_b32 s10, s10
	v_mov_b32_e32 v30, v24
	s_xor_b32 exec_lo, exec_lo, s10
	s_cbranch_execz .LBB35_100
; %bb.99:
	s_waitcnt lgkmcnt(0)
	v_lshl_add_u32 v29, v28, 2, v2
	ds_load_b32 v30, v29 offset:4
	v_mov_b32_e32 v29, v23
.LBB35_100:
	s_or_b32 exec_lo, exec_lo, s10
	v_add_nc_u32_e32 v31, 1, v27
	v_add_nc_u32_e32 v32, 1, v28
	s_waitcnt lgkmcnt(0)
	v_cmp_lt_i32_e64 s11, v30, v29
                                        ; implicit-def: $vgpr33
	s_delay_alu instid0(VALU_DEP_3) | instskip(NEXT) | instid1(VALU_DEP_3)
	v_cndmask_b32_e64 v31, v31, v27, s9
	v_cndmask_b32_e64 v32, v28, v32, s9
	s_delay_alu instid0(VALU_DEP_2) | instskip(NEXT) | instid1(VALU_DEP_2)
	v_cmp_ge_i32_e64 s10, v31, v16
	v_cmp_lt_i32_e64 s12, v32, v15
	s_delay_alu instid0(VALU_DEP_2)
	s_or_b32 s10, s10, s11
	s_delay_alu instid0(VALU_DEP_1) | instid1(SALU_CYCLE_1)
	s_and_b32 s10, s12, s10
	s_delay_alu instid0(SALU_CYCLE_1) | instskip(NEXT) | instid1(SALU_CYCLE_1)
	s_xor_b32 s11, s10, -1
	s_and_saveexec_b32 s12, s11
	s_delay_alu instid0(SALU_CYCLE_1)
	s_xor_b32 s11, exec_lo, s12
	s_cbranch_execz .LBB35_102
; %bb.101:
	v_lshl_add_u32 v33, v31, 2, v2
	ds_load_b32 v33, v33 offset:4
.LBB35_102:
	s_or_saveexec_b32 s11, s11
	v_mov_b32_e32 v34, v30
	s_xor_b32 exec_lo, exec_lo, s11
	s_cbranch_execz .LBB35_104
; %bb.103:
	s_waitcnt lgkmcnt(0)
	v_lshl_add_u32 v33, v32, 2, v2
	ds_load_b32 v34, v33 offset:4
	v_mov_b32_e32 v33, v29
.LBB35_104:
	s_or_b32 exec_lo, exec_lo, s11
	v_add_nc_u32_e32 v35, 1, v31
	v_add_nc_u32_e32 v36, 1, v32
	s_waitcnt lgkmcnt(0)
	v_cmp_lt_i32_e64 s12, v34, v33
                                        ; implicit-def: $vgpr37
	s_delay_alu instid0(VALU_DEP_3) | instskip(NEXT) | instid1(VALU_DEP_3)
	v_cndmask_b32_e64 v35, v35, v31, s10
	v_cndmask_b32_e64 v36, v32, v36, s10
	s_delay_alu instid0(VALU_DEP_2) | instskip(NEXT) | instid1(VALU_DEP_2)
	v_cmp_ge_i32_e64 s11, v35, v16
	v_cmp_lt_i32_e64 s13, v36, v15
	s_delay_alu instid0(VALU_DEP_2)
	s_or_b32 s11, s11, s12
	s_delay_alu instid0(VALU_DEP_1) | instid1(SALU_CYCLE_1)
	s_and_b32 s11, s13, s11
	s_delay_alu instid0(SALU_CYCLE_1) | instskip(NEXT) | instid1(SALU_CYCLE_1)
	s_xor_b32 s12, s11, -1
	s_and_saveexec_b32 s13, s12
	s_delay_alu instid0(SALU_CYCLE_1)
	s_xor_b32 s12, exec_lo, s13
	s_cbranch_execz .LBB35_106
; %bb.105:
	v_lshl_add_u32 v37, v35, 2, v2
	ds_load_b32 v37, v37 offset:4
.LBB35_106:
	s_or_saveexec_b32 s12, s12
	v_mov_b32_e32 v38, v34
	s_xor_b32 exec_lo, exec_lo, s12
	s_cbranch_execz .LBB35_108
; %bb.107:
	s_waitcnt lgkmcnt(0)
	v_lshl_add_u32 v37, v36, 2, v2
	ds_load_b32 v38, v37 offset:4
	v_mov_b32_e32 v37, v33
.LBB35_108:
	s_or_b32 exec_lo, exec_lo, s12
	v_add_nc_u32_e32 v39, 1, v35
	v_add_nc_u32_e32 v41, 1, v36
	s_waitcnt lgkmcnt(0)
	v_cmp_lt_i32_e64 s13, v38, v37
                                        ; implicit-def: $vgpr43
	s_delay_alu instid0(VALU_DEP_3) | instskip(NEXT) | instid1(VALU_DEP_3)
	v_cndmask_b32_e64 v40, v39, v35, s11
	v_cndmask_b32_e64 v41, v36, v41, s11
	s_delay_alu instid0(VALU_DEP_2) | instskip(NEXT) | instid1(VALU_DEP_2)
	v_cmp_ge_i32_e64 s12, v40, v16
	v_cmp_lt_i32_e64 s14, v41, v15
	s_delay_alu instid0(VALU_DEP_2)
	s_or_b32 s12, s12, s13
	s_delay_alu instid0(VALU_DEP_1) | instid1(SALU_CYCLE_1)
	s_and_b32 s12, s14, s12
	s_delay_alu instid0(SALU_CYCLE_1) | instskip(NEXT) | instid1(SALU_CYCLE_1)
	s_xor_b32 s13, s12, -1
	s_and_saveexec_b32 s14, s13
	s_delay_alu instid0(SALU_CYCLE_1)
	s_xor_b32 s13, exec_lo, s14
	s_cbranch_execz .LBB35_110
; %bb.109:
	v_lshl_add_u32 v39, v40, 2, v2
	ds_load_b32 v43, v39 offset:4
.LBB35_110:
	s_or_saveexec_b32 s13, s13
	v_mov_b32_e32 v44, v38
	s_xor_b32 exec_lo, exec_lo, s13
	s_cbranch_execz .LBB35_112
; %bb.111:
	v_lshl_add_u32 v39, v41, 2, v2
	s_waitcnt lgkmcnt(0)
	v_mov_b32_e32 v43, v37
	ds_load_b32 v44, v39 offset:4
.LBB35_112:
	s_or_b32 exec_lo, exec_lo, s13
	v_add_nc_u32_e32 v39, 1, v40
	v_add_nc_u32_e32 v42, 1, v41
	s_waitcnt lgkmcnt(0)
	v_cmp_lt_i32_e64 s14, v44, v43
	s_delay_alu instid0(VALU_DEP_3) | instskip(NEXT) | instid1(VALU_DEP_3)
	v_cndmask_b32_e64 v45, v39, v40, s12
	v_cndmask_b32_e64 v46, v41, v42, s12
                                        ; implicit-def: $vgpr39
	s_delay_alu instid0(VALU_DEP_2) | instskip(NEXT) | instid1(VALU_DEP_2)
	v_cmp_ge_i32_e64 s13, v45, v16
	v_cmp_lt_i32_e64 s15, v46, v15
	s_delay_alu instid0(VALU_DEP_2)
	s_or_b32 s13, s13, s14
	s_delay_alu instid0(VALU_DEP_1) | instid1(SALU_CYCLE_1)
	s_and_b32 s13, s15, s13
	s_delay_alu instid0(SALU_CYCLE_1) | instskip(NEXT) | instid1(SALU_CYCLE_1)
	s_xor_b32 s14, s13, -1
	s_and_saveexec_b32 s15, s14
	s_delay_alu instid0(SALU_CYCLE_1)
	s_xor_b32 s14, exec_lo, s15
	s_cbranch_execz .LBB35_114
; %bb.113:
	v_lshl_add_u32 v39, v45, 2, v2
	ds_load_b32 v39, v39 offset:4
.LBB35_114:
	s_or_saveexec_b32 s14, s14
	v_mov_b32_e32 v42, v44
	s_xor_b32 exec_lo, exec_lo, s14
	s_cbranch_execz .LBB35_116
; %bb.115:
	s_waitcnt lgkmcnt(0)
	v_lshl_add_u32 v39, v46, 2, v2
	ds_load_b32 v42, v39 offset:4
	v_mov_b32_e32 v39, v43
.LBB35_116:
	s_or_b32 exec_lo, exec_lo, s14
	v_add_nc_u32_e32 v48, 1, v45
	v_cndmask_b32_e64 v43, v43, v44, s13
	v_cndmask_b32_e64 v44, v45, v46, s13
	v_add_nc_u32_e32 v47, 1, v46
	v_cndmask_b32_e64 v29, v29, v30, s10
	v_cndmask_b32_e64 v45, v48, v45, s13
	;; [unrolled: 1-line block ×6, first 2 shown]
	v_cmp_ge_i32_e64 s10, v45, v16
	v_and_b32_e32 v16, 0x80, v13
	v_cndmask_b32_e64 v38, v40, v41, s12
	v_cmp_lt_i32_e64 s12, v46, v15
	v_cndmask_b32_e64 v33, v33, v34, s11
	v_cndmask_b32_e64 v34, v35, v36, s11
	v_min_i32_e32 v21, v12, v16
	s_waitcnt lgkmcnt(0)
	v_cmp_lt_i32_e64 s11, v42, v39
	v_cndmask_b32_e64 v25, v25, v26, s8
	v_cndmask_b32_e64 v27, v27, v28, s9
	v_add_nc_u32_e32 v15, 64, v21
	s_delay_alu instid0(VALU_DEP_4) | instskip(NEXT) | instid1(SALU_CYCLE_1)
	s_or_b32 s10, s10, s11
	; wave barrier
	s_and_b32 s10, s12, s10
	ds_store_2addr_b32 v3, v0, v4 offset1:1
	ds_store_2addr_b32 v3, v5, v6 offset0:2 offset1:3
	ds_store_2addr_b32 v3, v7, v10 offset0:4 offset1:5
	;; [unrolled: 1-line block ×3, first 2 shown]
	v_min_i32_e32 v15, v12, v15
	v_cndmask_b32_e64 v28, v45, v46, s10
	v_lshl_add_u32 v0, v22, 2, v2
	v_and_b32_e32 v11, 0x78, v13
	v_lshl_add_u32 v4, v25, 2, v2
	v_add_nc_u32_e32 v5, 64, v15
	v_lshl_add_u32 v6, v27, 2, v2
	v_lshl_add_u32 v7, v30, 2, v2
	;; [unrolled: 1-line block ×4, first 2 shown]
	; wave barrier
	v_min_i32_e32 v16, v12, v5
	v_lshl_add_u32 v25, v44, 2, v2
	v_lshl_add_u32 v27, v28, 2, v2
	v_min_i32_e32 v22, v12, v11
	ds_load_b32 v0, v0
	ds_load_b32 v4, v4
	;; [unrolled: 1-line block ×8, first 2 shown]
	v_sub_nc_u32_e32 v28, v16, v15
	v_sub_nc_u32_e32 v27, v15, v21
	v_cndmask_b32_e64 v23, v23, v24, s9
	v_cndmask_b32_e64 v24, v20, v19, s8
	;; [unrolled: 1-line block ×3, first 2 shown]
	v_sub_nc_u32_e32 v25, v22, v28
	v_cmp_ge_i32_e64 s8, v22, v28
	v_min_i32_e32 v20, v22, v27
	v_lshl_add_u32 v17, v21, 2, v2
	v_cndmask_b32_e64 v26, v39, v42, s10
	s_mov_b32 s9, 0
	v_cndmask_b32_e64 v19, 0, v25, s8
	s_mov_b32 s8, exec_lo
	; wave barrier
	ds_store_2addr_b32 v3, v18, v24 offset1:1
	ds_store_2addr_b32 v3, v23, v29 offset0:2 offset1:3
	ds_store_2addr_b32 v3, v33, v37 offset0:4 offset1:5
	;; [unrolled: 1-line block ×3, first 2 shown]
	; wave barrier
	v_cmpx_lt_i32_e64 v19, v20
	s_cbranch_execz .LBB35_120
; %bb.117:
	v_lshlrev_b32_e32 v18, 2, v15
	v_lshlrev_b32_e32 v23, 2, v22
	s_delay_alu instid0(VALU_DEP_1)
	v_add3_u32 v18, v2, v18, v23
	.p2align	6
.LBB35_118:                             ; =>This Inner Loop Header: Depth=1
	v_sub_nc_u32_e32 v23, v20, v19
	s_delay_alu instid0(VALU_DEP_1) | instskip(NEXT) | instid1(VALU_DEP_1)
	v_lshrrev_b32_e32 v24, 31, v23
	v_add_nc_u32_e32 v23, v23, v24
	s_delay_alu instid0(VALU_DEP_1) | instskip(NEXT) | instid1(VALU_DEP_1)
	v_ashrrev_i32_e32 v23, 1, v23
	v_add_nc_u32_e32 v23, v23, v19
	s_delay_alu instid0(VALU_DEP_1) | instskip(SKIP_2) | instid1(VALU_DEP_3)
	v_not_b32_e32 v24, v23
	v_lshl_add_u32 v25, v23, 2, v17
	v_add_nc_u32_e32 v26, 1, v23
	v_lshl_add_u32 v24, v24, 2, v18
	ds_load_b32 v25, v25
	ds_load_b32 v24, v24
	s_waitcnt lgkmcnt(0)
	v_cmp_lt_i32_e64 s7, v24, v25
	s_delay_alu instid0(VALU_DEP_1) | instskip(SKIP_1) | instid1(VALU_DEP_1)
	v_cndmask_b32_e64 v20, v20, v23, s7
	v_cndmask_b32_e64 v19, v26, v19, s7
	v_cmp_ge_i32_e64 s7, v19, v20
	s_delay_alu instid0(VALU_DEP_1) | instskip(NEXT) | instid1(SALU_CYCLE_1)
	s_or_b32 s9, s7, s9
	s_and_not1_b32 exec_lo, exec_lo, s9
	s_cbranch_execnz .LBB35_118
; %bb.119:
	s_or_b32 exec_lo, exec_lo, s9
.LBB35_120:
	s_delay_alu instid0(SALU_CYCLE_1) | instskip(SKIP_3) | instid1(VALU_DEP_3)
	s_or_b32 exec_lo, exec_lo, s8
	v_add_nc_u32_e32 v18, v15, v22
	v_lshl_add_u32 v25, v19, 2, v17
	v_add_nc_u32_e32 v24, v19, v21
                                        ; implicit-def: $vgpr20
	v_sub_nc_u32_e32 v23, v18, v19
                                        ; implicit-def: $vgpr19
	s_delay_alu instid0(VALU_DEP_2) | instskip(NEXT) | instid1(VALU_DEP_2)
	v_cmp_le_i32_e64 s7, v15, v24
	v_lshl_add_u32 v22, v23, 2, v2
	v_cmp_gt_i32_e64 s9, v16, v23
	ds_load_b32 v17, v25
	ds_load_b32 v18, v22
	s_waitcnt lgkmcnt(0)
	v_cmp_lt_i32_e64 s8, v18, v17
	s_delay_alu instid0(VALU_DEP_1) | instskip(NEXT) | instid1(SALU_CYCLE_1)
	s_or_b32 s7, s7, s8
	s_and_b32 s7, s9, s7
	s_delay_alu instid0(SALU_CYCLE_1) | instskip(NEXT) | instid1(SALU_CYCLE_1)
	s_xor_b32 s8, s7, -1
	s_and_saveexec_b32 s9, s8
	s_delay_alu instid0(SALU_CYCLE_1)
	s_xor_b32 s8, exec_lo, s9
	s_cbranch_execz .LBB35_122
; %bb.121:
	ds_load_b32 v20, v25 offset:4
	v_mov_b32_e32 v19, v18
                                        ; implicit-def: $vgpr22
.LBB35_122:
	s_and_not1_saveexec_b32 s8, s8
	s_cbranch_execz .LBB35_124
; %bb.123:
	ds_load_b32 v19, v22 offset:4
	s_waitcnt lgkmcnt(1)
	v_mov_b32_e32 v20, v17
.LBB35_124:
	s_or_b32 exec_lo, exec_lo, s8
	v_add_nc_u32_e32 v21, 1, v24
	v_add_nc_u32_e32 v22, 1, v23
	s_waitcnt lgkmcnt(0)
	v_cmp_lt_i32_e64 s9, v19, v20
	s_delay_alu instid0(VALU_DEP_3) | instskip(NEXT) | instid1(VALU_DEP_3)
	v_cndmask_b32_e64 v25, v21, v24, s7
	v_cndmask_b32_e64 v26, v23, v22, s7
                                        ; implicit-def: $vgpr21
	s_delay_alu instid0(VALU_DEP_2) | instskip(NEXT) | instid1(VALU_DEP_2)
	v_cmp_ge_i32_e64 s8, v25, v15
	v_cmp_lt_i32_e64 s10, v26, v16
	s_delay_alu instid0(VALU_DEP_2)
	s_or_b32 s8, s8, s9
	s_delay_alu instid0(VALU_DEP_1) | instid1(SALU_CYCLE_1)
	s_and_b32 s8, s10, s8
	s_delay_alu instid0(SALU_CYCLE_1) | instskip(NEXT) | instid1(SALU_CYCLE_1)
	s_xor_b32 s9, s8, -1
	s_and_saveexec_b32 s10, s9
	s_delay_alu instid0(SALU_CYCLE_1)
	s_xor_b32 s9, exec_lo, s10
	s_cbranch_execz .LBB35_126
; %bb.125:
	v_lshl_add_u32 v21, v25, 2, v2
	ds_load_b32 v21, v21 offset:4
.LBB35_126:
	s_or_saveexec_b32 s9, s9
	v_mov_b32_e32 v22, v19
	s_xor_b32 exec_lo, exec_lo, s9
	s_cbranch_execz .LBB35_128
; %bb.127:
	s_waitcnt lgkmcnt(0)
	v_lshl_add_u32 v21, v26, 2, v2
	ds_load_b32 v22, v21 offset:4
	v_mov_b32_e32 v21, v20
.LBB35_128:
	s_or_b32 exec_lo, exec_lo, s9
	v_add_nc_u32_e32 v27, 1, v25
	v_add_nc_u32_e32 v28, 1, v26
	s_waitcnt lgkmcnt(0)
	v_cmp_lt_i32_e64 s10, v22, v21
                                        ; implicit-def: $vgpr29
	s_delay_alu instid0(VALU_DEP_3) | instskip(NEXT) | instid1(VALU_DEP_3)
	v_cndmask_b32_e64 v27, v27, v25, s8
	v_cndmask_b32_e64 v28, v26, v28, s8
	s_delay_alu instid0(VALU_DEP_2) | instskip(NEXT) | instid1(VALU_DEP_2)
	v_cmp_ge_i32_e64 s9, v27, v15
	v_cmp_lt_i32_e64 s11, v28, v16
	s_delay_alu instid0(VALU_DEP_2)
	s_or_b32 s9, s9, s10
	s_delay_alu instid0(VALU_DEP_1) | instid1(SALU_CYCLE_1)
	s_and_b32 s9, s11, s9
	s_delay_alu instid0(SALU_CYCLE_1) | instskip(NEXT) | instid1(SALU_CYCLE_1)
	s_xor_b32 s10, s9, -1
	s_and_saveexec_b32 s11, s10
	s_delay_alu instid0(SALU_CYCLE_1)
	s_xor_b32 s10, exec_lo, s11
	s_cbranch_execz .LBB35_130
; %bb.129:
	v_lshl_add_u32 v29, v27, 2, v2
	ds_load_b32 v29, v29 offset:4
.LBB35_130:
	s_or_saveexec_b32 s10, s10
	v_mov_b32_e32 v30, v22
	s_xor_b32 exec_lo, exec_lo, s10
	s_cbranch_execz .LBB35_132
; %bb.131:
	s_waitcnt lgkmcnt(0)
	v_lshl_add_u32 v29, v28, 2, v2
	ds_load_b32 v30, v29 offset:4
	v_mov_b32_e32 v29, v21
.LBB35_132:
	s_or_b32 exec_lo, exec_lo, s10
	v_add_nc_u32_e32 v31, 1, v27
	v_add_nc_u32_e32 v32, 1, v28
	s_waitcnt lgkmcnt(0)
	v_cmp_lt_i32_e64 s11, v30, v29
                                        ; implicit-def: $vgpr33
	s_delay_alu instid0(VALU_DEP_3) | instskip(NEXT) | instid1(VALU_DEP_3)
	v_cndmask_b32_e64 v31, v31, v27, s9
	v_cndmask_b32_e64 v32, v28, v32, s9
	s_delay_alu instid0(VALU_DEP_2) | instskip(NEXT) | instid1(VALU_DEP_2)
	v_cmp_ge_i32_e64 s10, v31, v15
	v_cmp_lt_i32_e64 s12, v32, v16
	s_delay_alu instid0(VALU_DEP_2)
	s_or_b32 s10, s10, s11
	s_delay_alu instid0(VALU_DEP_1) | instid1(SALU_CYCLE_1)
	s_and_b32 s10, s12, s10
	s_delay_alu instid0(SALU_CYCLE_1) | instskip(NEXT) | instid1(SALU_CYCLE_1)
	s_xor_b32 s11, s10, -1
	s_and_saveexec_b32 s12, s11
	s_delay_alu instid0(SALU_CYCLE_1)
	s_xor_b32 s11, exec_lo, s12
	s_cbranch_execz .LBB35_134
; %bb.133:
	v_lshl_add_u32 v33, v31, 2, v2
	ds_load_b32 v33, v33 offset:4
.LBB35_134:
	s_or_saveexec_b32 s11, s11
	v_mov_b32_e32 v34, v30
	s_xor_b32 exec_lo, exec_lo, s11
	s_cbranch_execz .LBB35_136
; %bb.135:
	s_waitcnt lgkmcnt(0)
	v_lshl_add_u32 v33, v32, 2, v2
	ds_load_b32 v34, v33 offset:4
	v_mov_b32_e32 v33, v29
.LBB35_136:
	s_or_b32 exec_lo, exec_lo, s11
	v_add_nc_u32_e32 v35, 1, v31
	v_add_nc_u32_e32 v36, 1, v32
	s_waitcnt lgkmcnt(0)
	v_cmp_lt_i32_e64 s12, v34, v33
                                        ; implicit-def: $vgpr37
	s_delay_alu instid0(VALU_DEP_3) | instskip(NEXT) | instid1(VALU_DEP_3)
	v_cndmask_b32_e64 v35, v35, v31, s10
	v_cndmask_b32_e64 v36, v32, v36, s10
	s_delay_alu instid0(VALU_DEP_2) | instskip(NEXT) | instid1(VALU_DEP_2)
	v_cmp_ge_i32_e64 s11, v35, v15
	v_cmp_lt_i32_e64 s13, v36, v16
	s_delay_alu instid0(VALU_DEP_2)
	s_or_b32 s11, s11, s12
	s_delay_alu instid0(VALU_DEP_1) | instid1(SALU_CYCLE_1)
	s_and_b32 s11, s13, s11
	s_delay_alu instid0(SALU_CYCLE_1) | instskip(NEXT) | instid1(SALU_CYCLE_1)
	s_xor_b32 s12, s11, -1
	s_and_saveexec_b32 s13, s12
	s_delay_alu instid0(SALU_CYCLE_1)
	s_xor_b32 s12, exec_lo, s13
	s_cbranch_execz .LBB35_138
; %bb.137:
	v_lshl_add_u32 v37, v35, 2, v2
	ds_load_b32 v37, v37 offset:4
.LBB35_138:
	s_or_saveexec_b32 s12, s12
	v_mov_b32_e32 v38, v34
	s_xor_b32 exec_lo, exec_lo, s12
	s_cbranch_execz .LBB35_140
; %bb.139:
	s_waitcnt lgkmcnt(0)
	v_lshl_add_u32 v37, v36, 2, v2
	ds_load_b32 v38, v37 offset:4
	v_mov_b32_e32 v37, v33
.LBB35_140:
	s_or_b32 exec_lo, exec_lo, s12
	v_add_nc_u32_e32 v39, 1, v35
	v_add_nc_u32_e32 v41, 1, v36
	s_waitcnt lgkmcnt(0)
	v_cmp_lt_i32_e64 s13, v38, v37
                                        ; implicit-def: $vgpr43
	s_delay_alu instid0(VALU_DEP_3) | instskip(NEXT) | instid1(VALU_DEP_3)
	v_cndmask_b32_e64 v40, v39, v35, s11
	v_cndmask_b32_e64 v41, v36, v41, s11
	s_delay_alu instid0(VALU_DEP_2) | instskip(NEXT) | instid1(VALU_DEP_2)
	v_cmp_ge_i32_e64 s12, v40, v15
	v_cmp_lt_i32_e64 s14, v41, v16
	s_delay_alu instid0(VALU_DEP_2)
	s_or_b32 s12, s12, s13
	s_delay_alu instid0(VALU_DEP_1) | instid1(SALU_CYCLE_1)
	s_and_b32 s12, s14, s12
	s_delay_alu instid0(SALU_CYCLE_1) | instskip(NEXT) | instid1(SALU_CYCLE_1)
	s_xor_b32 s13, s12, -1
	s_and_saveexec_b32 s14, s13
	s_delay_alu instid0(SALU_CYCLE_1)
	s_xor_b32 s13, exec_lo, s14
	s_cbranch_execz .LBB35_142
; %bb.141:
	v_lshl_add_u32 v39, v40, 2, v2
	ds_load_b32 v43, v39 offset:4
.LBB35_142:
	s_or_saveexec_b32 s13, s13
	v_mov_b32_e32 v44, v38
	s_xor_b32 exec_lo, exec_lo, s13
	s_cbranch_execz .LBB35_144
; %bb.143:
	v_lshl_add_u32 v39, v41, 2, v2
	s_waitcnt lgkmcnt(0)
	v_mov_b32_e32 v43, v37
	ds_load_b32 v44, v39 offset:4
.LBB35_144:
	s_or_b32 exec_lo, exec_lo, s13
	v_add_nc_u32_e32 v39, 1, v40
	v_add_nc_u32_e32 v42, 1, v41
	s_waitcnt lgkmcnt(0)
	v_cmp_lt_i32_e64 s14, v44, v43
	s_delay_alu instid0(VALU_DEP_3) | instskip(NEXT) | instid1(VALU_DEP_3)
	v_cndmask_b32_e64 v45, v39, v40, s12
	v_cndmask_b32_e64 v46, v41, v42, s12
                                        ; implicit-def: $vgpr39
	s_delay_alu instid0(VALU_DEP_2) | instskip(NEXT) | instid1(VALU_DEP_2)
	v_cmp_ge_i32_e64 s13, v45, v15
	v_cmp_lt_i32_e64 s15, v46, v16
	s_delay_alu instid0(VALU_DEP_2)
	s_or_b32 s13, s13, s14
	s_delay_alu instid0(VALU_DEP_1) | instid1(SALU_CYCLE_1)
	s_and_b32 s13, s15, s13
	s_delay_alu instid0(SALU_CYCLE_1) | instskip(NEXT) | instid1(SALU_CYCLE_1)
	s_xor_b32 s14, s13, -1
	s_and_saveexec_b32 s15, s14
	s_delay_alu instid0(SALU_CYCLE_1)
	s_xor_b32 s14, exec_lo, s15
	s_cbranch_execz .LBB35_146
; %bb.145:
	v_lshl_add_u32 v39, v45, 2, v2
	ds_load_b32 v39, v39 offset:4
.LBB35_146:
	s_or_saveexec_b32 s14, s14
	v_mov_b32_e32 v42, v44
	s_xor_b32 exec_lo, exec_lo, s14
	s_cbranch_execz .LBB35_148
; %bb.147:
	s_waitcnt lgkmcnt(0)
	v_lshl_add_u32 v39, v46, 2, v2
	ds_load_b32 v42, v39 offset:4
	v_mov_b32_e32 v39, v43
.LBB35_148:
	s_or_b32 exec_lo, exec_lo, s14
	v_add_nc_u32_e32 v47, 1, v46
	v_add_nc_u32_e32 v48, 1, v45
	v_cndmask_b32_e64 v43, v43, v44, s13
	v_cndmask_b32_e64 v44, v45, v46, s13
	;; [unrolled: 1-line block ×8, first 2 shown]
	v_cmp_lt_i32_e64 s12, v46, v16
	v_min_i32_e32 v16, 0, v12
	v_cmp_ge_i32_e64 s10, v45, v15
	v_cndmask_b32_e64 v15, v27, v28, s9
	v_cndmask_b32_e64 v33, v33, v34, s11
	;; [unrolled: 1-line block ×3, first 2 shown]
	v_add_nc_u32_e32 v27, 0x80, v16
	s_waitcnt lgkmcnt(0)
	v_cmp_lt_i32_e64 s11, v42, v39
	v_cndmask_b32_e64 v23, v24, v23, s7
	; wave barrier
	ds_store_2addr_b32 v3, v0, v4 offset1:1
	ds_store_2addr_b32 v3, v5, v6 offset0:2 offset1:3
	ds_store_2addr_b32 v3, v7, v10 offset0:4 offset1:5
	ds_store_2addr_b32 v3, v11, v14 offset0:6 offset1:7
	v_min_i32_e32 v14, v12, v27
	v_cndmask_b32_e64 v25, v25, v26, s8
	s_or_b32 s10, s10, s11
	v_lshl_add_u32 v0, v23, 2, v2
	s_and_b32 s10, s12, s10
	v_add_nc_u32_e32 v5, 0x80, v14
	v_cndmask_b32_e64 v26, v45, v46, s10
	v_and_b32_e32 v11, 0xf8, v13
	v_lshl_add_u32 v4, v25, 2, v2
	v_lshl_add_u32 v6, v15, 2, v2
	v_lshl_add_u32 v7, v30, 2, v2
	v_lshl_add_u32 v10, v34, 2, v2
	; wave barrier
	v_min_i32_e32 v13, v12, v5
	v_lshl_add_u32 v23, v38, 2, v2
	v_lshl_add_u32 v25, v44, 2, v2
	v_lshl_add_u32 v26, v26, 2, v2
	v_min_i32_e32 v15, v12, v11
	ds_load_b32 v0, v0
	ds_load_b32 v4, v4
	;; [unrolled: 1-line block ×8, first 2 shown]
	v_sub_nc_u32_e32 v27, v13, v14
	v_sub_nc_u32_e32 v25, v14, v16
	v_cndmask_b32_e64 v21, v21, v22, s9
	v_cndmask_b32_e64 v22, v20, v19, s8
	;; [unrolled: 1-line block ×3, first 2 shown]
	v_sub_nc_u32_e32 v23, v15, v27
	v_cmp_ge_i32_e64 s8, v15, v27
	v_min_i32_e32 v20, v15, v25
	v_lshl_add_u32 v17, v16, 2, v2
	v_cndmask_b32_e64 v24, v39, v42, s10
	s_mov_b32 s9, 0
	v_cndmask_b32_e64 v19, 0, v23, s8
	s_mov_b32 s8, exec_lo
	; wave barrier
	ds_store_2addr_b32 v3, v18, v22 offset1:1
	ds_store_2addr_b32 v3, v21, v29 offset0:2 offset1:3
	ds_store_2addr_b32 v3, v33, v37 offset0:4 offset1:5
	ds_store_2addr_b32 v3, v43, v24 offset0:6 offset1:7
	; wave barrier
	v_cmpx_lt_i32_e64 v19, v20
	s_cbranch_execz .LBB35_152
; %bb.149:
	v_lshlrev_b32_e32 v18, 2, v14
	v_lshlrev_b32_e32 v21, 2, v15
	s_delay_alu instid0(VALU_DEP_1)
	v_add3_u32 v18, v2, v18, v21
	.p2align	6
.LBB35_150:                             ; =>This Inner Loop Header: Depth=1
	v_sub_nc_u32_e32 v21, v20, v19
	s_delay_alu instid0(VALU_DEP_1) | instskip(NEXT) | instid1(VALU_DEP_1)
	v_lshrrev_b32_e32 v22, 31, v21
	v_add_nc_u32_e32 v21, v21, v22
	s_delay_alu instid0(VALU_DEP_1) | instskip(NEXT) | instid1(VALU_DEP_1)
	v_ashrrev_i32_e32 v21, 1, v21
	v_add_nc_u32_e32 v21, v21, v19
	s_delay_alu instid0(VALU_DEP_1) | instskip(SKIP_2) | instid1(VALU_DEP_3)
	v_not_b32_e32 v22, v21
	v_lshl_add_u32 v23, v21, 2, v17
	v_add_nc_u32_e32 v24, 1, v21
	v_lshl_add_u32 v22, v22, 2, v18
	ds_load_b32 v23, v23
	ds_load_b32 v22, v22
	s_waitcnt lgkmcnt(0)
	v_cmp_lt_i32_e64 s7, v22, v23
	s_delay_alu instid0(VALU_DEP_1) | instskip(SKIP_1) | instid1(VALU_DEP_1)
	v_cndmask_b32_e64 v20, v20, v21, s7
	v_cndmask_b32_e64 v19, v24, v19, s7
	v_cmp_ge_i32_e64 s7, v19, v20
	s_delay_alu instid0(VALU_DEP_1) | instskip(NEXT) | instid1(SALU_CYCLE_1)
	s_or_b32 s9, s7, s9
	s_and_not1_b32 exec_lo, exec_lo, s9
	s_cbranch_execnz .LBB35_150
; %bb.151:
	s_or_b32 exec_lo, exec_lo, s9
.LBB35_152:
	s_delay_alu instid0(SALU_CYCLE_1) | instskip(SKIP_3) | instid1(VALU_DEP_3)
	s_or_b32 exec_lo, exec_lo, s8
	v_add_nc_u32_e32 v15, v14, v15
	v_lshl_add_u32 v22, v19, 2, v17
	v_add_nc_u32_e32 v16, v19, v16
                                        ; implicit-def: $vgpr20
	v_sub_nc_u32_e32 v15, v15, v19
                                        ; implicit-def: $vgpr19
	s_delay_alu instid0(VALU_DEP_2) | instskip(NEXT) | instid1(VALU_DEP_2)
	v_cmp_le_i32_e64 s7, v14, v16
	v_lshl_add_u32 v21, v15, 2, v2
	v_cmp_gt_i32_e64 s9, v13, v15
	ds_load_b32 v17, v22
	ds_load_b32 v18, v21
	s_waitcnt lgkmcnt(0)
	v_cmp_lt_i32_e64 s8, v18, v17
	s_delay_alu instid0(VALU_DEP_1) | instskip(NEXT) | instid1(SALU_CYCLE_1)
	s_or_b32 s7, s7, s8
	s_and_b32 s7, s9, s7
	s_delay_alu instid0(SALU_CYCLE_1) | instskip(NEXT) | instid1(SALU_CYCLE_1)
	s_xor_b32 s8, s7, -1
	s_and_saveexec_b32 s9, s8
	s_delay_alu instid0(SALU_CYCLE_1)
	s_xor_b32 s8, exec_lo, s9
	s_cbranch_execz .LBB35_154
; %bb.153:
	ds_load_b32 v20, v22 offset:4
	v_mov_b32_e32 v19, v18
                                        ; implicit-def: $vgpr21
.LBB35_154:
	s_and_not1_saveexec_b32 s8, s8
	s_cbranch_execz .LBB35_156
; %bb.155:
	ds_load_b32 v19, v21 offset:4
	s_waitcnt lgkmcnt(1)
	v_mov_b32_e32 v20, v17
.LBB35_156:
	s_or_b32 exec_lo, exec_lo, s8
	v_add_nc_u32_e32 v21, 1, v16
	v_add_nc_u32_e32 v22, 1, v15
	s_waitcnt lgkmcnt(0)
	v_cmp_lt_i32_e64 s9, v19, v20
	s_delay_alu instid0(VALU_DEP_3) | instskip(NEXT) | instid1(VALU_DEP_3)
	v_cndmask_b32_e64 v23, v21, v16, s7
	v_cndmask_b32_e64 v24, v15, v22, s7
                                        ; implicit-def: $vgpr21
	s_delay_alu instid0(VALU_DEP_2) | instskip(NEXT) | instid1(VALU_DEP_2)
	v_cmp_ge_i32_e64 s8, v23, v14
	v_cmp_lt_i32_e64 s10, v24, v13
	s_delay_alu instid0(VALU_DEP_2)
	s_or_b32 s8, s8, s9
	s_delay_alu instid0(VALU_DEP_1) | instid1(SALU_CYCLE_1)
	s_and_b32 s8, s10, s8
	s_delay_alu instid0(SALU_CYCLE_1) | instskip(NEXT) | instid1(SALU_CYCLE_1)
	s_xor_b32 s9, s8, -1
	s_and_saveexec_b32 s10, s9
	s_delay_alu instid0(SALU_CYCLE_1)
	s_xor_b32 s9, exec_lo, s10
	s_cbranch_execz .LBB35_158
; %bb.157:
	v_lshl_add_u32 v21, v23, 2, v2
	ds_load_b32 v21, v21 offset:4
.LBB35_158:
	s_or_saveexec_b32 s9, s9
	v_mov_b32_e32 v22, v19
	s_xor_b32 exec_lo, exec_lo, s9
	s_cbranch_execz .LBB35_160
; %bb.159:
	s_waitcnt lgkmcnt(0)
	v_lshl_add_u32 v21, v24, 2, v2
	ds_load_b32 v22, v21 offset:4
	v_mov_b32_e32 v21, v20
.LBB35_160:
	s_or_b32 exec_lo, exec_lo, s9
	v_add_nc_u32_e32 v25, 1, v23
	v_add_nc_u32_e32 v26, 1, v24
	s_waitcnt lgkmcnt(0)
	v_cmp_lt_i32_e64 s10, v22, v21
	s_delay_alu instid0(VALU_DEP_3) | instskip(NEXT) | instid1(VALU_DEP_3)
	v_cndmask_b32_e64 v27, v25, v23, s8
	v_cndmask_b32_e64 v28, v24, v26, s8
                                        ; implicit-def: $vgpr25
	s_delay_alu instid0(VALU_DEP_2) | instskip(NEXT) | instid1(VALU_DEP_2)
	v_cmp_ge_i32_e64 s9, v27, v14
	v_cmp_lt_i32_e64 s11, v28, v13
	s_delay_alu instid0(VALU_DEP_2)
	s_or_b32 s9, s9, s10
	s_delay_alu instid0(VALU_DEP_1) | instid1(SALU_CYCLE_1)
	s_and_b32 s9, s11, s9
	s_delay_alu instid0(SALU_CYCLE_1) | instskip(NEXT) | instid1(SALU_CYCLE_1)
	s_xor_b32 s10, s9, -1
	s_and_saveexec_b32 s11, s10
	s_delay_alu instid0(SALU_CYCLE_1)
	s_xor_b32 s10, exec_lo, s11
	s_cbranch_execz .LBB35_162
; %bb.161:
	v_lshl_add_u32 v25, v27, 2, v2
	ds_load_b32 v25, v25 offset:4
.LBB35_162:
	s_or_saveexec_b32 s10, s10
	v_mov_b32_e32 v26, v22
	s_xor_b32 exec_lo, exec_lo, s10
	s_cbranch_execz .LBB35_164
; %bb.163:
	s_waitcnt lgkmcnt(0)
	v_lshl_add_u32 v25, v28, 2, v2
	ds_load_b32 v26, v25 offset:4
	v_mov_b32_e32 v25, v21
.LBB35_164:
	s_or_b32 exec_lo, exec_lo, s10
	v_add_nc_u32_e32 v29, 1, v27
	v_add_nc_u32_e32 v30, 1, v28
	s_waitcnt lgkmcnt(0)
	v_cmp_lt_i32_e64 s11, v26, v25
	s_delay_alu instid0(VALU_DEP_3) | instskip(NEXT) | instid1(VALU_DEP_3)
	v_cndmask_b32_e64 v31, v29, v27, s9
	v_cndmask_b32_e64 v32, v28, v30, s9
                                        ; implicit-def: $vgpr29
	s_delay_alu instid0(VALU_DEP_2) | instskip(NEXT) | instid1(VALU_DEP_2)
	v_cmp_ge_i32_e64 s10, v31, v14
	v_cmp_lt_i32_e64 s12, v32, v13
	s_delay_alu instid0(VALU_DEP_2)
	s_or_b32 s10, s10, s11
	s_delay_alu instid0(VALU_DEP_1) | instid1(SALU_CYCLE_1)
	s_and_b32 s10, s12, s10
	s_delay_alu instid0(SALU_CYCLE_1) | instskip(NEXT) | instid1(SALU_CYCLE_1)
	s_xor_b32 s11, s10, -1
	s_and_saveexec_b32 s12, s11
	s_delay_alu instid0(SALU_CYCLE_1)
	s_xor_b32 s11, exec_lo, s12
	s_cbranch_execz .LBB35_166
; %bb.165:
	v_lshl_add_u32 v29, v31, 2, v2
	ds_load_b32 v29, v29 offset:4
.LBB35_166:
	s_or_saveexec_b32 s11, s11
	v_mov_b32_e32 v30, v26
	s_xor_b32 exec_lo, exec_lo, s11
	s_cbranch_execz .LBB35_168
; %bb.167:
	s_waitcnt lgkmcnt(0)
	v_lshl_add_u32 v29, v32, 2, v2
	ds_load_b32 v30, v29 offset:4
	v_mov_b32_e32 v29, v25
.LBB35_168:
	s_or_b32 exec_lo, exec_lo, s11
	v_add_nc_u32_e32 v33, 1, v31
	v_add_nc_u32_e32 v34, 1, v32
	s_waitcnt lgkmcnt(0)
	v_cmp_lt_i32_e64 s12, v30, v29
	s_delay_alu instid0(VALU_DEP_3) | instskip(NEXT) | instid1(VALU_DEP_3)
	v_cndmask_b32_e64 v35, v33, v31, s10
	v_cndmask_b32_e64 v36, v32, v34, s10
                                        ; implicit-def: $vgpr33
	s_delay_alu instid0(VALU_DEP_2) | instskip(NEXT) | instid1(VALU_DEP_2)
	v_cmp_ge_i32_e64 s11, v35, v14
	v_cmp_lt_i32_e64 s13, v36, v13
	s_delay_alu instid0(VALU_DEP_2)
	s_or_b32 s11, s11, s12
	s_delay_alu instid0(VALU_DEP_1) | instid1(SALU_CYCLE_1)
	s_and_b32 s11, s13, s11
	s_delay_alu instid0(SALU_CYCLE_1) | instskip(NEXT) | instid1(SALU_CYCLE_1)
	s_xor_b32 s12, s11, -1
	s_and_saveexec_b32 s13, s12
	s_delay_alu instid0(SALU_CYCLE_1)
	s_xor_b32 s12, exec_lo, s13
	s_cbranch_execz .LBB35_170
; %bb.169:
	v_lshl_add_u32 v33, v35, 2, v2
	ds_load_b32 v33, v33 offset:4
.LBB35_170:
	s_or_saveexec_b32 s12, s12
	v_mov_b32_e32 v34, v30
	s_xor_b32 exec_lo, exec_lo, s12
	s_cbranch_execz .LBB35_172
; %bb.171:
	s_waitcnt lgkmcnt(0)
	v_lshl_add_u32 v33, v36, 2, v2
	ds_load_b32 v34, v33 offset:4
	v_mov_b32_e32 v33, v29
.LBB35_172:
	s_or_b32 exec_lo, exec_lo, s12
	v_add_nc_u32_e32 v37, 1, v35
	v_add_nc_u32_e32 v38, 1, v36
	s_waitcnt lgkmcnt(0)
	v_cmp_lt_i32_e64 s13, v34, v33
	s_delay_alu instid0(VALU_DEP_3) | instskip(NEXT) | instid1(VALU_DEP_3)
	v_cndmask_b32_e64 v39, v37, v35, s11
	v_cndmask_b32_e64 v40, v36, v38, s11
                                        ; implicit-def: $vgpr37
	s_delay_alu instid0(VALU_DEP_2) | instskip(NEXT) | instid1(VALU_DEP_2)
	v_cmp_ge_i32_e64 s12, v39, v14
	v_cmp_lt_i32_e64 s14, v40, v13
	s_delay_alu instid0(VALU_DEP_2)
	s_or_b32 s12, s12, s13
	s_delay_alu instid0(VALU_DEP_1) | instid1(SALU_CYCLE_1)
	s_and_b32 s12, s14, s12
	s_delay_alu instid0(SALU_CYCLE_1) | instskip(NEXT) | instid1(SALU_CYCLE_1)
	s_xor_b32 s13, s12, -1
	s_and_saveexec_b32 s14, s13
	s_delay_alu instid0(SALU_CYCLE_1)
	s_xor_b32 s13, exec_lo, s14
	s_cbranch_execz .LBB35_174
; %bb.173:
	v_lshl_add_u32 v37, v39, 2, v2
	ds_load_b32 v37, v37 offset:4
.LBB35_174:
	s_or_saveexec_b32 s13, s13
	v_mov_b32_e32 v38, v34
	s_xor_b32 exec_lo, exec_lo, s13
	s_cbranch_execz .LBB35_176
; %bb.175:
	s_waitcnt lgkmcnt(0)
	v_lshl_add_u32 v37, v40, 2, v2
	ds_load_b32 v38, v37 offset:4
	v_mov_b32_e32 v37, v33
.LBB35_176:
	s_or_b32 exec_lo, exec_lo, s13
	v_add_nc_u32_e32 v41, 1, v39
	v_add_nc_u32_e32 v42, 1, v40
	s_waitcnt lgkmcnt(0)
	v_cmp_lt_i32_e64 s14, v38, v37
                                        ; implicit-def: $vgpr44
                                        ; implicit-def: $vgpr43
	s_delay_alu instid0(VALU_DEP_3) | instskip(NEXT) | instid1(VALU_DEP_3)
	v_cndmask_b32_e64 v45, v41, v39, s12
	v_cndmask_b32_e64 v41, v40, v42, s12
	s_delay_alu instid0(VALU_DEP_2) | instskip(NEXT) | instid1(VALU_DEP_2)
	v_cmp_ge_i32_e64 s13, v45, v14
	v_cmp_lt_i32_e64 s15, v41, v13
	s_delay_alu instid0(VALU_DEP_2)
	s_or_b32 s13, s13, s14
	s_delay_alu instid0(VALU_DEP_1) | instid1(SALU_CYCLE_1)
	s_and_b32 s13, s15, s13
	s_delay_alu instid0(SALU_CYCLE_1) | instskip(NEXT) | instid1(SALU_CYCLE_1)
	s_xor_b32 s14, s13, -1
	s_and_saveexec_b32 s15, s14
	s_delay_alu instid0(SALU_CYCLE_1)
	s_xor_b32 s14, exec_lo, s15
	s_cbranch_execz .LBB35_178
; %bb.177:
	v_lshl_add_u32 v42, v45, 2, v2
	v_add_nc_u32_e32 v43, 1, v45
	ds_load_b32 v44, v42 offset:4
.LBB35_178:
	s_or_saveexec_b32 s14, s14
	v_mov_b32_e32 v42, v45
	v_mov_b32_e32 v46, v38
	s_xor_b32 exec_lo, exec_lo, s14
	s_cbranch_execz .LBB35_180
; %bb.179:
	v_lshl_add_u32 v42, v41, 2, v2
	s_waitcnt lgkmcnt(0)
	v_dual_mov_b32 v43, v45 :: v_dual_add_nc_u32 v44, 1, v41
	ds_load_b32 v46, v42 offset:4
	v_dual_mov_b32 v42, v41 :: v_dual_mov_b32 v41, v44
	v_mov_b32_e32 v44, v37
.LBB35_180:
	s_or_b32 exec_lo, exec_lo, s14
	v_cmp_ge_i32_e64 s14, v43, v14
	s_waitcnt lgkmcnt(0)
	s_delay_alu instid0(VALU_DEP_2)
	v_cmp_lt_i32_e64 s15, v46, v44
	v_cmp_lt_i32_e64 s16, v41, v13
	v_cndmask_b32_e64 v23, v23, v24, s8
	v_cndmask_b32_e64 v27, v27, v28, s9
	;; [unrolled: 1-line block ×3, first 2 shown]
	s_or_b32 s14, s14, s15
	v_cndmask_b32_e64 v14, v35, v36, s11
	s_and_b32 s14, s16, s14
	v_cndmask_b32_e64 v39, v39, v40, s12
	v_cndmask_b32_e64 v24, v43, v41, s14
	; wave barrier
	ds_store_2addr_b32 v3, v0, v4 offset1:1
	ds_store_2addr_b32 v3, v5, v6 offset0:2 offset1:3
	ds_store_2addr_b32 v3, v7, v10 offset0:4 offset1:5
	ds_store_2addr_b32 v3, v11, v12 offset0:6 offset1:7
	v_lshl_add_u32 v0, v23, 2, v2
	v_lshl_add_u32 v3, v27, 2, v2
	;; [unrolled: 1-line block ×5, first 2 shown]
	; wave barrier
	v_lshl_add_u32 v11, v42, 2, v2
	v_lshl_add_u32 v12, v24, 2, v2
	ds_load_b32 v24, v0
	ds_load_b32 v23, v3
	;; [unrolled: 1-line block ×7, first 2 shown]
	v_cndmask_b32_e64 v13, v44, v46, s14
	v_cndmask_b32_e64 v5, v17, v18, s7
	;; [unrolled: 1-line block ×8, first 2 shown]
	s_and_saveexec_b32 s8, vcc_lo
	s_cbranch_execz .LBB35_182
; %bb.181:
	v_cndmask_b32_e64 v15, v16, v15, s7
	s_delay_alu instid0(VALU_DEP_1)
	v_lshl_add_u32 v2, v15, 2, v2
	ds_load_b32 v2, v2
	s_waitcnt lgkmcnt(0)
	v_add_nc_u32_e32 v5, v2, v5
.LBB35_182:
	s_or_b32 exec_lo, exec_lo, s8
	s_waitcnt lgkmcnt(6)
	v_add_nc_u32_e32 v2, v18, v24
	s_waitcnt lgkmcnt(0)
	v_add_nc_u32_e32 v0, v13, v0
	v_add_co_u32 v8, s7, s18, v8
	v_add_nc_u32_e32 v16, v7, v23
	v_cndmask_b32_e64 v15, v18, v2, s0
	v_add_nc_u32_e32 v2, v17, v3
	v_add_nc_u32_e32 v19, v11, v10
	;; [unrolled: 1-line block ×4, first 2 shown]
	v_add_co_ci_u32_e64 v9, s7, s19, v9, s7
	v_cndmask_b32_e64 v3, v17, v2, s5
	v_cndmask_b32_e64 v2, v13, v0, s6
	v_add_co_u32 v0, s7, v8, v1
	v_cndmask_b32_e64 v10, v7, v16, s1
	v_cndmask_b32_e64 v7, v11, v19, s2
	;; [unrolled: 1-line block ×4, first 2 shown]
	v_add_co_ci_u32_e64 v1, s7, 0, v9, s7
	s_and_saveexec_b32 s7, vcc_lo
	s_delay_alu instid0(SALU_CYCLE_1)
	s_xor_b32 s7, exec_lo, s7
	s_cbranch_execnz .LBB35_191
; %bb.183:
	s_or_b32 exec_lo, exec_lo, s7
	s_and_saveexec_b32 s7, s0
	s_cbranch_execnz .LBB35_192
.LBB35_184:
	s_or_b32 exec_lo, exec_lo, s7
	s_and_saveexec_b32 s0, s1
	s_cbranch_execnz .LBB35_193
.LBB35_185:
	s_or_b32 exec_lo, exec_lo, s0
	s_and_saveexec_b32 s0, s2
	s_cbranch_execnz .LBB35_194
.LBB35_186:
	s_or_b32 exec_lo, exec_lo, s0
	s_and_saveexec_b32 s0, s3
	s_cbranch_execnz .LBB35_195
.LBB35_187:
	s_or_b32 exec_lo, exec_lo, s0
	s_and_saveexec_b32 s0, s4
	s_cbranch_execnz .LBB35_196
.LBB35_188:
	s_or_b32 exec_lo, exec_lo, s0
	s_and_saveexec_b32 s0, s5
	s_cbranch_execnz .LBB35_197
.LBB35_189:
	s_or_b32 exec_lo, exec_lo, s0
	s_and_saveexec_b32 s0, s6
	s_cbranch_execnz .LBB35_198
.LBB35_190:
	s_nop 0
	s_sendmsg sendmsg(MSG_DEALLOC_VGPRS)
	s_endpgm
.LBB35_191:
	global_store_b32 v[0:1], v5, off
	s_or_b32 exec_lo, exec_lo, s7
	s_and_saveexec_b32 s7, s0
	s_cbranch_execz .LBB35_184
.LBB35_192:
	global_store_b32 v[0:1], v15, off offset:4
	s_or_b32 exec_lo, exec_lo, s7
	s_and_saveexec_b32 s0, s1
	s_cbranch_execz .LBB35_185
.LBB35_193:
	global_store_b32 v[0:1], v10, off offset:8
	s_or_b32 exec_lo, exec_lo, s0
	s_and_saveexec_b32 s0, s2
	s_cbranch_execz .LBB35_186
.LBB35_194:
	global_store_b32 v[0:1], v7, off offset:12
	s_or_b32 exec_lo, exec_lo, s0
	s_and_saveexec_b32 s0, s3
	s_cbranch_execz .LBB35_187
.LBB35_195:
	global_store_b32 v[0:1], v6, off offset:16
	s_or_b32 exec_lo, exec_lo, s0
	s_and_saveexec_b32 s0, s4
	s_cbranch_execz .LBB35_188
.LBB35_196:
	global_store_b32 v[0:1], v4, off offset:20
	s_or_b32 exec_lo, exec_lo, s0
	s_and_saveexec_b32 s0, s5
	s_cbranch_execz .LBB35_189
.LBB35_197:
	global_store_b32 v[0:1], v3, off offset:24
	s_or_b32 exec_lo, exec_lo, s0
	s_and_saveexec_b32 s0, s6
	s_cbranch_execz .LBB35_190
.LBB35_198:
	global_store_b32 v[0:1], v2, off offset:28
	s_nop 0
	s_sendmsg sendmsg(MSG_DEALLOC_VGPRS)
	s_endpgm
	.section	.rodata,"a",@progbits
	.p2align	6, 0x0
	.amdhsa_kernel _Z20sort_pairs_segmentedILj256ELj32ELj8EiN10test_utils4lessEEvPKT2_PS2_PKjT3_
		.amdhsa_group_segment_fixed_size 8224
		.amdhsa_private_segment_fixed_size 0
		.amdhsa_kernarg_size 28
		.amdhsa_user_sgpr_count 15
		.amdhsa_user_sgpr_dispatch_ptr 0
		.amdhsa_user_sgpr_queue_ptr 0
		.amdhsa_user_sgpr_kernarg_segment_ptr 1
		.amdhsa_user_sgpr_dispatch_id 0
		.amdhsa_user_sgpr_private_segment_size 0
		.amdhsa_wavefront_size32 1
		.amdhsa_uses_dynamic_stack 0
		.amdhsa_enable_private_segment 0
		.amdhsa_system_sgpr_workgroup_id_x 1
		.amdhsa_system_sgpr_workgroup_id_y 0
		.amdhsa_system_sgpr_workgroup_id_z 0
		.amdhsa_system_sgpr_workgroup_info 0
		.amdhsa_system_vgpr_workitem_id 0
		.amdhsa_next_free_vgpr 49
		.amdhsa_next_free_sgpr 20
		.amdhsa_reserve_vcc 1
		.amdhsa_float_round_mode_32 0
		.amdhsa_float_round_mode_16_64 0
		.amdhsa_float_denorm_mode_32 3
		.amdhsa_float_denorm_mode_16_64 3
		.amdhsa_dx10_clamp 1
		.amdhsa_ieee_mode 1
		.amdhsa_fp16_overflow 0
		.amdhsa_workgroup_processor_mode 1
		.amdhsa_memory_ordered 1
		.amdhsa_forward_progress 0
		.amdhsa_shared_vgpr_count 0
		.amdhsa_exception_fp_ieee_invalid_op 0
		.amdhsa_exception_fp_denorm_src 0
		.amdhsa_exception_fp_ieee_div_zero 0
		.amdhsa_exception_fp_ieee_overflow 0
		.amdhsa_exception_fp_ieee_underflow 0
		.amdhsa_exception_fp_ieee_inexact 0
		.amdhsa_exception_int_div_zero 0
	.end_amdhsa_kernel
	.section	.text._Z20sort_pairs_segmentedILj256ELj32ELj8EiN10test_utils4lessEEvPKT2_PS2_PKjT3_,"axG",@progbits,_Z20sort_pairs_segmentedILj256ELj32ELj8EiN10test_utils4lessEEvPKT2_PS2_PKjT3_,comdat
.Lfunc_end35:
	.size	_Z20sort_pairs_segmentedILj256ELj32ELj8EiN10test_utils4lessEEvPKT2_PS2_PKjT3_, .Lfunc_end35-_Z20sort_pairs_segmentedILj256ELj32ELj8EiN10test_utils4lessEEvPKT2_PS2_PKjT3_
                                        ; -- End function
	.section	.AMDGPU.csdata,"",@progbits
; Kernel info:
; codeLenInByte = 11012
; NumSgprs: 22
; NumVgprs: 49
; ScratchSize: 0
; MemoryBound: 0
; FloatMode: 240
; IeeeMode: 1
; LDSByteSize: 8224 bytes/workgroup (compile time only)
; SGPRBlocks: 2
; VGPRBlocks: 6
; NumSGPRsForWavesPerEU: 22
; NumVGPRsForWavesPerEU: 49
; Occupancy: 16
; WaveLimiterHint : 0
; COMPUTE_PGM_RSRC2:SCRATCH_EN: 0
; COMPUTE_PGM_RSRC2:USER_SGPR: 15
; COMPUTE_PGM_RSRC2:TRAP_HANDLER: 0
; COMPUTE_PGM_RSRC2:TGID_X_EN: 1
; COMPUTE_PGM_RSRC2:TGID_Y_EN: 0
; COMPUTE_PGM_RSRC2:TGID_Z_EN: 0
; COMPUTE_PGM_RSRC2:TIDIG_COMP_CNT: 0
	.section	.text._Z9sort_keysILj256ELj64ELj1EiN10test_utils4lessEEvPKT2_PS2_T3_,"axG",@progbits,_Z9sort_keysILj256ELj64ELj1EiN10test_utils4lessEEvPKT2_PS2_T3_,comdat
	.protected	_Z9sort_keysILj256ELj64ELj1EiN10test_utils4lessEEvPKT2_PS2_T3_ ; -- Begin function _Z9sort_keysILj256ELj64ELj1EiN10test_utils4lessEEvPKT2_PS2_T3_
	.globl	_Z9sort_keysILj256ELj64ELj1EiN10test_utils4lessEEvPKT2_PS2_T3_
	.p2align	8
	.type	_Z9sort_keysILj256ELj64ELj1EiN10test_utils4lessEEvPKT2_PS2_T3_,@function
_Z9sort_keysILj256ELj64ELj1EiN10test_utils4lessEEvPKT2_PS2_T3_: ; @_Z9sort_keysILj256ELj64ELj1EiN10test_utils4lessEEvPKT2_PS2_T3_
; %bb.0:
	s_endpgm
	.section	.rodata,"a",@progbits
	.p2align	6, 0x0
	.amdhsa_kernel _Z9sort_keysILj256ELj64ELj1EiN10test_utils4lessEEvPKT2_PS2_T3_
		.amdhsa_group_segment_fixed_size 0
		.amdhsa_private_segment_fixed_size 0
		.amdhsa_kernarg_size 20
		.amdhsa_user_sgpr_count 15
		.amdhsa_user_sgpr_dispatch_ptr 0
		.amdhsa_user_sgpr_queue_ptr 0
		.amdhsa_user_sgpr_kernarg_segment_ptr 1
		.amdhsa_user_sgpr_dispatch_id 0
		.amdhsa_user_sgpr_private_segment_size 0
		.amdhsa_wavefront_size32 1
		.amdhsa_uses_dynamic_stack 0
		.amdhsa_enable_private_segment 0
		.amdhsa_system_sgpr_workgroup_id_x 1
		.amdhsa_system_sgpr_workgroup_id_y 0
		.amdhsa_system_sgpr_workgroup_id_z 0
		.amdhsa_system_sgpr_workgroup_info 0
		.amdhsa_system_vgpr_workitem_id 0
		.amdhsa_next_free_vgpr 1
		.amdhsa_next_free_sgpr 1
		.amdhsa_reserve_vcc 0
		.amdhsa_float_round_mode_32 0
		.amdhsa_float_round_mode_16_64 0
		.amdhsa_float_denorm_mode_32 3
		.amdhsa_float_denorm_mode_16_64 3
		.amdhsa_dx10_clamp 1
		.amdhsa_ieee_mode 1
		.amdhsa_fp16_overflow 0
		.amdhsa_workgroup_processor_mode 1
		.amdhsa_memory_ordered 1
		.amdhsa_forward_progress 0
		.amdhsa_shared_vgpr_count 0
		.amdhsa_exception_fp_ieee_invalid_op 0
		.amdhsa_exception_fp_denorm_src 0
		.amdhsa_exception_fp_ieee_div_zero 0
		.amdhsa_exception_fp_ieee_overflow 0
		.amdhsa_exception_fp_ieee_underflow 0
		.amdhsa_exception_fp_ieee_inexact 0
		.amdhsa_exception_int_div_zero 0
	.end_amdhsa_kernel
	.section	.text._Z9sort_keysILj256ELj64ELj1EiN10test_utils4lessEEvPKT2_PS2_T3_,"axG",@progbits,_Z9sort_keysILj256ELj64ELj1EiN10test_utils4lessEEvPKT2_PS2_T3_,comdat
.Lfunc_end36:
	.size	_Z9sort_keysILj256ELj64ELj1EiN10test_utils4lessEEvPKT2_PS2_T3_, .Lfunc_end36-_Z9sort_keysILj256ELj64ELj1EiN10test_utils4lessEEvPKT2_PS2_T3_
                                        ; -- End function
	.section	.AMDGPU.csdata,"",@progbits
; Kernel info:
; codeLenInByte = 4
; NumSgprs: 0
; NumVgprs: 0
; ScratchSize: 0
; MemoryBound: 0
; FloatMode: 240
; IeeeMode: 1
; LDSByteSize: 0 bytes/workgroup (compile time only)
; SGPRBlocks: 0
; VGPRBlocks: 0
; NumSGPRsForWavesPerEU: 1
; NumVGPRsForWavesPerEU: 1
; Occupancy: 16
; WaveLimiterHint : 0
; COMPUTE_PGM_RSRC2:SCRATCH_EN: 0
; COMPUTE_PGM_RSRC2:USER_SGPR: 15
; COMPUTE_PGM_RSRC2:TRAP_HANDLER: 0
; COMPUTE_PGM_RSRC2:TGID_X_EN: 1
; COMPUTE_PGM_RSRC2:TGID_Y_EN: 0
; COMPUTE_PGM_RSRC2:TGID_Z_EN: 0
; COMPUTE_PGM_RSRC2:TIDIG_COMP_CNT: 0
	.section	.text._Z10sort_pairsILj256ELj64ELj1EiN10test_utils4lessEEvPKT2_PS2_T3_,"axG",@progbits,_Z10sort_pairsILj256ELj64ELj1EiN10test_utils4lessEEvPKT2_PS2_T3_,comdat
	.protected	_Z10sort_pairsILj256ELj64ELj1EiN10test_utils4lessEEvPKT2_PS2_T3_ ; -- Begin function _Z10sort_pairsILj256ELj64ELj1EiN10test_utils4lessEEvPKT2_PS2_T3_
	.globl	_Z10sort_pairsILj256ELj64ELj1EiN10test_utils4lessEEvPKT2_PS2_T3_
	.p2align	8
	.type	_Z10sort_pairsILj256ELj64ELj1EiN10test_utils4lessEEvPKT2_PS2_T3_,@function
_Z10sort_pairsILj256ELj64ELj1EiN10test_utils4lessEEvPKT2_PS2_T3_: ; @_Z10sort_pairsILj256ELj64ELj1EiN10test_utils4lessEEvPKT2_PS2_T3_
; %bb.0:
	s_endpgm
	.section	.rodata,"a",@progbits
	.p2align	6, 0x0
	.amdhsa_kernel _Z10sort_pairsILj256ELj64ELj1EiN10test_utils4lessEEvPKT2_PS2_T3_
		.amdhsa_group_segment_fixed_size 0
		.amdhsa_private_segment_fixed_size 0
		.amdhsa_kernarg_size 20
		.amdhsa_user_sgpr_count 15
		.amdhsa_user_sgpr_dispatch_ptr 0
		.amdhsa_user_sgpr_queue_ptr 0
		.amdhsa_user_sgpr_kernarg_segment_ptr 1
		.amdhsa_user_sgpr_dispatch_id 0
		.amdhsa_user_sgpr_private_segment_size 0
		.amdhsa_wavefront_size32 1
		.amdhsa_uses_dynamic_stack 0
		.amdhsa_enable_private_segment 0
		.amdhsa_system_sgpr_workgroup_id_x 1
		.amdhsa_system_sgpr_workgroup_id_y 0
		.amdhsa_system_sgpr_workgroup_id_z 0
		.amdhsa_system_sgpr_workgroup_info 0
		.amdhsa_system_vgpr_workitem_id 0
		.amdhsa_next_free_vgpr 1
		.amdhsa_next_free_sgpr 1
		.amdhsa_reserve_vcc 0
		.amdhsa_float_round_mode_32 0
		.amdhsa_float_round_mode_16_64 0
		.amdhsa_float_denorm_mode_32 3
		.amdhsa_float_denorm_mode_16_64 3
		.amdhsa_dx10_clamp 1
		.amdhsa_ieee_mode 1
		.amdhsa_fp16_overflow 0
		.amdhsa_workgroup_processor_mode 1
		.amdhsa_memory_ordered 1
		.amdhsa_forward_progress 0
		.amdhsa_shared_vgpr_count 0
		.amdhsa_exception_fp_ieee_invalid_op 0
		.amdhsa_exception_fp_denorm_src 0
		.amdhsa_exception_fp_ieee_div_zero 0
		.amdhsa_exception_fp_ieee_overflow 0
		.amdhsa_exception_fp_ieee_underflow 0
		.amdhsa_exception_fp_ieee_inexact 0
		.amdhsa_exception_int_div_zero 0
	.end_amdhsa_kernel
	.section	.text._Z10sort_pairsILj256ELj64ELj1EiN10test_utils4lessEEvPKT2_PS2_T3_,"axG",@progbits,_Z10sort_pairsILj256ELj64ELj1EiN10test_utils4lessEEvPKT2_PS2_T3_,comdat
.Lfunc_end37:
	.size	_Z10sort_pairsILj256ELj64ELj1EiN10test_utils4lessEEvPKT2_PS2_T3_, .Lfunc_end37-_Z10sort_pairsILj256ELj64ELj1EiN10test_utils4lessEEvPKT2_PS2_T3_
                                        ; -- End function
	.section	.AMDGPU.csdata,"",@progbits
; Kernel info:
; codeLenInByte = 4
; NumSgprs: 0
; NumVgprs: 0
; ScratchSize: 0
; MemoryBound: 0
; FloatMode: 240
; IeeeMode: 1
; LDSByteSize: 0 bytes/workgroup (compile time only)
; SGPRBlocks: 0
; VGPRBlocks: 0
; NumSGPRsForWavesPerEU: 1
; NumVGPRsForWavesPerEU: 1
; Occupancy: 16
; WaveLimiterHint : 0
; COMPUTE_PGM_RSRC2:SCRATCH_EN: 0
; COMPUTE_PGM_RSRC2:USER_SGPR: 15
; COMPUTE_PGM_RSRC2:TRAP_HANDLER: 0
; COMPUTE_PGM_RSRC2:TGID_X_EN: 1
; COMPUTE_PGM_RSRC2:TGID_Y_EN: 0
; COMPUTE_PGM_RSRC2:TGID_Z_EN: 0
; COMPUTE_PGM_RSRC2:TIDIG_COMP_CNT: 0
	.section	.text._Z19sort_keys_segmentedILj256ELj64ELj1EiN10test_utils4lessEEvPKT2_PS2_PKjT3_,"axG",@progbits,_Z19sort_keys_segmentedILj256ELj64ELj1EiN10test_utils4lessEEvPKT2_PS2_PKjT3_,comdat
	.protected	_Z19sort_keys_segmentedILj256ELj64ELj1EiN10test_utils4lessEEvPKT2_PS2_PKjT3_ ; -- Begin function _Z19sort_keys_segmentedILj256ELj64ELj1EiN10test_utils4lessEEvPKT2_PS2_PKjT3_
	.globl	_Z19sort_keys_segmentedILj256ELj64ELj1EiN10test_utils4lessEEvPKT2_PS2_PKjT3_
	.p2align	8
	.type	_Z19sort_keys_segmentedILj256ELj64ELj1EiN10test_utils4lessEEvPKT2_PS2_PKjT3_,@function
_Z19sort_keys_segmentedILj256ELj64ELj1EiN10test_utils4lessEEvPKT2_PS2_PKjT3_: ; @_Z19sort_keys_segmentedILj256ELj64ELj1EiN10test_utils4lessEEvPKT2_PS2_PKjT3_
; %bb.0:
	s_endpgm
	.section	.rodata,"a",@progbits
	.p2align	6, 0x0
	.amdhsa_kernel _Z19sort_keys_segmentedILj256ELj64ELj1EiN10test_utils4lessEEvPKT2_PS2_PKjT3_
		.amdhsa_group_segment_fixed_size 0
		.amdhsa_private_segment_fixed_size 0
		.amdhsa_kernarg_size 28
		.amdhsa_user_sgpr_count 15
		.amdhsa_user_sgpr_dispatch_ptr 0
		.amdhsa_user_sgpr_queue_ptr 0
		.amdhsa_user_sgpr_kernarg_segment_ptr 1
		.amdhsa_user_sgpr_dispatch_id 0
		.amdhsa_user_sgpr_private_segment_size 0
		.amdhsa_wavefront_size32 1
		.amdhsa_uses_dynamic_stack 0
		.amdhsa_enable_private_segment 0
		.amdhsa_system_sgpr_workgroup_id_x 1
		.amdhsa_system_sgpr_workgroup_id_y 0
		.amdhsa_system_sgpr_workgroup_id_z 0
		.amdhsa_system_sgpr_workgroup_info 0
		.amdhsa_system_vgpr_workitem_id 0
		.amdhsa_next_free_vgpr 1
		.amdhsa_next_free_sgpr 1
		.amdhsa_reserve_vcc 0
		.amdhsa_float_round_mode_32 0
		.amdhsa_float_round_mode_16_64 0
		.amdhsa_float_denorm_mode_32 3
		.amdhsa_float_denorm_mode_16_64 3
		.amdhsa_dx10_clamp 1
		.amdhsa_ieee_mode 1
		.amdhsa_fp16_overflow 0
		.amdhsa_workgroup_processor_mode 1
		.amdhsa_memory_ordered 1
		.amdhsa_forward_progress 0
		.amdhsa_shared_vgpr_count 0
		.amdhsa_exception_fp_ieee_invalid_op 0
		.amdhsa_exception_fp_denorm_src 0
		.amdhsa_exception_fp_ieee_div_zero 0
		.amdhsa_exception_fp_ieee_overflow 0
		.amdhsa_exception_fp_ieee_underflow 0
		.amdhsa_exception_fp_ieee_inexact 0
		.amdhsa_exception_int_div_zero 0
	.end_amdhsa_kernel
	.section	.text._Z19sort_keys_segmentedILj256ELj64ELj1EiN10test_utils4lessEEvPKT2_PS2_PKjT3_,"axG",@progbits,_Z19sort_keys_segmentedILj256ELj64ELj1EiN10test_utils4lessEEvPKT2_PS2_PKjT3_,comdat
.Lfunc_end38:
	.size	_Z19sort_keys_segmentedILj256ELj64ELj1EiN10test_utils4lessEEvPKT2_PS2_PKjT3_, .Lfunc_end38-_Z19sort_keys_segmentedILj256ELj64ELj1EiN10test_utils4lessEEvPKT2_PS2_PKjT3_
                                        ; -- End function
	.section	.AMDGPU.csdata,"",@progbits
; Kernel info:
; codeLenInByte = 4
; NumSgprs: 0
; NumVgprs: 0
; ScratchSize: 0
; MemoryBound: 0
; FloatMode: 240
; IeeeMode: 1
; LDSByteSize: 0 bytes/workgroup (compile time only)
; SGPRBlocks: 0
; VGPRBlocks: 0
; NumSGPRsForWavesPerEU: 1
; NumVGPRsForWavesPerEU: 1
; Occupancy: 16
; WaveLimiterHint : 0
; COMPUTE_PGM_RSRC2:SCRATCH_EN: 0
; COMPUTE_PGM_RSRC2:USER_SGPR: 15
; COMPUTE_PGM_RSRC2:TRAP_HANDLER: 0
; COMPUTE_PGM_RSRC2:TGID_X_EN: 1
; COMPUTE_PGM_RSRC2:TGID_Y_EN: 0
; COMPUTE_PGM_RSRC2:TGID_Z_EN: 0
; COMPUTE_PGM_RSRC2:TIDIG_COMP_CNT: 0
	.section	.text._Z20sort_pairs_segmentedILj256ELj64ELj1EiN10test_utils4lessEEvPKT2_PS2_PKjT3_,"axG",@progbits,_Z20sort_pairs_segmentedILj256ELj64ELj1EiN10test_utils4lessEEvPKT2_PS2_PKjT3_,comdat
	.protected	_Z20sort_pairs_segmentedILj256ELj64ELj1EiN10test_utils4lessEEvPKT2_PS2_PKjT3_ ; -- Begin function _Z20sort_pairs_segmentedILj256ELj64ELj1EiN10test_utils4lessEEvPKT2_PS2_PKjT3_
	.globl	_Z20sort_pairs_segmentedILj256ELj64ELj1EiN10test_utils4lessEEvPKT2_PS2_PKjT3_
	.p2align	8
	.type	_Z20sort_pairs_segmentedILj256ELj64ELj1EiN10test_utils4lessEEvPKT2_PS2_PKjT3_,@function
_Z20sort_pairs_segmentedILj256ELj64ELj1EiN10test_utils4lessEEvPKT2_PS2_PKjT3_: ; @_Z20sort_pairs_segmentedILj256ELj64ELj1EiN10test_utils4lessEEvPKT2_PS2_PKjT3_
; %bb.0:
	s_endpgm
	.section	.rodata,"a",@progbits
	.p2align	6, 0x0
	.amdhsa_kernel _Z20sort_pairs_segmentedILj256ELj64ELj1EiN10test_utils4lessEEvPKT2_PS2_PKjT3_
		.amdhsa_group_segment_fixed_size 0
		.amdhsa_private_segment_fixed_size 0
		.amdhsa_kernarg_size 28
		.amdhsa_user_sgpr_count 15
		.amdhsa_user_sgpr_dispatch_ptr 0
		.amdhsa_user_sgpr_queue_ptr 0
		.amdhsa_user_sgpr_kernarg_segment_ptr 1
		.amdhsa_user_sgpr_dispatch_id 0
		.amdhsa_user_sgpr_private_segment_size 0
		.amdhsa_wavefront_size32 1
		.amdhsa_uses_dynamic_stack 0
		.amdhsa_enable_private_segment 0
		.amdhsa_system_sgpr_workgroup_id_x 1
		.amdhsa_system_sgpr_workgroup_id_y 0
		.amdhsa_system_sgpr_workgroup_id_z 0
		.amdhsa_system_sgpr_workgroup_info 0
		.amdhsa_system_vgpr_workitem_id 0
		.amdhsa_next_free_vgpr 1
		.amdhsa_next_free_sgpr 1
		.amdhsa_reserve_vcc 0
		.amdhsa_float_round_mode_32 0
		.amdhsa_float_round_mode_16_64 0
		.amdhsa_float_denorm_mode_32 3
		.amdhsa_float_denorm_mode_16_64 3
		.amdhsa_dx10_clamp 1
		.amdhsa_ieee_mode 1
		.amdhsa_fp16_overflow 0
		.amdhsa_workgroup_processor_mode 1
		.amdhsa_memory_ordered 1
		.amdhsa_forward_progress 0
		.amdhsa_shared_vgpr_count 0
		.amdhsa_exception_fp_ieee_invalid_op 0
		.amdhsa_exception_fp_denorm_src 0
		.amdhsa_exception_fp_ieee_div_zero 0
		.amdhsa_exception_fp_ieee_overflow 0
		.amdhsa_exception_fp_ieee_underflow 0
		.amdhsa_exception_fp_ieee_inexact 0
		.amdhsa_exception_int_div_zero 0
	.end_amdhsa_kernel
	.section	.text._Z20sort_pairs_segmentedILj256ELj64ELj1EiN10test_utils4lessEEvPKT2_PS2_PKjT3_,"axG",@progbits,_Z20sort_pairs_segmentedILj256ELj64ELj1EiN10test_utils4lessEEvPKT2_PS2_PKjT3_,comdat
.Lfunc_end39:
	.size	_Z20sort_pairs_segmentedILj256ELj64ELj1EiN10test_utils4lessEEvPKT2_PS2_PKjT3_, .Lfunc_end39-_Z20sort_pairs_segmentedILj256ELj64ELj1EiN10test_utils4lessEEvPKT2_PS2_PKjT3_
                                        ; -- End function
	.section	.AMDGPU.csdata,"",@progbits
; Kernel info:
; codeLenInByte = 4
; NumSgprs: 0
; NumVgprs: 0
; ScratchSize: 0
; MemoryBound: 0
; FloatMode: 240
; IeeeMode: 1
; LDSByteSize: 0 bytes/workgroup (compile time only)
; SGPRBlocks: 0
; VGPRBlocks: 0
; NumSGPRsForWavesPerEU: 1
; NumVGPRsForWavesPerEU: 1
; Occupancy: 16
; WaveLimiterHint : 0
; COMPUTE_PGM_RSRC2:SCRATCH_EN: 0
; COMPUTE_PGM_RSRC2:USER_SGPR: 15
; COMPUTE_PGM_RSRC2:TRAP_HANDLER: 0
; COMPUTE_PGM_RSRC2:TGID_X_EN: 1
; COMPUTE_PGM_RSRC2:TGID_Y_EN: 0
; COMPUTE_PGM_RSRC2:TGID_Z_EN: 0
; COMPUTE_PGM_RSRC2:TIDIG_COMP_CNT: 0
	.section	.text._Z9sort_keysILj256ELj64ELj4EiN10test_utils4lessEEvPKT2_PS2_T3_,"axG",@progbits,_Z9sort_keysILj256ELj64ELj4EiN10test_utils4lessEEvPKT2_PS2_T3_,comdat
	.protected	_Z9sort_keysILj256ELj64ELj4EiN10test_utils4lessEEvPKT2_PS2_T3_ ; -- Begin function _Z9sort_keysILj256ELj64ELj4EiN10test_utils4lessEEvPKT2_PS2_T3_
	.globl	_Z9sort_keysILj256ELj64ELj4EiN10test_utils4lessEEvPKT2_PS2_T3_
	.p2align	8
	.type	_Z9sort_keysILj256ELj64ELj4EiN10test_utils4lessEEvPKT2_PS2_T3_,@function
_Z9sort_keysILj256ELj64ELj4EiN10test_utils4lessEEvPKT2_PS2_T3_: ; @_Z9sort_keysILj256ELj64ELj4EiN10test_utils4lessEEvPKT2_PS2_T3_
; %bb.0:
	s_endpgm
	.section	.rodata,"a",@progbits
	.p2align	6, 0x0
	.amdhsa_kernel _Z9sort_keysILj256ELj64ELj4EiN10test_utils4lessEEvPKT2_PS2_T3_
		.amdhsa_group_segment_fixed_size 0
		.amdhsa_private_segment_fixed_size 0
		.amdhsa_kernarg_size 20
		.amdhsa_user_sgpr_count 15
		.amdhsa_user_sgpr_dispatch_ptr 0
		.amdhsa_user_sgpr_queue_ptr 0
		.amdhsa_user_sgpr_kernarg_segment_ptr 1
		.amdhsa_user_sgpr_dispatch_id 0
		.amdhsa_user_sgpr_private_segment_size 0
		.amdhsa_wavefront_size32 1
		.amdhsa_uses_dynamic_stack 0
		.amdhsa_enable_private_segment 0
		.amdhsa_system_sgpr_workgroup_id_x 1
		.amdhsa_system_sgpr_workgroup_id_y 0
		.amdhsa_system_sgpr_workgroup_id_z 0
		.amdhsa_system_sgpr_workgroup_info 0
		.amdhsa_system_vgpr_workitem_id 0
		.amdhsa_next_free_vgpr 1
		.amdhsa_next_free_sgpr 1
		.amdhsa_reserve_vcc 0
		.amdhsa_float_round_mode_32 0
		.amdhsa_float_round_mode_16_64 0
		.amdhsa_float_denorm_mode_32 3
		.amdhsa_float_denorm_mode_16_64 3
		.amdhsa_dx10_clamp 1
		.amdhsa_ieee_mode 1
		.amdhsa_fp16_overflow 0
		.amdhsa_workgroup_processor_mode 1
		.amdhsa_memory_ordered 1
		.amdhsa_forward_progress 0
		.amdhsa_shared_vgpr_count 0
		.amdhsa_exception_fp_ieee_invalid_op 0
		.amdhsa_exception_fp_denorm_src 0
		.amdhsa_exception_fp_ieee_div_zero 0
		.amdhsa_exception_fp_ieee_overflow 0
		.amdhsa_exception_fp_ieee_underflow 0
		.amdhsa_exception_fp_ieee_inexact 0
		.amdhsa_exception_int_div_zero 0
	.end_amdhsa_kernel
	.section	.text._Z9sort_keysILj256ELj64ELj4EiN10test_utils4lessEEvPKT2_PS2_T3_,"axG",@progbits,_Z9sort_keysILj256ELj64ELj4EiN10test_utils4lessEEvPKT2_PS2_T3_,comdat
.Lfunc_end40:
	.size	_Z9sort_keysILj256ELj64ELj4EiN10test_utils4lessEEvPKT2_PS2_T3_, .Lfunc_end40-_Z9sort_keysILj256ELj64ELj4EiN10test_utils4lessEEvPKT2_PS2_T3_
                                        ; -- End function
	.section	.AMDGPU.csdata,"",@progbits
; Kernel info:
; codeLenInByte = 4
; NumSgprs: 0
; NumVgprs: 0
; ScratchSize: 0
; MemoryBound: 0
; FloatMode: 240
; IeeeMode: 1
; LDSByteSize: 0 bytes/workgroup (compile time only)
; SGPRBlocks: 0
; VGPRBlocks: 0
; NumSGPRsForWavesPerEU: 1
; NumVGPRsForWavesPerEU: 1
; Occupancy: 16
; WaveLimiterHint : 0
; COMPUTE_PGM_RSRC2:SCRATCH_EN: 0
; COMPUTE_PGM_RSRC2:USER_SGPR: 15
; COMPUTE_PGM_RSRC2:TRAP_HANDLER: 0
; COMPUTE_PGM_RSRC2:TGID_X_EN: 1
; COMPUTE_PGM_RSRC2:TGID_Y_EN: 0
; COMPUTE_PGM_RSRC2:TGID_Z_EN: 0
; COMPUTE_PGM_RSRC2:TIDIG_COMP_CNT: 0
	.section	.text._Z10sort_pairsILj256ELj64ELj4EiN10test_utils4lessEEvPKT2_PS2_T3_,"axG",@progbits,_Z10sort_pairsILj256ELj64ELj4EiN10test_utils4lessEEvPKT2_PS2_T3_,comdat
	.protected	_Z10sort_pairsILj256ELj64ELj4EiN10test_utils4lessEEvPKT2_PS2_T3_ ; -- Begin function _Z10sort_pairsILj256ELj64ELj4EiN10test_utils4lessEEvPKT2_PS2_T3_
	.globl	_Z10sort_pairsILj256ELj64ELj4EiN10test_utils4lessEEvPKT2_PS2_T3_
	.p2align	8
	.type	_Z10sort_pairsILj256ELj64ELj4EiN10test_utils4lessEEvPKT2_PS2_T3_,@function
_Z10sort_pairsILj256ELj64ELj4EiN10test_utils4lessEEvPKT2_PS2_T3_: ; @_Z10sort_pairsILj256ELj64ELj4EiN10test_utils4lessEEvPKT2_PS2_T3_
; %bb.0:
	s_endpgm
	.section	.rodata,"a",@progbits
	.p2align	6, 0x0
	.amdhsa_kernel _Z10sort_pairsILj256ELj64ELj4EiN10test_utils4lessEEvPKT2_PS2_T3_
		.amdhsa_group_segment_fixed_size 0
		.amdhsa_private_segment_fixed_size 0
		.amdhsa_kernarg_size 20
		.amdhsa_user_sgpr_count 15
		.amdhsa_user_sgpr_dispatch_ptr 0
		.amdhsa_user_sgpr_queue_ptr 0
		.amdhsa_user_sgpr_kernarg_segment_ptr 1
		.amdhsa_user_sgpr_dispatch_id 0
		.amdhsa_user_sgpr_private_segment_size 0
		.amdhsa_wavefront_size32 1
		.amdhsa_uses_dynamic_stack 0
		.amdhsa_enable_private_segment 0
		.amdhsa_system_sgpr_workgroup_id_x 1
		.amdhsa_system_sgpr_workgroup_id_y 0
		.amdhsa_system_sgpr_workgroup_id_z 0
		.amdhsa_system_sgpr_workgroup_info 0
		.amdhsa_system_vgpr_workitem_id 0
		.amdhsa_next_free_vgpr 1
		.amdhsa_next_free_sgpr 1
		.amdhsa_reserve_vcc 0
		.amdhsa_float_round_mode_32 0
		.amdhsa_float_round_mode_16_64 0
		.amdhsa_float_denorm_mode_32 3
		.amdhsa_float_denorm_mode_16_64 3
		.amdhsa_dx10_clamp 1
		.amdhsa_ieee_mode 1
		.amdhsa_fp16_overflow 0
		.amdhsa_workgroup_processor_mode 1
		.amdhsa_memory_ordered 1
		.amdhsa_forward_progress 0
		.amdhsa_shared_vgpr_count 0
		.amdhsa_exception_fp_ieee_invalid_op 0
		.amdhsa_exception_fp_denorm_src 0
		.amdhsa_exception_fp_ieee_div_zero 0
		.amdhsa_exception_fp_ieee_overflow 0
		.amdhsa_exception_fp_ieee_underflow 0
		.amdhsa_exception_fp_ieee_inexact 0
		.amdhsa_exception_int_div_zero 0
	.end_amdhsa_kernel
	.section	.text._Z10sort_pairsILj256ELj64ELj4EiN10test_utils4lessEEvPKT2_PS2_T3_,"axG",@progbits,_Z10sort_pairsILj256ELj64ELj4EiN10test_utils4lessEEvPKT2_PS2_T3_,comdat
.Lfunc_end41:
	.size	_Z10sort_pairsILj256ELj64ELj4EiN10test_utils4lessEEvPKT2_PS2_T3_, .Lfunc_end41-_Z10sort_pairsILj256ELj64ELj4EiN10test_utils4lessEEvPKT2_PS2_T3_
                                        ; -- End function
	.section	.AMDGPU.csdata,"",@progbits
; Kernel info:
; codeLenInByte = 4
; NumSgprs: 0
; NumVgprs: 0
; ScratchSize: 0
; MemoryBound: 0
; FloatMode: 240
; IeeeMode: 1
; LDSByteSize: 0 bytes/workgroup (compile time only)
; SGPRBlocks: 0
; VGPRBlocks: 0
; NumSGPRsForWavesPerEU: 1
; NumVGPRsForWavesPerEU: 1
; Occupancy: 16
; WaveLimiterHint : 0
; COMPUTE_PGM_RSRC2:SCRATCH_EN: 0
; COMPUTE_PGM_RSRC2:USER_SGPR: 15
; COMPUTE_PGM_RSRC2:TRAP_HANDLER: 0
; COMPUTE_PGM_RSRC2:TGID_X_EN: 1
; COMPUTE_PGM_RSRC2:TGID_Y_EN: 0
; COMPUTE_PGM_RSRC2:TGID_Z_EN: 0
; COMPUTE_PGM_RSRC2:TIDIG_COMP_CNT: 0
	.section	.text._Z19sort_keys_segmentedILj256ELj64ELj4EiN10test_utils4lessEEvPKT2_PS2_PKjT3_,"axG",@progbits,_Z19sort_keys_segmentedILj256ELj64ELj4EiN10test_utils4lessEEvPKT2_PS2_PKjT3_,comdat
	.protected	_Z19sort_keys_segmentedILj256ELj64ELj4EiN10test_utils4lessEEvPKT2_PS2_PKjT3_ ; -- Begin function _Z19sort_keys_segmentedILj256ELj64ELj4EiN10test_utils4lessEEvPKT2_PS2_PKjT3_
	.globl	_Z19sort_keys_segmentedILj256ELj64ELj4EiN10test_utils4lessEEvPKT2_PS2_PKjT3_
	.p2align	8
	.type	_Z19sort_keys_segmentedILj256ELj64ELj4EiN10test_utils4lessEEvPKT2_PS2_PKjT3_,@function
_Z19sort_keys_segmentedILj256ELj64ELj4EiN10test_utils4lessEEvPKT2_PS2_PKjT3_: ; @_Z19sort_keys_segmentedILj256ELj64ELj4EiN10test_utils4lessEEvPKT2_PS2_PKjT3_
; %bb.0:
	s_endpgm
	.section	.rodata,"a",@progbits
	.p2align	6, 0x0
	.amdhsa_kernel _Z19sort_keys_segmentedILj256ELj64ELj4EiN10test_utils4lessEEvPKT2_PS2_PKjT3_
		.amdhsa_group_segment_fixed_size 0
		.amdhsa_private_segment_fixed_size 0
		.amdhsa_kernarg_size 28
		.amdhsa_user_sgpr_count 15
		.amdhsa_user_sgpr_dispatch_ptr 0
		.amdhsa_user_sgpr_queue_ptr 0
		.amdhsa_user_sgpr_kernarg_segment_ptr 1
		.amdhsa_user_sgpr_dispatch_id 0
		.amdhsa_user_sgpr_private_segment_size 0
		.amdhsa_wavefront_size32 1
		.amdhsa_uses_dynamic_stack 0
		.amdhsa_enable_private_segment 0
		.amdhsa_system_sgpr_workgroup_id_x 1
		.amdhsa_system_sgpr_workgroup_id_y 0
		.amdhsa_system_sgpr_workgroup_id_z 0
		.amdhsa_system_sgpr_workgroup_info 0
		.amdhsa_system_vgpr_workitem_id 0
		.amdhsa_next_free_vgpr 1
		.amdhsa_next_free_sgpr 1
		.amdhsa_reserve_vcc 0
		.amdhsa_float_round_mode_32 0
		.amdhsa_float_round_mode_16_64 0
		.amdhsa_float_denorm_mode_32 3
		.amdhsa_float_denorm_mode_16_64 3
		.amdhsa_dx10_clamp 1
		.amdhsa_ieee_mode 1
		.amdhsa_fp16_overflow 0
		.amdhsa_workgroup_processor_mode 1
		.amdhsa_memory_ordered 1
		.amdhsa_forward_progress 0
		.amdhsa_shared_vgpr_count 0
		.amdhsa_exception_fp_ieee_invalid_op 0
		.amdhsa_exception_fp_denorm_src 0
		.amdhsa_exception_fp_ieee_div_zero 0
		.amdhsa_exception_fp_ieee_overflow 0
		.amdhsa_exception_fp_ieee_underflow 0
		.amdhsa_exception_fp_ieee_inexact 0
		.amdhsa_exception_int_div_zero 0
	.end_amdhsa_kernel
	.section	.text._Z19sort_keys_segmentedILj256ELj64ELj4EiN10test_utils4lessEEvPKT2_PS2_PKjT3_,"axG",@progbits,_Z19sort_keys_segmentedILj256ELj64ELj4EiN10test_utils4lessEEvPKT2_PS2_PKjT3_,comdat
.Lfunc_end42:
	.size	_Z19sort_keys_segmentedILj256ELj64ELj4EiN10test_utils4lessEEvPKT2_PS2_PKjT3_, .Lfunc_end42-_Z19sort_keys_segmentedILj256ELj64ELj4EiN10test_utils4lessEEvPKT2_PS2_PKjT3_
                                        ; -- End function
	.section	.AMDGPU.csdata,"",@progbits
; Kernel info:
; codeLenInByte = 4
; NumSgprs: 0
; NumVgprs: 0
; ScratchSize: 0
; MemoryBound: 0
; FloatMode: 240
; IeeeMode: 1
; LDSByteSize: 0 bytes/workgroup (compile time only)
; SGPRBlocks: 0
; VGPRBlocks: 0
; NumSGPRsForWavesPerEU: 1
; NumVGPRsForWavesPerEU: 1
; Occupancy: 16
; WaveLimiterHint : 0
; COMPUTE_PGM_RSRC2:SCRATCH_EN: 0
; COMPUTE_PGM_RSRC2:USER_SGPR: 15
; COMPUTE_PGM_RSRC2:TRAP_HANDLER: 0
; COMPUTE_PGM_RSRC2:TGID_X_EN: 1
; COMPUTE_PGM_RSRC2:TGID_Y_EN: 0
; COMPUTE_PGM_RSRC2:TGID_Z_EN: 0
; COMPUTE_PGM_RSRC2:TIDIG_COMP_CNT: 0
	.section	.text._Z20sort_pairs_segmentedILj256ELj64ELj4EiN10test_utils4lessEEvPKT2_PS2_PKjT3_,"axG",@progbits,_Z20sort_pairs_segmentedILj256ELj64ELj4EiN10test_utils4lessEEvPKT2_PS2_PKjT3_,comdat
	.protected	_Z20sort_pairs_segmentedILj256ELj64ELj4EiN10test_utils4lessEEvPKT2_PS2_PKjT3_ ; -- Begin function _Z20sort_pairs_segmentedILj256ELj64ELj4EiN10test_utils4lessEEvPKT2_PS2_PKjT3_
	.globl	_Z20sort_pairs_segmentedILj256ELj64ELj4EiN10test_utils4lessEEvPKT2_PS2_PKjT3_
	.p2align	8
	.type	_Z20sort_pairs_segmentedILj256ELj64ELj4EiN10test_utils4lessEEvPKT2_PS2_PKjT3_,@function
_Z20sort_pairs_segmentedILj256ELj64ELj4EiN10test_utils4lessEEvPKT2_PS2_PKjT3_: ; @_Z20sort_pairs_segmentedILj256ELj64ELj4EiN10test_utils4lessEEvPKT2_PS2_PKjT3_
; %bb.0:
	s_endpgm
	.section	.rodata,"a",@progbits
	.p2align	6, 0x0
	.amdhsa_kernel _Z20sort_pairs_segmentedILj256ELj64ELj4EiN10test_utils4lessEEvPKT2_PS2_PKjT3_
		.amdhsa_group_segment_fixed_size 0
		.amdhsa_private_segment_fixed_size 0
		.amdhsa_kernarg_size 28
		.amdhsa_user_sgpr_count 15
		.amdhsa_user_sgpr_dispatch_ptr 0
		.amdhsa_user_sgpr_queue_ptr 0
		.amdhsa_user_sgpr_kernarg_segment_ptr 1
		.amdhsa_user_sgpr_dispatch_id 0
		.amdhsa_user_sgpr_private_segment_size 0
		.amdhsa_wavefront_size32 1
		.amdhsa_uses_dynamic_stack 0
		.amdhsa_enable_private_segment 0
		.amdhsa_system_sgpr_workgroup_id_x 1
		.amdhsa_system_sgpr_workgroup_id_y 0
		.amdhsa_system_sgpr_workgroup_id_z 0
		.amdhsa_system_sgpr_workgroup_info 0
		.amdhsa_system_vgpr_workitem_id 0
		.amdhsa_next_free_vgpr 1
		.amdhsa_next_free_sgpr 1
		.amdhsa_reserve_vcc 0
		.amdhsa_float_round_mode_32 0
		.amdhsa_float_round_mode_16_64 0
		.amdhsa_float_denorm_mode_32 3
		.amdhsa_float_denorm_mode_16_64 3
		.amdhsa_dx10_clamp 1
		.amdhsa_ieee_mode 1
		.amdhsa_fp16_overflow 0
		.amdhsa_workgroup_processor_mode 1
		.amdhsa_memory_ordered 1
		.amdhsa_forward_progress 0
		.amdhsa_shared_vgpr_count 0
		.amdhsa_exception_fp_ieee_invalid_op 0
		.amdhsa_exception_fp_denorm_src 0
		.amdhsa_exception_fp_ieee_div_zero 0
		.amdhsa_exception_fp_ieee_overflow 0
		.amdhsa_exception_fp_ieee_underflow 0
		.amdhsa_exception_fp_ieee_inexact 0
		.amdhsa_exception_int_div_zero 0
	.end_amdhsa_kernel
	.section	.text._Z20sort_pairs_segmentedILj256ELj64ELj4EiN10test_utils4lessEEvPKT2_PS2_PKjT3_,"axG",@progbits,_Z20sort_pairs_segmentedILj256ELj64ELj4EiN10test_utils4lessEEvPKT2_PS2_PKjT3_,comdat
.Lfunc_end43:
	.size	_Z20sort_pairs_segmentedILj256ELj64ELj4EiN10test_utils4lessEEvPKT2_PS2_PKjT3_, .Lfunc_end43-_Z20sort_pairs_segmentedILj256ELj64ELj4EiN10test_utils4lessEEvPKT2_PS2_PKjT3_
                                        ; -- End function
	.section	.AMDGPU.csdata,"",@progbits
; Kernel info:
; codeLenInByte = 4
; NumSgprs: 0
; NumVgprs: 0
; ScratchSize: 0
; MemoryBound: 0
; FloatMode: 240
; IeeeMode: 1
; LDSByteSize: 0 bytes/workgroup (compile time only)
; SGPRBlocks: 0
; VGPRBlocks: 0
; NumSGPRsForWavesPerEU: 1
; NumVGPRsForWavesPerEU: 1
; Occupancy: 16
; WaveLimiterHint : 0
; COMPUTE_PGM_RSRC2:SCRATCH_EN: 0
; COMPUTE_PGM_RSRC2:USER_SGPR: 15
; COMPUTE_PGM_RSRC2:TRAP_HANDLER: 0
; COMPUTE_PGM_RSRC2:TGID_X_EN: 1
; COMPUTE_PGM_RSRC2:TGID_Y_EN: 0
; COMPUTE_PGM_RSRC2:TGID_Z_EN: 0
; COMPUTE_PGM_RSRC2:TIDIG_COMP_CNT: 0
	.section	.text._Z9sort_keysILj256ELj64ELj8EiN10test_utils4lessEEvPKT2_PS2_T3_,"axG",@progbits,_Z9sort_keysILj256ELj64ELj8EiN10test_utils4lessEEvPKT2_PS2_T3_,comdat
	.protected	_Z9sort_keysILj256ELj64ELj8EiN10test_utils4lessEEvPKT2_PS2_T3_ ; -- Begin function _Z9sort_keysILj256ELj64ELj8EiN10test_utils4lessEEvPKT2_PS2_T3_
	.globl	_Z9sort_keysILj256ELj64ELj8EiN10test_utils4lessEEvPKT2_PS2_T3_
	.p2align	8
	.type	_Z9sort_keysILj256ELj64ELj8EiN10test_utils4lessEEvPKT2_PS2_T3_,@function
_Z9sort_keysILj256ELj64ELj8EiN10test_utils4lessEEvPKT2_PS2_T3_: ; @_Z9sort_keysILj256ELj64ELj8EiN10test_utils4lessEEvPKT2_PS2_T3_
; %bb.0:
	s_endpgm
	.section	.rodata,"a",@progbits
	.p2align	6, 0x0
	.amdhsa_kernel _Z9sort_keysILj256ELj64ELj8EiN10test_utils4lessEEvPKT2_PS2_T3_
		.amdhsa_group_segment_fixed_size 0
		.amdhsa_private_segment_fixed_size 0
		.amdhsa_kernarg_size 20
		.amdhsa_user_sgpr_count 15
		.amdhsa_user_sgpr_dispatch_ptr 0
		.amdhsa_user_sgpr_queue_ptr 0
		.amdhsa_user_sgpr_kernarg_segment_ptr 1
		.amdhsa_user_sgpr_dispatch_id 0
		.amdhsa_user_sgpr_private_segment_size 0
		.amdhsa_wavefront_size32 1
		.amdhsa_uses_dynamic_stack 0
		.amdhsa_enable_private_segment 0
		.amdhsa_system_sgpr_workgroup_id_x 1
		.amdhsa_system_sgpr_workgroup_id_y 0
		.amdhsa_system_sgpr_workgroup_id_z 0
		.amdhsa_system_sgpr_workgroup_info 0
		.amdhsa_system_vgpr_workitem_id 0
		.amdhsa_next_free_vgpr 1
		.amdhsa_next_free_sgpr 1
		.amdhsa_reserve_vcc 0
		.amdhsa_float_round_mode_32 0
		.amdhsa_float_round_mode_16_64 0
		.amdhsa_float_denorm_mode_32 3
		.amdhsa_float_denorm_mode_16_64 3
		.amdhsa_dx10_clamp 1
		.amdhsa_ieee_mode 1
		.amdhsa_fp16_overflow 0
		.amdhsa_workgroup_processor_mode 1
		.amdhsa_memory_ordered 1
		.amdhsa_forward_progress 0
		.amdhsa_shared_vgpr_count 0
		.amdhsa_exception_fp_ieee_invalid_op 0
		.amdhsa_exception_fp_denorm_src 0
		.amdhsa_exception_fp_ieee_div_zero 0
		.amdhsa_exception_fp_ieee_overflow 0
		.amdhsa_exception_fp_ieee_underflow 0
		.amdhsa_exception_fp_ieee_inexact 0
		.amdhsa_exception_int_div_zero 0
	.end_amdhsa_kernel
	.section	.text._Z9sort_keysILj256ELj64ELj8EiN10test_utils4lessEEvPKT2_PS2_T3_,"axG",@progbits,_Z9sort_keysILj256ELj64ELj8EiN10test_utils4lessEEvPKT2_PS2_T3_,comdat
.Lfunc_end44:
	.size	_Z9sort_keysILj256ELj64ELj8EiN10test_utils4lessEEvPKT2_PS2_T3_, .Lfunc_end44-_Z9sort_keysILj256ELj64ELj8EiN10test_utils4lessEEvPKT2_PS2_T3_
                                        ; -- End function
	.section	.AMDGPU.csdata,"",@progbits
; Kernel info:
; codeLenInByte = 4
; NumSgprs: 0
; NumVgprs: 0
; ScratchSize: 0
; MemoryBound: 0
; FloatMode: 240
; IeeeMode: 1
; LDSByteSize: 0 bytes/workgroup (compile time only)
; SGPRBlocks: 0
; VGPRBlocks: 0
; NumSGPRsForWavesPerEU: 1
; NumVGPRsForWavesPerEU: 1
; Occupancy: 16
; WaveLimiterHint : 0
; COMPUTE_PGM_RSRC2:SCRATCH_EN: 0
; COMPUTE_PGM_RSRC2:USER_SGPR: 15
; COMPUTE_PGM_RSRC2:TRAP_HANDLER: 0
; COMPUTE_PGM_RSRC2:TGID_X_EN: 1
; COMPUTE_PGM_RSRC2:TGID_Y_EN: 0
; COMPUTE_PGM_RSRC2:TGID_Z_EN: 0
; COMPUTE_PGM_RSRC2:TIDIG_COMP_CNT: 0
	.section	.text._Z10sort_pairsILj256ELj64ELj8EiN10test_utils4lessEEvPKT2_PS2_T3_,"axG",@progbits,_Z10sort_pairsILj256ELj64ELj8EiN10test_utils4lessEEvPKT2_PS2_T3_,comdat
	.protected	_Z10sort_pairsILj256ELj64ELj8EiN10test_utils4lessEEvPKT2_PS2_T3_ ; -- Begin function _Z10sort_pairsILj256ELj64ELj8EiN10test_utils4lessEEvPKT2_PS2_T3_
	.globl	_Z10sort_pairsILj256ELj64ELj8EiN10test_utils4lessEEvPKT2_PS2_T3_
	.p2align	8
	.type	_Z10sort_pairsILj256ELj64ELj8EiN10test_utils4lessEEvPKT2_PS2_T3_,@function
_Z10sort_pairsILj256ELj64ELj8EiN10test_utils4lessEEvPKT2_PS2_T3_: ; @_Z10sort_pairsILj256ELj64ELj8EiN10test_utils4lessEEvPKT2_PS2_T3_
; %bb.0:
	s_endpgm
	.section	.rodata,"a",@progbits
	.p2align	6, 0x0
	.amdhsa_kernel _Z10sort_pairsILj256ELj64ELj8EiN10test_utils4lessEEvPKT2_PS2_T3_
		.amdhsa_group_segment_fixed_size 0
		.amdhsa_private_segment_fixed_size 0
		.amdhsa_kernarg_size 20
		.amdhsa_user_sgpr_count 15
		.amdhsa_user_sgpr_dispatch_ptr 0
		.amdhsa_user_sgpr_queue_ptr 0
		.amdhsa_user_sgpr_kernarg_segment_ptr 1
		.amdhsa_user_sgpr_dispatch_id 0
		.amdhsa_user_sgpr_private_segment_size 0
		.amdhsa_wavefront_size32 1
		.amdhsa_uses_dynamic_stack 0
		.amdhsa_enable_private_segment 0
		.amdhsa_system_sgpr_workgroup_id_x 1
		.amdhsa_system_sgpr_workgroup_id_y 0
		.amdhsa_system_sgpr_workgroup_id_z 0
		.amdhsa_system_sgpr_workgroup_info 0
		.amdhsa_system_vgpr_workitem_id 0
		.amdhsa_next_free_vgpr 1
		.amdhsa_next_free_sgpr 1
		.amdhsa_reserve_vcc 0
		.amdhsa_float_round_mode_32 0
		.amdhsa_float_round_mode_16_64 0
		.amdhsa_float_denorm_mode_32 3
		.amdhsa_float_denorm_mode_16_64 3
		.amdhsa_dx10_clamp 1
		.amdhsa_ieee_mode 1
		.amdhsa_fp16_overflow 0
		.amdhsa_workgroup_processor_mode 1
		.amdhsa_memory_ordered 1
		.amdhsa_forward_progress 0
		.amdhsa_shared_vgpr_count 0
		.amdhsa_exception_fp_ieee_invalid_op 0
		.amdhsa_exception_fp_denorm_src 0
		.amdhsa_exception_fp_ieee_div_zero 0
		.amdhsa_exception_fp_ieee_overflow 0
		.amdhsa_exception_fp_ieee_underflow 0
		.amdhsa_exception_fp_ieee_inexact 0
		.amdhsa_exception_int_div_zero 0
	.end_amdhsa_kernel
	.section	.text._Z10sort_pairsILj256ELj64ELj8EiN10test_utils4lessEEvPKT2_PS2_T3_,"axG",@progbits,_Z10sort_pairsILj256ELj64ELj8EiN10test_utils4lessEEvPKT2_PS2_T3_,comdat
.Lfunc_end45:
	.size	_Z10sort_pairsILj256ELj64ELj8EiN10test_utils4lessEEvPKT2_PS2_T3_, .Lfunc_end45-_Z10sort_pairsILj256ELj64ELj8EiN10test_utils4lessEEvPKT2_PS2_T3_
                                        ; -- End function
	.section	.AMDGPU.csdata,"",@progbits
; Kernel info:
; codeLenInByte = 4
; NumSgprs: 0
; NumVgprs: 0
; ScratchSize: 0
; MemoryBound: 0
; FloatMode: 240
; IeeeMode: 1
; LDSByteSize: 0 bytes/workgroup (compile time only)
; SGPRBlocks: 0
; VGPRBlocks: 0
; NumSGPRsForWavesPerEU: 1
; NumVGPRsForWavesPerEU: 1
; Occupancy: 16
; WaveLimiterHint : 0
; COMPUTE_PGM_RSRC2:SCRATCH_EN: 0
; COMPUTE_PGM_RSRC2:USER_SGPR: 15
; COMPUTE_PGM_RSRC2:TRAP_HANDLER: 0
; COMPUTE_PGM_RSRC2:TGID_X_EN: 1
; COMPUTE_PGM_RSRC2:TGID_Y_EN: 0
; COMPUTE_PGM_RSRC2:TGID_Z_EN: 0
; COMPUTE_PGM_RSRC2:TIDIG_COMP_CNT: 0
	.section	.text._Z19sort_keys_segmentedILj256ELj64ELj8EiN10test_utils4lessEEvPKT2_PS2_PKjT3_,"axG",@progbits,_Z19sort_keys_segmentedILj256ELj64ELj8EiN10test_utils4lessEEvPKT2_PS2_PKjT3_,comdat
	.protected	_Z19sort_keys_segmentedILj256ELj64ELj8EiN10test_utils4lessEEvPKT2_PS2_PKjT3_ ; -- Begin function _Z19sort_keys_segmentedILj256ELj64ELj8EiN10test_utils4lessEEvPKT2_PS2_PKjT3_
	.globl	_Z19sort_keys_segmentedILj256ELj64ELj8EiN10test_utils4lessEEvPKT2_PS2_PKjT3_
	.p2align	8
	.type	_Z19sort_keys_segmentedILj256ELj64ELj8EiN10test_utils4lessEEvPKT2_PS2_PKjT3_,@function
_Z19sort_keys_segmentedILj256ELj64ELj8EiN10test_utils4lessEEvPKT2_PS2_PKjT3_: ; @_Z19sort_keys_segmentedILj256ELj64ELj8EiN10test_utils4lessEEvPKT2_PS2_PKjT3_
; %bb.0:
	s_endpgm
	.section	.rodata,"a",@progbits
	.p2align	6, 0x0
	.amdhsa_kernel _Z19sort_keys_segmentedILj256ELj64ELj8EiN10test_utils4lessEEvPKT2_PS2_PKjT3_
		.amdhsa_group_segment_fixed_size 0
		.amdhsa_private_segment_fixed_size 0
		.amdhsa_kernarg_size 28
		.amdhsa_user_sgpr_count 15
		.amdhsa_user_sgpr_dispatch_ptr 0
		.amdhsa_user_sgpr_queue_ptr 0
		.amdhsa_user_sgpr_kernarg_segment_ptr 1
		.amdhsa_user_sgpr_dispatch_id 0
		.amdhsa_user_sgpr_private_segment_size 0
		.amdhsa_wavefront_size32 1
		.amdhsa_uses_dynamic_stack 0
		.amdhsa_enable_private_segment 0
		.amdhsa_system_sgpr_workgroup_id_x 1
		.amdhsa_system_sgpr_workgroup_id_y 0
		.amdhsa_system_sgpr_workgroup_id_z 0
		.amdhsa_system_sgpr_workgroup_info 0
		.amdhsa_system_vgpr_workitem_id 0
		.amdhsa_next_free_vgpr 1
		.amdhsa_next_free_sgpr 1
		.amdhsa_reserve_vcc 0
		.amdhsa_float_round_mode_32 0
		.amdhsa_float_round_mode_16_64 0
		.amdhsa_float_denorm_mode_32 3
		.amdhsa_float_denorm_mode_16_64 3
		.amdhsa_dx10_clamp 1
		.amdhsa_ieee_mode 1
		.amdhsa_fp16_overflow 0
		.amdhsa_workgroup_processor_mode 1
		.amdhsa_memory_ordered 1
		.amdhsa_forward_progress 0
		.amdhsa_shared_vgpr_count 0
		.amdhsa_exception_fp_ieee_invalid_op 0
		.amdhsa_exception_fp_denorm_src 0
		.amdhsa_exception_fp_ieee_div_zero 0
		.amdhsa_exception_fp_ieee_overflow 0
		.amdhsa_exception_fp_ieee_underflow 0
		.amdhsa_exception_fp_ieee_inexact 0
		.amdhsa_exception_int_div_zero 0
	.end_amdhsa_kernel
	.section	.text._Z19sort_keys_segmentedILj256ELj64ELj8EiN10test_utils4lessEEvPKT2_PS2_PKjT3_,"axG",@progbits,_Z19sort_keys_segmentedILj256ELj64ELj8EiN10test_utils4lessEEvPKT2_PS2_PKjT3_,comdat
.Lfunc_end46:
	.size	_Z19sort_keys_segmentedILj256ELj64ELj8EiN10test_utils4lessEEvPKT2_PS2_PKjT3_, .Lfunc_end46-_Z19sort_keys_segmentedILj256ELj64ELj8EiN10test_utils4lessEEvPKT2_PS2_PKjT3_
                                        ; -- End function
	.section	.AMDGPU.csdata,"",@progbits
; Kernel info:
; codeLenInByte = 4
; NumSgprs: 0
; NumVgprs: 0
; ScratchSize: 0
; MemoryBound: 0
; FloatMode: 240
; IeeeMode: 1
; LDSByteSize: 0 bytes/workgroup (compile time only)
; SGPRBlocks: 0
; VGPRBlocks: 0
; NumSGPRsForWavesPerEU: 1
; NumVGPRsForWavesPerEU: 1
; Occupancy: 16
; WaveLimiterHint : 0
; COMPUTE_PGM_RSRC2:SCRATCH_EN: 0
; COMPUTE_PGM_RSRC2:USER_SGPR: 15
; COMPUTE_PGM_RSRC2:TRAP_HANDLER: 0
; COMPUTE_PGM_RSRC2:TGID_X_EN: 1
; COMPUTE_PGM_RSRC2:TGID_Y_EN: 0
; COMPUTE_PGM_RSRC2:TGID_Z_EN: 0
; COMPUTE_PGM_RSRC2:TIDIG_COMP_CNT: 0
	.section	.text._Z20sort_pairs_segmentedILj256ELj64ELj8EiN10test_utils4lessEEvPKT2_PS2_PKjT3_,"axG",@progbits,_Z20sort_pairs_segmentedILj256ELj64ELj8EiN10test_utils4lessEEvPKT2_PS2_PKjT3_,comdat
	.protected	_Z20sort_pairs_segmentedILj256ELj64ELj8EiN10test_utils4lessEEvPKT2_PS2_PKjT3_ ; -- Begin function _Z20sort_pairs_segmentedILj256ELj64ELj8EiN10test_utils4lessEEvPKT2_PS2_PKjT3_
	.globl	_Z20sort_pairs_segmentedILj256ELj64ELj8EiN10test_utils4lessEEvPKT2_PS2_PKjT3_
	.p2align	8
	.type	_Z20sort_pairs_segmentedILj256ELj64ELj8EiN10test_utils4lessEEvPKT2_PS2_PKjT3_,@function
_Z20sort_pairs_segmentedILj256ELj64ELj8EiN10test_utils4lessEEvPKT2_PS2_PKjT3_: ; @_Z20sort_pairs_segmentedILj256ELj64ELj8EiN10test_utils4lessEEvPKT2_PS2_PKjT3_
; %bb.0:
	s_endpgm
	.section	.rodata,"a",@progbits
	.p2align	6, 0x0
	.amdhsa_kernel _Z20sort_pairs_segmentedILj256ELj64ELj8EiN10test_utils4lessEEvPKT2_PS2_PKjT3_
		.amdhsa_group_segment_fixed_size 0
		.amdhsa_private_segment_fixed_size 0
		.amdhsa_kernarg_size 28
		.amdhsa_user_sgpr_count 15
		.amdhsa_user_sgpr_dispatch_ptr 0
		.amdhsa_user_sgpr_queue_ptr 0
		.amdhsa_user_sgpr_kernarg_segment_ptr 1
		.amdhsa_user_sgpr_dispatch_id 0
		.amdhsa_user_sgpr_private_segment_size 0
		.amdhsa_wavefront_size32 1
		.amdhsa_uses_dynamic_stack 0
		.amdhsa_enable_private_segment 0
		.amdhsa_system_sgpr_workgroup_id_x 1
		.amdhsa_system_sgpr_workgroup_id_y 0
		.amdhsa_system_sgpr_workgroup_id_z 0
		.amdhsa_system_sgpr_workgroup_info 0
		.amdhsa_system_vgpr_workitem_id 0
		.amdhsa_next_free_vgpr 1
		.amdhsa_next_free_sgpr 1
		.amdhsa_reserve_vcc 0
		.amdhsa_float_round_mode_32 0
		.amdhsa_float_round_mode_16_64 0
		.amdhsa_float_denorm_mode_32 3
		.amdhsa_float_denorm_mode_16_64 3
		.amdhsa_dx10_clamp 1
		.amdhsa_ieee_mode 1
		.amdhsa_fp16_overflow 0
		.amdhsa_workgroup_processor_mode 1
		.amdhsa_memory_ordered 1
		.amdhsa_forward_progress 0
		.amdhsa_shared_vgpr_count 0
		.amdhsa_exception_fp_ieee_invalid_op 0
		.amdhsa_exception_fp_denorm_src 0
		.amdhsa_exception_fp_ieee_div_zero 0
		.amdhsa_exception_fp_ieee_overflow 0
		.amdhsa_exception_fp_ieee_underflow 0
		.amdhsa_exception_fp_ieee_inexact 0
		.amdhsa_exception_int_div_zero 0
	.end_amdhsa_kernel
	.section	.text._Z20sort_pairs_segmentedILj256ELj64ELj8EiN10test_utils4lessEEvPKT2_PS2_PKjT3_,"axG",@progbits,_Z20sort_pairs_segmentedILj256ELj64ELj8EiN10test_utils4lessEEvPKT2_PS2_PKjT3_,comdat
.Lfunc_end47:
	.size	_Z20sort_pairs_segmentedILj256ELj64ELj8EiN10test_utils4lessEEvPKT2_PS2_PKjT3_, .Lfunc_end47-_Z20sort_pairs_segmentedILj256ELj64ELj8EiN10test_utils4lessEEvPKT2_PS2_PKjT3_
                                        ; -- End function
	.section	.AMDGPU.csdata,"",@progbits
; Kernel info:
; codeLenInByte = 4
; NumSgprs: 0
; NumVgprs: 0
; ScratchSize: 0
; MemoryBound: 0
; FloatMode: 240
; IeeeMode: 1
; LDSByteSize: 0 bytes/workgroup (compile time only)
; SGPRBlocks: 0
; VGPRBlocks: 0
; NumSGPRsForWavesPerEU: 1
; NumVGPRsForWavesPerEU: 1
; Occupancy: 16
; WaveLimiterHint : 0
; COMPUTE_PGM_RSRC2:SCRATCH_EN: 0
; COMPUTE_PGM_RSRC2:USER_SGPR: 15
; COMPUTE_PGM_RSRC2:TRAP_HANDLER: 0
; COMPUTE_PGM_RSRC2:TGID_X_EN: 1
; COMPUTE_PGM_RSRC2:TGID_Y_EN: 0
; COMPUTE_PGM_RSRC2:TGID_Z_EN: 0
; COMPUTE_PGM_RSRC2:TIDIG_COMP_CNT: 0
	.section	.text._Z9sort_keysILj256ELj4ELj1EaN10test_utils4lessEEvPKT2_PS2_T3_,"axG",@progbits,_Z9sort_keysILj256ELj4ELj1EaN10test_utils4lessEEvPKT2_PS2_T3_,comdat
	.protected	_Z9sort_keysILj256ELj4ELj1EaN10test_utils4lessEEvPKT2_PS2_T3_ ; -- Begin function _Z9sort_keysILj256ELj4ELj1EaN10test_utils4lessEEvPKT2_PS2_T3_
	.globl	_Z9sort_keysILj256ELj4ELj1EaN10test_utils4lessEEvPKT2_PS2_T3_
	.p2align	8
	.type	_Z9sort_keysILj256ELj4ELj1EaN10test_utils4lessEEvPKT2_PS2_T3_,@function
_Z9sort_keysILj256ELj4ELj1EaN10test_utils4lessEEvPKT2_PS2_T3_: ; @_Z9sort_keysILj256ELj4ELj1EaN10test_utils4lessEEvPKT2_PS2_T3_
; %bb.0:
	s_load_b128 s[0:3], s[0:1], 0x0
	s_lshl_b32 s4, s15, 8
	v_mbcnt_lo_u32_b32 v1, -1, 0
	v_lshrrev_b32_e32 v10, 2, v0
	s_delay_alu instid0(VALU_DEP_2) | instskip(SKIP_2) | instid1(VALU_DEP_3)
	v_and_b32_e32 v5, 2, v1
	v_and_b32_e32 v6, 1, v1
	;; [unrolled: 1-line block ×3, first 2 shown]
	v_or_b32_e32 v4, 1, v5
	s_delay_alu instid0(VALU_DEP_1)
	v_sub_nc_u32_e32 v2, v5, v4
	v_sub_nc_u32_e32 v3, v4, v5
	s_waitcnt lgkmcnt(0)
	s_add_u32 s0, s0, s4
	s_addc_u32 s1, s1, 0
	v_add_nc_u32_e32 v2, 2, v2
	global_load_u8 v9, v0, s[0:1]
	s_mov_b32 s0, 0
	s_mov_b32 s1, exec_lo
	v_sub_nc_u32_e32 v7, v6, v2
	v_cmp_ge_i32_e32 vcc_lo, v6, v2
	v_mul_u32_u24_e32 v2, 5, v10
	; wave barrier
	s_delay_alu instid0(VALU_DEP_3)
	v_cndmask_b32_e32 v7, 0, v7, vcc_lo
	v_min_i32_e32 v8, v6, v3
	v_mad_u32_u24 v3, v10, 5, v1
	s_waitcnt vmcnt(0)
	ds_store_b8 v3, v9
	; wave barrier
	v_cmpx_lt_i32_e64 v7, v8
	s_cbranch_execz .LBB48_4
; %bb.1:
	v_add_nc_u32_e32 v9, v2, v5
	s_delay_alu instid0(VALU_DEP_1)
	v_add3_u32 v10, v9, v6, 1
	.p2align	6
.LBB48_2:                               ; =>This Inner Loop Header: Depth=1
	v_sub_nc_u32_e32 v11, v8, v7
	s_delay_alu instid0(VALU_DEP_1) | instskip(NEXT) | instid1(VALU_DEP_1)
	v_lshrrev_b32_e32 v12, 31, v11
	v_add_nc_u32_e32 v11, v11, v12
	s_delay_alu instid0(VALU_DEP_1) | instskip(NEXT) | instid1(VALU_DEP_1)
	v_ashrrev_i32_e32 v11, 1, v11
	v_add_nc_u32_e32 v11, v11, v7
	s_delay_alu instid0(VALU_DEP_1)
	v_add_nc_u32_e32 v12, v9, v11
	v_xad_u32 v13, v11, -1, v10
	v_add_nc_u32_e32 v14, 1, v11
	ds_load_i8 v12, v12
	ds_load_i8 v13, v13
	s_waitcnt lgkmcnt(0)
	v_cmp_lt_i16_e32 vcc_lo, v13, v12
	v_cndmask_b32_e32 v8, v8, v11, vcc_lo
	v_cndmask_b32_e32 v7, v14, v7, vcc_lo
	s_delay_alu instid0(VALU_DEP_1) | instskip(SKIP_1) | instid1(SALU_CYCLE_1)
	v_cmp_ge_i32_e32 vcc_lo, v7, v8
	s_or_b32 s0, vcc_lo, s0
	s_and_not1_b32 exec_lo, exec_lo, s0
	s_cbranch_execnz .LBB48_2
; %bb.3:
	s_or_b32 exec_lo, exec_lo, s0
.LBB48_4:
	s_delay_alu instid0(SALU_CYCLE_1) | instskip(SKIP_3) | instid1(VALU_DEP_3)
	s_or_b32 exec_lo, exec_lo, s1
	v_add_nc_u32_e32 v8, v5, v6
	v_add3_u32 v5, v2, v7, v5
	v_cmp_lt_i32_e32 vcc_lo, 0, v7
	v_sub_nc_u32_e32 v8, v8, v7
	s_delay_alu instid0(VALU_DEP_1) | instskip(SKIP_3) | instid1(VALU_DEP_1)
	v_add_nc_u32_e32 v8, v2, v8
	ds_load_u8 v9, v5
	ds_load_u8 v8, v8 offset:1
	v_add_nc_u32_e32 v5, v4, v6
	; wave barrier
	v_sub_nc_u32_e32 v5, v5, v7
	s_delay_alu instid0(VALU_DEP_1)
	v_cmp_ge_i32_e64 s1, v4, v5
	v_sub_nc_u32_e64 v4, v1, 2 clamp
	v_min_i32_e32 v5, 2, v1
	s_waitcnt lgkmcnt(1)
	v_bfe_i32 v6, v9, 0, 8
	s_waitcnt lgkmcnt(0)
	v_bfe_i32 v10, v8, 0, 8
	s_delay_alu instid0(VALU_DEP_1) | instskip(NEXT) | instid1(VALU_DEP_1)
	v_cmp_lt_i16_e64 s0, v10, v6
	s_or_b32 s0, vcc_lo, s0
	s_delay_alu instid0(SALU_CYCLE_1)
	s_and_b32 vcc_lo, s1, s0
	v_dual_cndmask_b32 v7, v9, v8 :: v_dual_add_nc_u32 v6, v2, v1
	s_mov_b32 s0, 0
	s_mov_b32 s1, exec_lo
	ds_store_b8 v6, v7
	; wave barrier
	v_cmpx_lt_u32_e64 v4, v5
	s_cbranch_execz .LBB48_7
	.p2align	6
.LBB48_5:                               ; =>This Inner Loop Header: Depth=1
	v_sub_nc_u32_e32 v6, v5, v4
	s_delay_alu instid0(VALU_DEP_1) | instskip(NEXT) | instid1(VALU_DEP_1)
	v_lshrrev_b32_e32 v7, 31, v6
	v_add_nc_u32_e32 v6, v6, v7
	s_delay_alu instid0(VALU_DEP_1) | instskip(NEXT) | instid1(VALU_DEP_1)
	v_ashrrev_i32_e32 v6, 1, v6
	v_add_nc_u32_e32 v6, v6, v4
	s_delay_alu instid0(VALU_DEP_1)
	v_add_nc_u32_e32 v9, 1, v6
	v_add_nc_u32_e32 v7, v2, v6
	v_xad_u32 v8, v6, -1, v3
	ds_load_i8 v7, v7
	ds_load_i8 v8, v8 offset:2
	s_waitcnt lgkmcnt(0)
	v_cmp_lt_i16_e32 vcc_lo, v8, v7
	v_cndmask_b32_e32 v4, v9, v4, vcc_lo
	v_cndmask_b32_e32 v5, v5, v6, vcc_lo
	s_delay_alu instid0(VALU_DEP_1) | instskip(SKIP_1) | instid1(SALU_CYCLE_1)
	v_cmp_ge_i32_e32 vcc_lo, v4, v5
	s_or_b32 s0, vcc_lo, s0
	s_and_not1_b32 exec_lo, exec_lo, s0
	s_cbranch_execnz .LBB48_5
; %bb.6:
	s_or_b32 exec_lo, exec_lo, s0
.LBB48_7:
	s_delay_alu instid0(SALU_CYCLE_1) | instskip(SKIP_3) | instid1(VALU_DEP_3)
	s_or_b32 exec_lo, exec_lo, s1
	v_sub_nc_u32_e32 v1, v1, v4
	v_add_nc_u32_e32 v3, v2, v4
	v_cmp_lt_i32_e32 vcc_lo, 1, v4
	v_add_nc_u32_e32 v2, v2, v1
	ds_load_u8 v3, v3
	ds_load_u8 v2, v2 offset:2
	v_add_nc_u32_e32 v1, 2, v1
	s_delay_alu instid0(VALU_DEP_1) | instskip(SKIP_4) | instid1(VALU_DEP_1)
	v_cmp_gt_i32_e64 s1, 4, v1
	s_waitcnt lgkmcnt(1)
	v_bfe_i32 v5, v3, 0, 8
	s_waitcnt lgkmcnt(0)
	v_bfe_i32 v6, v2, 0, 8
	v_cmp_lt_i16_e64 s0, v6, v5
	s_delay_alu instid0(VALU_DEP_1) | instskip(NEXT) | instid1(SALU_CYCLE_1)
	s_or_b32 s0, vcc_lo, s0
	s_and_b32 vcc_lo, s1, s0
	s_add_u32 s0, s2, s4
	v_cndmask_b32_e32 v2, v3, v2, vcc_lo
	s_addc_u32 s1, s3, 0
	v_add_co_u32 v0, s0, s0, v0
	s_delay_alu instid0(VALU_DEP_1)
	v_add_co_ci_u32_e64 v1, null, s1, 0, s0
	global_store_b8 v[0:1], v2, off
	s_nop 0
	s_sendmsg sendmsg(MSG_DEALLOC_VGPRS)
	s_endpgm
	.section	.rodata,"a",@progbits
	.p2align	6, 0x0
	.amdhsa_kernel _Z9sort_keysILj256ELj4ELj1EaN10test_utils4lessEEvPKT2_PS2_T3_
		.amdhsa_group_segment_fixed_size 320
		.amdhsa_private_segment_fixed_size 0
		.amdhsa_kernarg_size 20
		.amdhsa_user_sgpr_count 15
		.amdhsa_user_sgpr_dispatch_ptr 0
		.amdhsa_user_sgpr_queue_ptr 0
		.amdhsa_user_sgpr_kernarg_segment_ptr 1
		.amdhsa_user_sgpr_dispatch_id 0
		.amdhsa_user_sgpr_private_segment_size 0
		.amdhsa_wavefront_size32 1
		.amdhsa_uses_dynamic_stack 0
		.amdhsa_enable_private_segment 0
		.amdhsa_system_sgpr_workgroup_id_x 1
		.amdhsa_system_sgpr_workgroup_id_y 0
		.amdhsa_system_sgpr_workgroup_id_z 0
		.amdhsa_system_sgpr_workgroup_info 0
		.amdhsa_system_vgpr_workitem_id 0
		.amdhsa_next_free_vgpr 15
		.amdhsa_next_free_sgpr 16
		.amdhsa_reserve_vcc 1
		.amdhsa_float_round_mode_32 0
		.amdhsa_float_round_mode_16_64 0
		.amdhsa_float_denorm_mode_32 3
		.amdhsa_float_denorm_mode_16_64 3
		.amdhsa_dx10_clamp 1
		.amdhsa_ieee_mode 1
		.amdhsa_fp16_overflow 0
		.amdhsa_workgroup_processor_mode 1
		.amdhsa_memory_ordered 1
		.amdhsa_forward_progress 0
		.amdhsa_shared_vgpr_count 0
		.amdhsa_exception_fp_ieee_invalid_op 0
		.amdhsa_exception_fp_denorm_src 0
		.amdhsa_exception_fp_ieee_div_zero 0
		.amdhsa_exception_fp_ieee_overflow 0
		.amdhsa_exception_fp_ieee_underflow 0
		.amdhsa_exception_fp_ieee_inexact 0
		.amdhsa_exception_int_div_zero 0
	.end_amdhsa_kernel
	.section	.text._Z9sort_keysILj256ELj4ELj1EaN10test_utils4lessEEvPKT2_PS2_T3_,"axG",@progbits,_Z9sort_keysILj256ELj4ELj1EaN10test_utils4lessEEvPKT2_PS2_T3_,comdat
.Lfunc_end48:
	.size	_Z9sort_keysILj256ELj4ELj1EaN10test_utils4lessEEvPKT2_PS2_T3_, .Lfunc_end48-_Z9sort_keysILj256ELj4ELj1EaN10test_utils4lessEEvPKT2_PS2_T3_
                                        ; -- End function
	.section	.AMDGPU.csdata,"",@progbits
; Kernel info:
; codeLenInByte = 688
; NumSgprs: 18
; NumVgprs: 15
; ScratchSize: 0
; MemoryBound: 0
; FloatMode: 240
; IeeeMode: 1
; LDSByteSize: 320 bytes/workgroup (compile time only)
; SGPRBlocks: 2
; VGPRBlocks: 1
; NumSGPRsForWavesPerEU: 18
; NumVGPRsForWavesPerEU: 15
; Occupancy: 16
; WaveLimiterHint : 0
; COMPUTE_PGM_RSRC2:SCRATCH_EN: 0
; COMPUTE_PGM_RSRC2:USER_SGPR: 15
; COMPUTE_PGM_RSRC2:TRAP_HANDLER: 0
; COMPUTE_PGM_RSRC2:TGID_X_EN: 1
; COMPUTE_PGM_RSRC2:TGID_Y_EN: 0
; COMPUTE_PGM_RSRC2:TGID_Z_EN: 0
; COMPUTE_PGM_RSRC2:TIDIG_COMP_CNT: 0
	.section	.text._Z10sort_pairsILj256ELj4ELj1EaN10test_utils4lessEEvPKT2_PS2_T3_,"axG",@progbits,_Z10sort_pairsILj256ELj4ELj1EaN10test_utils4lessEEvPKT2_PS2_T3_,comdat
	.protected	_Z10sort_pairsILj256ELj4ELj1EaN10test_utils4lessEEvPKT2_PS2_T3_ ; -- Begin function _Z10sort_pairsILj256ELj4ELj1EaN10test_utils4lessEEvPKT2_PS2_T3_
	.globl	_Z10sort_pairsILj256ELj4ELj1EaN10test_utils4lessEEvPKT2_PS2_T3_
	.p2align	8
	.type	_Z10sort_pairsILj256ELj4ELj1EaN10test_utils4lessEEvPKT2_PS2_T3_,@function
_Z10sort_pairsILj256ELj4ELj1EaN10test_utils4lessEEvPKT2_PS2_T3_: ; @_Z10sort_pairsILj256ELj4ELj1EaN10test_utils4lessEEvPKT2_PS2_T3_
; %bb.0:
	s_load_b128 s[0:3], s[0:1], 0x0
	s_lshl_b32 s4, s15, 8
	v_mbcnt_lo_u32_b32 v1, -1, 0
	v_lshrrev_b32_e32 v11, 2, v0
	s_delay_alu instid0(VALU_DEP_2) | instskip(SKIP_1) | instid1(VALU_DEP_2)
	v_and_b32_e32 v7, 2, v1
	v_and_b32_e32 v6, 1, v1
	v_or_b32_e32 v5, 1, v7
	s_delay_alu instid0(VALU_DEP_1)
	v_sub_nc_u32_e32 v2, v7, v5
	v_sub_nc_u32_e32 v8, v5, v7
	s_waitcnt lgkmcnt(0)
	s_add_u32 s0, s0, s4
	s_addc_u32 s1, s1, 0
	v_add_nc_u32_e32 v3, 2, v2
	global_load_u8 v4, v0, s[0:1]
	v_and_b32_e32 v2, 3, v1
	v_min_i32_e32 v9, v6, v8
	v_mul_u32_u24_e32 v1, 5, v11
	v_sub_nc_u32_e32 v10, v6, v3
	v_cmp_ge_i32_e32 vcc_lo, v6, v3
	v_mad_u32_u24 v3, v11, 5, v2
	s_mov_b32 s0, 0
	s_mov_b32 s1, exec_lo
	v_cndmask_b32_e32 v8, 0, v10, vcc_lo
	; wave barrier
	s_waitcnt vmcnt(0)
	ds_store_b8 v3, v4
	; wave barrier
	v_cmpx_lt_i32_e64 v8, v9
	s_cbranch_execz .LBB49_4
; %bb.1:
	v_add_nc_u32_e32 v10, v1, v7
	s_delay_alu instid0(VALU_DEP_1)
	v_add3_u32 v11, v10, v6, 1
	.p2align	6
.LBB49_2:                               ; =>This Inner Loop Header: Depth=1
	v_sub_nc_u32_e32 v12, v9, v8
	s_delay_alu instid0(VALU_DEP_1) | instskip(NEXT) | instid1(VALU_DEP_1)
	v_lshrrev_b32_e32 v13, 31, v12
	v_add_nc_u32_e32 v12, v12, v13
	s_delay_alu instid0(VALU_DEP_1) | instskip(NEXT) | instid1(VALU_DEP_1)
	v_ashrrev_i32_e32 v12, 1, v12
	v_add_nc_u32_e32 v12, v12, v8
	s_delay_alu instid0(VALU_DEP_1)
	v_add_nc_u32_e32 v13, v10, v12
	v_xad_u32 v14, v12, -1, v11
	v_add_nc_u32_e32 v15, 1, v12
	ds_load_i8 v13, v13
	ds_load_i8 v14, v14
	s_waitcnt lgkmcnt(0)
	v_cmp_lt_i16_e32 vcc_lo, v14, v13
	v_cndmask_b32_e32 v9, v9, v12, vcc_lo
	v_cndmask_b32_e32 v8, v15, v8, vcc_lo
	s_delay_alu instid0(VALU_DEP_1) | instskip(SKIP_1) | instid1(SALU_CYCLE_1)
	v_cmp_ge_i32_e32 vcc_lo, v8, v9
	s_or_b32 s0, vcc_lo, s0
	s_and_not1_b32 exec_lo, exec_lo, s0
	s_cbranch_execnz .LBB49_2
; %bb.3:
	s_or_b32 exec_lo, exec_lo, s0
.LBB49_4:
	s_delay_alu instid0(SALU_CYCLE_1) | instskip(SKIP_4) | instid1(VALU_DEP_4)
	s_or_b32 exec_lo, exec_lo, s1
	v_add_nc_u32_e32 v9, v7, v6
	v_add_nc_u32_e32 v7, v8, v7
	;; [unrolled: 1-line block ×3, first 2 shown]
	v_cmp_lt_i32_e32 vcc_lo, 0, v8
	v_sub_nc_u32_e32 v9, v9, v8
	s_delay_alu instid0(VALU_DEP_3) | instskip(SKIP_1) | instid1(VALU_DEP_3)
	v_sub_nc_u32_e32 v6, v6, v8
	v_add_nc_u32_e32 v10, v1, v7
	v_add_nc_u32_e32 v9, v1, v9
	ds_load_u8 v10, v10
	ds_load_u8 v9, v9 offset:1
	v_cmp_ge_i32_e64 s1, v5, v6
	; wave barrier
	s_waitcnt lgkmcnt(1)
	v_bfe_i32 v11, v10, 0, 8
	s_waitcnt lgkmcnt(0)
	v_bfe_i32 v12, v9, 0, 8
	s_delay_alu instid0(VALU_DEP_1) | instskip(NEXT) | instid1(VALU_DEP_1)
	v_cmp_lt_i16_e64 s0, v12, v11
	s_or_b32 s0, vcc_lo, s0
	s_delay_alu instid0(SALU_CYCLE_1)
	s_and_b32 vcc_lo, s1, s0
	s_mov_b32 s0, 0
	v_dual_cndmask_b32 v8, v10, v9 :: v_dual_cndmask_b32 v5, v7, v6
	v_add_nc_u16 v6, v4, 1
	v_add_nc_u32_e32 v4, v1, v2
	v_min_i32_e32 v7, 2, v2
	s_mov_b32 s1, exec_lo
	v_add_nc_u32_e32 v5, v1, v5
	ds_store_b8 v4, v6
	; wave barrier
	ds_load_u8 v5, v5
	v_sub_nc_u32_e64 v6, v2, 2 clamp
	; wave barrier
	ds_store_b8 v4, v8
	; wave barrier
	v_cmpx_lt_u32_e64 v6, v7
	s_cbranch_execz .LBB49_7
	.p2align	6
.LBB49_5:                               ; =>This Inner Loop Header: Depth=1
	v_sub_nc_u32_e32 v8, v7, v6
	s_delay_alu instid0(VALU_DEP_1) | instskip(NEXT) | instid1(VALU_DEP_1)
	v_lshrrev_b32_e32 v9, 31, v8
	v_add_nc_u32_e32 v8, v8, v9
	s_delay_alu instid0(VALU_DEP_1) | instskip(NEXT) | instid1(VALU_DEP_1)
	v_ashrrev_i32_e32 v8, 1, v8
	v_add_nc_u32_e32 v8, v8, v6
	s_delay_alu instid0(VALU_DEP_1)
	v_add_nc_u32_e32 v11, 1, v8
	v_add_nc_u32_e32 v9, v1, v8
	v_xad_u32 v10, v8, -1, v3
	ds_load_i8 v9, v9
	ds_load_i8 v10, v10 offset:2
	s_waitcnt lgkmcnt(0)
	v_cmp_lt_i16_e32 vcc_lo, v10, v9
	v_cndmask_b32_e32 v6, v11, v6, vcc_lo
	v_cndmask_b32_e32 v7, v7, v8, vcc_lo
	s_delay_alu instid0(VALU_DEP_1) | instskip(SKIP_1) | instid1(SALU_CYCLE_1)
	v_cmp_ge_i32_e32 vcc_lo, v6, v7
	s_or_b32 s0, vcc_lo, s0
	s_and_not1_b32 exec_lo, exec_lo, s0
	s_cbranch_execnz .LBB49_5
; %bb.6:
	s_or_b32 exec_lo, exec_lo, s0
.LBB49_7:
	s_delay_alu instid0(SALU_CYCLE_1) | instskip(SKIP_3) | instid1(VALU_DEP_3)
	s_or_b32 exec_lo, exec_lo, s1
	v_sub_nc_u32_e32 v2, v2, v6
	v_add_nc_u32_e32 v3, v1, v6
	v_cmp_lt_i32_e32 vcc_lo, 1, v6
	v_add_nc_u32_e32 v7, v1, v2
	ds_load_u8 v3, v3
	ds_load_u8 v7, v7 offset:2
	v_add_nc_u32_e32 v2, 2, v2
	; wave barrier
	s_waitcnt lgkmcnt(3)
	ds_store_b8 v4, v5
	v_cmp_gt_i32_e64 s1, 4, v2
	; wave barrier
	s_waitcnt lgkmcnt(2)
	v_bfe_i32 v8, v3, 0, 8
	s_waitcnt lgkmcnt(1)
	v_bfe_i32 v9, v7, 0, 8
	s_delay_alu instid0(VALU_DEP_1) | instskip(NEXT) | instid1(VALU_DEP_1)
	v_cmp_lt_i16_e64 s0, v9, v8
	s_or_b32 s0, vcc_lo, s0
	s_delay_alu instid0(SALU_CYCLE_1) | instskip(SKIP_4) | instid1(VALU_DEP_2)
	s_and_b32 vcc_lo, s1, s0
	s_add_u32 s0, s2, s4
	v_dual_cndmask_b32 v3, v3, v7 :: v_dual_cndmask_b32 v2, v6, v2
	s_addc_u32 s1, s3, 0
	v_add_co_u32 v0, s0, s0, v0
	v_add_nc_u32_e32 v1, v1, v2
	ds_load_u8 v1, v1
	s_waitcnt lgkmcnt(0)
	v_add_nc_u16 v2, v1, v3
	v_add_co_ci_u32_e64 v1, null, s1, 0, s0
	global_store_b8 v[0:1], v2, off
	s_nop 0
	s_sendmsg sendmsg(MSG_DEALLOC_VGPRS)
	s_endpgm
	.section	.rodata,"a",@progbits
	.p2align	6, 0x0
	.amdhsa_kernel _Z10sort_pairsILj256ELj4ELj1EaN10test_utils4lessEEvPKT2_PS2_T3_
		.amdhsa_group_segment_fixed_size 320
		.amdhsa_private_segment_fixed_size 0
		.amdhsa_kernarg_size 20
		.amdhsa_user_sgpr_count 15
		.amdhsa_user_sgpr_dispatch_ptr 0
		.amdhsa_user_sgpr_queue_ptr 0
		.amdhsa_user_sgpr_kernarg_segment_ptr 1
		.amdhsa_user_sgpr_dispatch_id 0
		.amdhsa_user_sgpr_private_segment_size 0
		.amdhsa_wavefront_size32 1
		.amdhsa_uses_dynamic_stack 0
		.amdhsa_enable_private_segment 0
		.amdhsa_system_sgpr_workgroup_id_x 1
		.amdhsa_system_sgpr_workgroup_id_y 0
		.amdhsa_system_sgpr_workgroup_id_z 0
		.amdhsa_system_sgpr_workgroup_info 0
		.amdhsa_system_vgpr_workitem_id 0
		.amdhsa_next_free_vgpr 16
		.amdhsa_next_free_sgpr 16
		.amdhsa_reserve_vcc 1
		.amdhsa_float_round_mode_32 0
		.amdhsa_float_round_mode_16_64 0
		.amdhsa_float_denorm_mode_32 3
		.amdhsa_float_denorm_mode_16_64 3
		.amdhsa_dx10_clamp 1
		.amdhsa_ieee_mode 1
		.amdhsa_fp16_overflow 0
		.amdhsa_workgroup_processor_mode 1
		.amdhsa_memory_ordered 1
		.amdhsa_forward_progress 0
		.amdhsa_shared_vgpr_count 0
		.amdhsa_exception_fp_ieee_invalid_op 0
		.amdhsa_exception_fp_denorm_src 0
		.amdhsa_exception_fp_ieee_div_zero 0
		.amdhsa_exception_fp_ieee_overflow 0
		.amdhsa_exception_fp_ieee_underflow 0
		.amdhsa_exception_fp_ieee_inexact 0
		.amdhsa_exception_int_div_zero 0
	.end_amdhsa_kernel
	.section	.text._Z10sort_pairsILj256ELj4ELj1EaN10test_utils4lessEEvPKT2_PS2_T3_,"axG",@progbits,_Z10sort_pairsILj256ELj4ELj1EaN10test_utils4lessEEvPKT2_PS2_T3_,comdat
.Lfunc_end49:
	.size	_Z10sort_pairsILj256ELj4ELj1EaN10test_utils4lessEEvPKT2_PS2_T3_, .Lfunc_end49-_Z10sort_pairsILj256ELj4ELj1EaN10test_utils4lessEEvPKT2_PS2_T3_
                                        ; -- End function
	.section	.AMDGPU.csdata,"",@progbits
; Kernel info:
; codeLenInByte = 748
; NumSgprs: 18
; NumVgprs: 16
; ScratchSize: 0
; MemoryBound: 0
; FloatMode: 240
; IeeeMode: 1
; LDSByteSize: 320 bytes/workgroup (compile time only)
; SGPRBlocks: 2
; VGPRBlocks: 1
; NumSGPRsForWavesPerEU: 18
; NumVGPRsForWavesPerEU: 16
; Occupancy: 16
; WaveLimiterHint : 0
; COMPUTE_PGM_RSRC2:SCRATCH_EN: 0
; COMPUTE_PGM_RSRC2:USER_SGPR: 15
; COMPUTE_PGM_RSRC2:TRAP_HANDLER: 0
; COMPUTE_PGM_RSRC2:TGID_X_EN: 1
; COMPUTE_PGM_RSRC2:TGID_Y_EN: 0
; COMPUTE_PGM_RSRC2:TGID_Z_EN: 0
; COMPUTE_PGM_RSRC2:TIDIG_COMP_CNT: 0
	.section	.text._Z19sort_keys_segmentedILj256ELj4ELj1EaN10test_utils4lessEEvPKT2_PS2_PKjT3_,"axG",@progbits,_Z19sort_keys_segmentedILj256ELj4ELj1EaN10test_utils4lessEEvPKT2_PS2_PKjT3_,comdat
	.protected	_Z19sort_keys_segmentedILj256ELj4ELj1EaN10test_utils4lessEEvPKT2_PS2_PKjT3_ ; -- Begin function _Z19sort_keys_segmentedILj256ELj4ELj1EaN10test_utils4lessEEvPKT2_PS2_PKjT3_
	.globl	_Z19sort_keys_segmentedILj256ELj4ELj1EaN10test_utils4lessEEvPKT2_PS2_PKjT3_
	.p2align	8
	.type	_Z19sort_keys_segmentedILj256ELj4ELj1EaN10test_utils4lessEEvPKT2_PS2_PKjT3_,@function
_Z19sort_keys_segmentedILj256ELj4ELj1EaN10test_utils4lessEEvPKT2_PS2_PKjT3_: ; @_Z19sort_keys_segmentedILj256ELj4ELj1EaN10test_utils4lessEEvPKT2_PS2_PKjT3_
; %bb.0:
	s_clause 0x1
	s_load_b64 s[2:3], s[0:1], 0x10
	s_load_b128 s[4:7], s[0:1], 0x0
	v_lshrrev_b32_e32 v7, 2, v0
	v_mbcnt_lo_u32_b32 v9, -1, 0
	v_mov_b32_e32 v2, 0
	s_delay_alu instid0(VALU_DEP_3) | instskip(NEXT) | instid1(VALU_DEP_1)
	v_lshl_or_b32 v1, s15, 6, v7
	v_lshlrev_b64 v[3:4], 2, v[1:2]
	s_waitcnt lgkmcnt(0)
	s_delay_alu instid0(VALU_DEP_1) | instskip(NEXT) | instid1(VALU_DEP_2)
	v_add_co_u32 v3, vcc_lo, s2, v3
	v_add_co_ci_u32_e32 v4, vcc_lo, s3, v4, vcc_lo
	global_load_b32 v5, v[3:4], off
	v_and_b32_e32 v3, 3, v9
	v_lshlrev_b32_e32 v4, 2, v1
	s_waitcnt vmcnt(0)
	s_delay_alu instid0(VALU_DEP_2) | instskip(SKIP_1) | instid1(VALU_DEP_1)
	v_cmp_lt_u32_e32 vcc_lo, v3, v5
	v_cmp_ge_u32_e64 s0, v3, v5
	s_and_saveexec_b32 s1, s0
	s_delay_alu instid0(SALU_CYCLE_1)
	s_xor_b32 s0, exec_lo, s1
                                        ; implicit-def: $vgpr0_vgpr1
; %bb.1:
	v_mov_b32_e32 v1, v2
; %bb.2:
	s_or_saveexec_b32 s1, s0
                                        ; implicit-def: $vgpr12
	s_delay_alu instid0(SALU_CYCLE_1)
	s_xor_b32 exec_lo, exec_lo, s1
	s_cbranch_execz .LBB50_4
; %bb.3:
	v_add_co_u32 v0, s0, s4, v4
	s_delay_alu instid0(VALU_DEP_1) | instskip(NEXT) | instid1(VALU_DEP_2)
	v_add_co_ci_u32_e64 v1, null, s5, 0, s0
	v_add_co_u32 v0, s0, v0, v3
	s_delay_alu instid0(VALU_DEP_1)
	v_add_co_ci_u32_e64 v1, s0, 0, v1, s0
	global_load_u8 v12, v[0:1], off
	v_mov_b32_e32 v1, 0
.LBB50_4:
	s_or_b32 exec_lo, exec_lo, s1
	v_and_b32_e32 v0, 2, v9
	v_and_b32_e32 v9, 1, v9
	v_mad_u32_u24 v13, v7, 5, v3
	s_mov_b32 s2, 0
	s_mov_b32 s1, exec_lo
	v_min_i32_e32 v8, v5, v0
	v_min_i32_e32 v9, v5, v9
	; wave barrier
	s_waitcnt vmcnt(0)
	ds_store_b8 v13, v12
	v_add_nc_u32_e32 v0, 1, v8
	; wave barrier
	s_delay_alu instid0(VALU_DEP_1) | instskip(NEXT) | instid1(VALU_DEP_1)
	v_min_i32_e32 v6, v5, v0
	v_add_nc_u32_e32 v0, 1, v6
	v_sub_nc_u32_e32 v11, v6, v8
	s_delay_alu instid0(VALU_DEP_2) | instskip(NEXT) | instid1(VALU_DEP_2)
	v_min_i32_e32 v2, v5, v0
	v_min_i32_e32 v11, v9, v11
	s_delay_alu instid0(VALU_DEP_2) | instskip(NEXT) | instid1(VALU_DEP_1)
	v_sub_nc_u32_e32 v0, v2, v6
	v_sub_nc_u32_e32 v10, v9, v0
	v_cmp_ge_i32_e64 s0, v9, v0
	v_mul_u32_u24_e32 v0, 5, v7
	s_delay_alu instid0(VALU_DEP_2) | instskip(NEXT) | instid1(VALU_DEP_1)
	v_cndmask_b32_e64 v10, 0, v10, s0
	v_cmpx_lt_i32_e64 v10, v11
	s_cbranch_execz .LBB50_8
; %bb.5:
	s_delay_alu instid0(VALU_DEP_3)
	v_add_nc_u32_e32 v7, v0, v8
	v_add3_u32 v12, v0, v6, v9
	.p2align	6
.LBB50_6:                               ; =>This Inner Loop Header: Depth=1
	v_sub_nc_u32_e32 v13, v11, v10
	s_delay_alu instid0(VALU_DEP_1) | instskip(NEXT) | instid1(VALU_DEP_1)
	v_lshrrev_b32_e32 v14, 31, v13
	v_add_nc_u32_e32 v13, v13, v14
	s_delay_alu instid0(VALU_DEP_1) | instskip(NEXT) | instid1(VALU_DEP_1)
	v_ashrrev_i32_e32 v13, 1, v13
	v_add_nc_u32_e32 v13, v13, v10
	s_delay_alu instid0(VALU_DEP_1)
	v_add_nc_u32_e32 v14, v7, v13
	v_xad_u32 v15, v13, -1, v12
	v_add_nc_u32_e32 v16, 1, v13
	ds_load_i8 v14, v14
	ds_load_i8 v15, v15
	s_waitcnt lgkmcnt(0)
	v_cmp_lt_i16_e64 s0, v15, v14
	s_delay_alu instid0(VALU_DEP_1) | instskip(SKIP_1) | instid1(VALU_DEP_1)
	v_cndmask_b32_e64 v11, v11, v13, s0
	v_cndmask_b32_e64 v10, v16, v10, s0
	v_cmp_ge_i32_e64 s0, v10, v11
	s_delay_alu instid0(VALU_DEP_1) | instskip(NEXT) | instid1(SALU_CYCLE_1)
	s_or_b32 s2, s0, s2
	s_and_not1_b32 exec_lo, exec_lo, s2
	s_cbranch_execnz .LBB50_6
; %bb.7:
	s_or_b32 exec_lo, exec_lo, s2
.LBB50_8:
	s_delay_alu instid0(SALU_CYCLE_1) | instskip(SKIP_3) | instid1(VALU_DEP_3)
	s_or_b32 exec_lo, exec_lo, s1
	v_add_nc_u32_e32 v7, v6, v9
	v_add_nc_u32_e32 v11, v10, v8
	v_min_i32_e32 v9, 0, v5
	v_sub_nc_u32_e32 v10, v7, v10
	s_delay_alu instid0(VALU_DEP_3) | instskip(SKIP_2) | instid1(VALU_DEP_4)
	v_add_nc_u32_e32 v7, v0, v11
	v_cmp_le_i32_e64 s0, v6, v11
	v_add_nc_u32_e32 v11, v0, v3
	v_add_nc_u32_e32 v8, v0, v10
	v_cmp_gt_i32_e64 s2, v2, v10
	ds_load_u8 v12, v7
	ds_load_u8 v13, v8
	v_add_nc_u32_e32 v7, 2, v9
	; wave barrier
	s_delay_alu instid0(VALU_DEP_1) | instskip(NEXT) | instid1(VALU_DEP_1)
	v_min_i32_e32 v8, v5, v7
	v_add_nc_u32_e32 v7, 2, v8
	v_sub_nc_u32_e32 v6, v8, v9
	s_delay_alu instid0(VALU_DEP_2)
	v_min_i32_e32 v7, v5, v7
	v_min_i32_e32 v5, v5, v3
	s_waitcnt lgkmcnt(1)
	v_bfe_i32 v14, v12, 0, 8
	s_waitcnt lgkmcnt(0)
	v_bfe_i32 v15, v13, 0, 8
	v_sub_nc_u32_e32 v16, v7, v8
	v_min_i32_e32 v6, v5, v6
	s_delay_alu instid0(VALU_DEP_3) | instskip(NEXT) | instid1(VALU_DEP_3)
	v_cmp_lt_i16_e64 s1, v15, v14
	v_sub_nc_u32_e32 v14, v5, v16
	s_delay_alu instid0(VALU_DEP_2) | instskip(SKIP_1) | instid1(VALU_DEP_1)
	s_or_b32 s1, s0, s1
	v_cmp_ge_i32_e64 s0, v5, v16
	v_cndmask_b32_e64 v2, 0, v14, s0
	s_and_b32 s0, s2, s1
	s_mov_b32 s1, 0
	v_cndmask_b32_e64 v10, v12, v13, s0
	s_mov_b32 s2, exec_lo
	ds_store_b8 v11, v10
	; wave barrier
	v_cmpx_lt_i32_e64 v2, v6
	s_cbranch_execnz .LBB50_11
; %bb.9:
	s_or_b32 exec_lo, exec_lo, s2
	s_and_saveexec_b32 s0, vcc_lo
	s_cbranch_execnz .LBB50_14
.LBB50_10:
	s_endpgm
.LBB50_11:
	v_add_nc_u32_e32 v10, v0, v9
	v_add3_u32 v11, v0, v8, v5
	.p2align	6
.LBB50_12:                              ; =>This Inner Loop Header: Depth=1
	v_sub_nc_u32_e32 v12, v6, v2
	s_delay_alu instid0(VALU_DEP_1) | instskip(NEXT) | instid1(VALU_DEP_1)
	v_lshrrev_b32_e32 v13, 31, v12
	v_add_nc_u32_e32 v12, v12, v13
	s_delay_alu instid0(VALU_DEP_1) | instskip(NEXT) | instid1(VALU_DEP_1)
	v_ashrrev_i32_e32 v12, 1, v12
	v_add_nc_u32_e32 v12, v12, v2
	s_delay_alu instid0(VALU_DEP_1)
	v_add_nc_u32_e32 v13, v10, v12
	v_xad_u32 v14, v12, -1, v11
	v_add_nc_u32_e32 v15, 1, v12
	ds_load_i8 v13, v13
	ds_load_i8 v14, v14
	s_waitcnt lgkmcnt(0)
	v_cmp_lt_i16_e64 s0, v14, v13
	s_delay_alu instid0(VALU_DEP_1) | instskip(SKIP_1) | instid1(VALU_DEP_1)
	v_cndmask_b32_e64 v6, v6, v12, s0
	v_cndmask_b32_e64 v2, v15, v2, s0
	v_cmp_ge_i32_e64 s0, v2, v6
	s_delay_alu instid0(VALU_DEP_1) | instskip(NEXT) | instid1(SALU_CYCLE_1)
	s_or_b32 s1, s0, s1
	s_and_not1_b32 exec_lo, exec_lo, s1
	s_cbranch_execnz .LBB50_12
; %bb.13:
	s_or_b32 exec_lo, exec_lo, s1
	s_delay_alu instid0(SALU_CYCLE_1)
	s_or_b32 exec_lo, exec_lo, s2
	s_and_saveexec_b32 s0, vcc_lo
	s_cbranch_execz .LBB50_10
.LBB50_14:
	v_add_nc_u32_e32 v5, v8, v5
	s_delay_alu instid0(VALU_DEP_1) | instskip(SKIP_1) | instid1(VALU_DEP_2)
	v_sub_nc_u32_e32 v5, v5, v2
	v_add_nc_u32_e32 v2, v2, v9
	v_add_nc_u32_e32 v6, v0, v5
	s_delay_alu instid0(VALU_DEP_2)
	v_add_nc_u32_e32 v0, v0, v2
	v_cmp_le_i32_e32 vcc_lo, v8, v2
	ds_load_u8 v6, v6
	ds_load_u8 v9, v0
	s_waitcnt lgkmcnt(1)
	v_bfe_i32 v0, v6, 0, 8
	s_waitcnt lgkmcnt(0)
	v_bfe_i32 v10, v9, 0, 8
	s_delay_alu instid0(VALU_DEP_1) | instskip(SKIP_1) | instid1(VALU_DEP_1)
	v_cmp_lt_i16_e64 s0, v0, v10
	v_add_co_u32 v0, s1, s6, v4
	v_add_co_ci_u32_e64 v2, null, s7, 0, s1
	v_cmp_gt_i32_e64 s1, v7, v5
	s_delay_alu instid0(VALU_DEP_4) | instskip(NEXT) | instid1(VALU_DEP_3)
	s_or_b32 s0, vcc_lo, s0
	v_add_co_u32 v0, vcc_lo, v0, v3
	s_delay_alu instid0(VALU_DEP_3) | instskip(NEXT) | instid1(VALU_DEP_3)
	v_add_co_ci_u32_e32 v1, vcc_lo, v2, v1, vcc_lo
	s_and_b32 vcc_lo, s1, s0
	v_cndmask_b32_e32 v2, v9, v6, vcc_lo
	global_store_b8 v[0:1], v2, off
	s_nop 0
	s_sendmsg sendmsg(MSG_DEALLOC_VGPRS)
	s_endpgm
	.section	.rodata,"a",@progbits
	.p2align	6, 0x0
	.amdhsa_kernel _Z19sort_keys_segmentedILj256ELj4ELj1EaN10test_utils4lessEEvPKT2_PS2_PKjT3_
		.amdhsa_group_segment_fixed_size 320
		.amdhsa_private_segment_fixed_size 0
		.amdhsa_kernarg_size 28
		.amdhsa_user_sgpr_count 15
		.amdhsa_user_sgpr_dispatch_ptr 0
		.amdhsa_user_sgpr_queue_ptr 0
		.amdhsa_user_sgpr_kernarg_segment_ptr 1
		.amdhsa_user_sgpr_dispatch_id 0
		.amdhsa_user_sgpr_private_segment_size 0
		.amdhsa_wavefront_size32 1
		.amdhsa_uses_dynamic_stack 0
		.amdhsa_enable_private_segment 0
		.amdhsa_system_sgpr_workgroup_id_x 1
		.amdhsa_system_sgpr_workgroup_id_y 0
		.amdhsa_system_sgpr_workgroup_id_z 0
		.amdhsa_system_sgpr_workgroup_info 0
		.amdhsa_system_vgpr_workitem_id 0
		.amdhsa_next_free_vgpr 17
		.amdhsa_next_free_sgpr 16
		.amdhsa_reserve_vcc 1
		.amdhsa_float_round_mode_32 0
		.amdhsa_float_round_mode_16_64 0
		.amdhsa_float_denorm_mode_32 3
		.amdhsa_float_denorm_mode_16_64 3
		.amdhsa_dx10_clamp 1
		.amdhsa_ieee_mode 1
		.amdhsa_fp16_overflow 0
		.amdhsa_workgroup_processor_mode 1
		.amdhsa_memory_ordered 1
		.amdhsa_forward_progress 0
		.amdhsa_shared_vgpr_count 0
		.amdhsa_exception_fp_ieee_invalid_op 0
		.amdhsa_exception_fp_denorm_src 0
		.amdhsa_exception_fp_ieee_div_zero 0
		.amdhsa_exception_fp_ieee_overflow 0
		.amdhsa_exception_fp_ieee_underflow 0
		.amdhsa_exception_fp_ieee_inexact 0
		.amdhsa_exception_int_div_zero 0
	.end_amdhsa_kernel
	.section	.text._Z19sort_keys_segmentedILj256ELj4ELj1EaN10test_utils4lessEEvPKT2_PS2_PKjT3_,"axG",@progbits,_Z19sort_keys_segmentedILj256ELj4ELj1EaN10test_utils4lessEEvPKT2_PS2_PKjT3_,comdat
.Lfunc_end50:
	.size	_Z19sort_keys_segmentedILj256ELj4ELj1EaN10test_utils4lessEEvPKT2_PS2_PKjT3_, .Lfunc_end50-_Z19sort_keys_segmentedILj256ELj4ELj1EaN10test_utils4lessEEvPKT2_PS2_PKjT3_
                                        ; -- End function
	.section	.AMDGPU.csdata,"",@progbits
; Kernel info:
; codeLenInByte = 1008
; NumSgprs: 18
; NumVgprs: 17
; ScratchSize: 0
; MemoryBound: 0
; FloatMode: 240
; IeeeMode: 1
; LDSByteSize: 320 bytes/workgroup (compile time only)
; SGPRBlocks: 2
; VGPRBlocks: 2
; NumSGPRsForWavesPerEU: 18
; NumVGPRsForWavesPerEU: 17
; Occupancy: 16
; WaveLimiterHint : 0
; COMPUTE_PGM_RSRC2:SCRATCH_EN: 0
; COMPUTE_PGM_RSRC2:USER_SGPR: 15
; COMPUTE_PGM_RSRC2:TRAP_HANDLER: 0
; COMPUTE_PGM_RSRC2:TGID_X_EN: 1
; COMPUTE_PGM_RSRC2:TGID_Y_EN: 0
; COMPUTE_PGM_RSRC2:TGID_Z_EN: 0
; COMPUTE_PGM_RSRC2:TIDIG_COMP_CNT: 0
	.section	.text._Z20sort_pairs_segmentedILj256ELj4ELj1EaN10test_utils4lessEEvPKT2_PS2_PKjT3_,"axG",@progbits,_Z20sort_pairs_segmentedILj256ELj4ELj1EaN10test_utils4lessEEvPKT2_PS2_PKjT3_,comdat
	.protected	_Z20sort_pairs_segmentedILj256ELj4ELj1EaN10test_utils4lessEEvPKT2_PS2_PKjT3_ ; -- Begin function _Z20sort_pairs_segmentedILj256ELj4ELj1EaN10test_utils4lessEEvPKT2_PS2_PKjT3_
	.globl	_Z20sort_pairs_segmentedILj256ELj4ELj1EaN10test_utils4lessEEvPKT2_PS2_PKjT3_
	.p2align	8
	.type	_Z20sort_pairs_segmentedILj256ELj4ELj1EaN10test_utils4lessEEvPKT2_PS2_PKjT3_,@function
_Z20sort_pairs_segmentedILj256ELj4ELj1EaN10test_utils4lessEEvPKT2_PS2_PKjT3_: ; @_Z20sort_pairs_segmentedILj256ELj4ELj1EaN10test_utils4lessEEvPKT2_PS2_PKjT3_
; %bb.0:
	s_clause 0x1
	s_load_b64 s[2:3], s[0:1], 0x10
	s_load_b128 s[4:7], s[0:1], 0x0
	v_lshrrev_b32_e32 v8, 2, v0
	v_mbcnt_lo_u32_b32 v7, -1, 0
	v_mov_b32_e32 v2, 0
	s_delay_alu instid0(VALU_DEP_3) | instskip(NEXT) | instid1(VALU_DEP_1)
	v_lshl_or_b32 v1, s15, 6, v8
	v_lshlrev_b64 v[3:4], 2, v[1:2]
	s_waitcnt lgkmcnt(0)
	s_delay_alu instid0(VALU_DEP_1) | instskip(NEXT) | instid1(VALU_DEP_2)
	v_add_co_u32 v3, vcc_lo, s2, v3
	v_add_co_ci_u32_e32 v4, vcc_lo, s3, v4, vcc_lo
	global_load_b32 v5, v[3:4], off
	v_and_b32_e32 v3, 3, v7
	v_lshlrev_b32_e32 v4, 2, v1
	s_waitcnt vmcnt(0)
	s_delay_alu instid0(VALU_DEP_2) | instskip(SKIP_1) | instid1(VALU_DEP_1)
	v_cmp_lt_u32_e32 vcc_lo, v3, v5
	v_cmp_ge_u32_e64 s0, v3, v5
	s_and_saveexec_b32 s1, s0
	s_delay_alu instid0(SALU_CYCLE_1)
	s_xor_b32 s0, exec_lo, s1
                                        ; implicit-def: $vgpr0_vgpr1
; %bb.1:
	v_mov_b32_e32 v1, v2
; %bb.2:
	s_or_saveexec_b32 s1, s0
                                        ; implicit-def: $vgpr2
	s_delay_alu instid0(SALU_CYCLE_1)
	s_xor_b32 exec_lo, exec_lo, s1
	s_cbranch_execz .LBB51_4
; %bb.3:
	v_add_co_u32 v0, s0, s4, v4
	s_delay_alu instid0(VALU_DEP_1) | instskip(NEXT) | instid1(VALU_DEP_2)
	v_add_co_ci_u32_e64 v1, null, s5, 0, s0
	v_add_co_u32 v0, s0, v0, v3
	s_delay_alu instid0(VALU_DEP_1)
	v_add_co_ci_u32_e64 v1, s0, 0, v1, s0
	global_load_u8 v2, v[0:1], off
	v_mov_b32_e32 v1, 0
.LBB51_4:
	s_or_b32 exec_lo, exec_lo, s1
	v_and_b32_e32 v0, 2, v7
	v_and_b32_e32 v10, 1, v7
	v_mad_u32_u24 v13, v8, 5, v3
	s_mov_b32 s2, 0
	s_mov_b32 s1, exec_lo
	v_min_i32_e32 v9, v5, v0
	v_min_i32_e32 v10, v5, v10
	; wave barrier
	s_waitcnt vmcnt(0)
	ds_store_b8 v13, v2
	v_add_nc_u32_e32 v0, 1, v9
	; wave barrier
	s_delay_alu instid0(VALU_DEP_1) | instskip(NEXT) | instid1(VALU_DEP_1)
	v_min_i32_e32 v6, v5, v0
	v_add_nc_u32_e32 v0, 1, v6
	v_sub_nc_u32_e32 v12, v6, v9
	s_delay_alu instid0(VALU_DEP_2) | instskip(NEXT) | instid1(VALU_DEP_2)
	v_min_i32_e32 v7, v5, v0
	v_min_i32_e32 v12, v10, v12
	s_delay_alu instid0(VALU_DEP_2) | instskip(NEXT) | instid1(VALU_DEP_1)
	v_sub_nc_u32_e32 v0, v7, v6
	v_sub_nc_u32_e32 v11, v10, v0
	v_cmp_ge_i32_e64 s0, v10, v0
	v_mul_u32_u24_e32 v0, 5, v8
	s_delay_alu instid0(VALU_DEP_2) | instskip(NEXT) | instid1(VALU_DEP_1)
	v_cndmask_b32_e64 v11, 0, v11, s0
	v_cmpx_lt_i32_e64 v11, v12
	s_cbranch_execz .LBB51_8
; %bb.5:
	s_delay_alu instid0(VALU_DEP_3)
	v_add_nc_u32_e32 v8, v0, v9
	v_add3_u32 v13, v0, v6, v10
	.p2align	6
.LBB51_6:                               ; =>This Inner Loop Header: Depth=1
	v_sub_nc_u32_e32 v14, v12, v11
	s_delay_alu instid0(VALU_DEP_1) | instskip(NEXT) | instid1(VALU_DEP_1)
	v_lshrrev_b32_e32 v15, 31, v14
	v_add_nc_u32_e32 v14, v14, v15
	s_delay_alu instid0(VALU_DEP_1) | instskip(NEXT) | instid1(VALU_DEP_1)
	v_ashrrev_i32_e32 v14, 1, v14
	v_add_nc_u32_e32 v14, v14, v11
	s_delay_alu instid0(VALU_DEP_1)
	v_add_nc_u32_e32 v15, v8, v14
	v_xad_u32 v16, v14, -1, v13
	v_add_nc_u32_e32 v17, 1, v14
	ds_load_i8 v15, v15
	ds_load_i8 v16, v16
	s_waitcnt lgkmcnt(0)
	v_cmp_lt_i16_e64 s0, v16, v15
	s_delay_alu instid0(VALU_DEP_1) | instskip(SKIP_1) | instid1(VALU_DEP_1)
	v_cndmask_b32_e64 v12, v12, v14, s0
	v_cndmask_b32_e64 v11, v17, v11, s0
	v_cmp_ge_i32_e64 s0, v11, v12
	s_delay_alu instid0(VALU_DEP_1) | instskip(NEXT) | instid1(SALU_CYCLE_1)
	s_or_b32 s2, s0, s2
	s_and_not1_b32 exec_lo, exec_lo, s2
	s_cbranch_execnz .LBB51_6
; %bb.7:
	s_or_b32 exec_lo, exec_lo, s2
.LBB51_8:
	s_delay_alu instid0(SALU_CYCLE_1) | instskip(SKIP_3) | instid1(VALU_DEP_3)
	s_or_b32 exec_lo, exec_lo, s1
	v_add_nc_u32_e32 v8, v6, v10
	v_add_nc_u32_e32 v9, v11, v9
	v_add_nc_u16 v2, v2, 1
	v_sub_nc_u32_e32 v10, v8, v11
	s_delay_alu instid0(VALU_DEP_3) | instskip(SKIP_1) | instid1(VALU_DEP_3)
	v_add_nc_u32_e32 v8, v0, v9
	v_cmp_le_i32_e64 s0, v6, v9
	v_add_nc_u32_e32 v11, v0, v10
	v_cmp_gt_i32_e64 s2, v7, v10
	v_add_nc_u32_e32 v7, v0, v3
	ds_load_u8 v12, v8
	ds_load_u8 v11, v11
	v_min_i32_e32 v8, 0, v5
	; wave barrier
	ds_store_b8 v7, v2
	v_add_nc_u32_e32 v6, 2, v8
	; wave barrier
	s_delay_alu instid0(VALU_DEP_1) | instskip(SKIP_4) | instid1(VALU_DEP_1)
	v_min_i32_e32 v6, v5, v6
	s_waitcnt lgkmcnt(2)
	v_bfe_i32 v13, v12, 0, 8
	s_waitcnt lgkmcnt(1)
	v_bfe_i32 v14, v11, 0, 8
	v_cmp_lt_i16_e64 s1, v14, v13
	v_sub_nc_u32_e32 v13, v6, v8
	s_delay_alu instid0(VALU_DEP_2)
	s_or_b32 s0, s0, s1
	s_mov_b32 s1, exec_lo
	s_and_b32 s0, s2, s0
	s_mov_b32 s2, 0
	v_cndmask_b32_e64 v9, v9, v10, s0
	v_cndmask_b32_e64 v12, v12, v11, s0
	v_add_nc_u32_e32 v11, 2, v6
	s_delay_alu instid0(VALU_DEP_3) | instskip(SKIP_1) | instid1(VALU_DEP_3)
	v_add_nc_u32_e32 v10, v0, v9
	v_min_i32_e32 v9, v5, v3
	v_min_i32_e32 v2, v5, v11
	ds_load_u8 v5, v10
	v_sub_nc_u32_e32 v11, v2, v6
	; wave barrier
	ds_store_b8 v7, v12
	; wave barrier
	v_sub_nc_u32_e32 v10, v9, v11
	v_cmp_ge_i32_e64 s0, v9, v11
	v_min_i32_e32 v11, v9, v13
	s_delay_alu instid0(VALU_DEP_2) | instskip(NEXT) | instid1(VALU_DEP_1)
	v_cndmask_b32_e64 v10, 0, v10, s0
	v_cmpx_lt_i32_e64 v10, v11
	s_cbranch_execz .LBB51_12
; %bb.9:
	v_add_nc_u32_e32 v12, v0, v8
	v_add3_u32 v13, v0, v6, v9
	.p2align	6
.LBB51_10:                              ; =>This Inner Loop Header: Depth=1
	v_sub_nc_u32_e32 v14, v11, v10
	s_delay_alu instid0(VALU_DEP_1) | instskip(NEXT) | instid1(VALU_DEP_1)
	v_lshrrev_b32_e32 v15, 31, v14
	v_add_nc_u32_e32 v14, v14, v15
	s_delay_alu instid0(VALU_DEP_1) | instskip(NEXT) | instid1(VALU_DEP_1)
	v_ashrrev_i32_e32 v14, 1, v14
	v_add_nc_u32_e32 v14, v14, v10
	s_delay_alu instid0(VALU_DEP_1)
	v_add_nc_u32_e32 v15, v12, v14
	v_xad_u32 v16, v14, -1, v13
	v_add_nc_u32_e32 v17, 1, v14
	ds_load_i8 v15, v15
	ds_load_i8 v16, v16
	s_waitcnt lgkmcnt(0)
	v_cmp_lt_i16_e64 s0, v16, v15
	s_delay_alu instid0(VALU_DEP_1) | instskip(SKIP_1) | instid1(VALU_DEP_1)
	v_cndmask_b32_e64 v11, v11, v14, s0
	v_cndmask_b32_e64 v10, v17, v10, s0
	v_cmp_ge_i32_e64 s0, v10, v11
	s_delay_alu instid0(VALU_DEP_1) | instskip(NEXT) | instid1(SALU_CYCLE_1)
	s_or_b32 s2, s0, s2
	s_and_not1_b32 exec_lo, exec_lo, s2
	s_cbranch_execnz .LBB51_10
; %bb.11:
	s_or_b32 exec_lo, exec_lo, s2
.LBB51_12:
	s_delay_alu instid0(SALU_CYCLE_1) | instskip(SKIP_2) | instid1(VALU_DEP_2)
	s_or_b32 exec_lo, exec_lo, s1
	v_add_nc_u32_e32 v9, v6, v9
	v_add_nc_u32_e32 v8, v10, v8
	v_sub_nc_u32_e32 v9, v9, v10
	s_delay_alu instid0(VALU_DEP_2) | instskip(NEXT) | instid1(VALU_DEP_2)
	v_add_nc_u32_e32 v10, v0, v8
	v_add_nc_u32_e32 v11, v0, v9
	ds_load_i8 v10, v10
	ds_load_i8 v11, v11
	; wave barrier
	s_waitcnt lgkmcnt(3)
	ds_store_b8 v7, v5
	; wave barrier
	s_and_saveexec_b32 s0, vcc_lo
	s_cbranch_execz .LBB51_14
; %bb.13:
	s_waitcnt lgkmcnt(2)
	v_bfe_i32 v5, v10, 0, 8
	s_waitcnt lgkmcnt(1)
	v_bfe_i32 v7, v11, 0, 8
	v_cmp_le_i32_e32 vcc_lo, v6, v8
	v_cmp_gt_i32_e64 s1, v2, v9
	s_delay_alu instid0(VALU_DEP_3) | instskip(NEXT) | instid1(VALU_DEP_1)
	v_cmp_lt_i16_e64 s0, v7, v5
	s_or_b32 s0, vcc_lo, s0
	s_delay_alu instid0(VALU_DEP_2) | instid1(SALU_CYCLE_1)
	s_and_b32 vcc_lo, s1, s0
	v_dual_cndmask_b32 v2, v10, v11 :: v_dual_cndmask_b32 v5, v8, v9
	s_delay_alu instid0(VALU_DEP_1) | instskip(SKIP_2) | instid1(VALU_DEP_1)
	v_add_nc_u32_e32 v0, v0, v5
	ds_load_u8 v5, v0
	v_add_co_u32 v0, s0, s6, v4
	v_add_co_ci_u32_e64 v4, null, s7, 0, s0
	s_delay_alu instid0(VALU_DEP_2) | instskip(NEXT) | instid1(VALU_DEP_2)
	v_add_co_u32 v0, vcc_lo, v0, v3
	v_add_co_ci_u32_e32 v1, vcc_lo, v4, v1, vcc_lo
	s_waitcnt lgkmcnt(0)
	v_add_nc_u16 v2, v5, v2
	global_store_b8 v[0:1], v2, off
.LBB51_14:
	s_nop 0
	s_sendmsg sendmsg(MSG_DEALLOC_VGPRS)
	s_endpgm
	.section	.rodata,"a",@progbits
	.p2align	6, 0x0
	.amdhsa_kernel _Z20sort_pairs_segmentedILj256ELj4ELj1EaN10test_utils4lessEEvPKT2_PS2_PKjT3_
		.amdhsa_group_segment_fixed_size 320
		.amdhsa_private_segment_fixed_size 0
		.amdhsa_kernarg_size 28
		.amdhsa_user_sgpr_count 15
		.amdhsa_user_sgpr_dispatch_ptr 0
		.amdhsa_user_sgpr_queue_ptr 0
		.amdhsa_user_sgpr_kernarg_segment_ptr 1
		.amdhsa_user_sgpr_dispatch_id 0
		.amdhsa_user_sgpr_private_segment_size 0
		.amdhsa_wavefront_size32 1
		.amdhsa_uses_dynamic_stack 0
		.amdhsa_enable_private_segment 0
		.amdhsa_system_sgpr_workgroup_id_x 1
		.amdhsa_system_sgpr_workgroup_id_y 0
		.amdhsa_system_sgpr_workgroup_id_z 0
		.amdhsa_system_sgpr_workgroup_info 0
		.amdhsa_system_vgpr_workitem_id 0
		.amdhsa_next_free_vgpr 18
		.amdhsa_next_free_sgpr 16
		.amdhsa_reserve_vcc 1
		.amdhsa_float_round_mode_32 0
		.amdhsa_float_round_mode_16_64 0
		.amdhsa_float_denorm_mode_32 3
		.amdhsa_float_denorm_mode_16_64 3
		.amdhsa_dx10_clamp 1
		.amdhsa_ieee_mode 1
		.amdhsa_fp16_overflow 0
		.amdhsa_workgroup_processor_mode 1
		.amdhsa_memory_ordered 1
		.amdhsa_forward_progress 0
		.amdhsa_shared_vgpr_count 0
		.amdhsa_exception_fp_ieee_invalid_op 0
		.amdhsa_exception_fp_denorm_src 0
		.amdhsa_exception_fp_ieee_div_zero 0
		.amdhsa_exception_fp_ieee_overflow 0
		.amdhsa_exception_fp_ieee_underflow 0
		.amdhsa_exception_fp_ieee_inexact 0
		.amdhsa_exception_int_div_zero 0
	.end_amdhsa_kernel
	.section	.text._Z20sort_pairs_segmentedILj256ELj4ELj1EaN10test_utils4lessEEvPKT2_PS2_PKjT3_,"axG",@progbits,_Z20sort_pairs_segmentedILj256ELj4ELj1EaN10test_utils4lessEEvPKT2_PS2_PKjT3_,comdat
.Lfunc_end51:
	.size	_Z20sort_pairs_segmentedILj256ELj4ELj1EaN10test_utils4lessEEvPKT2_PS2_PKjT3_, .Lfunc_end51-_Z20sort_pairs_segmentedILj256ELj4ELj1EaN10test_utils4lessEEvPKT2_PS2_PKjT3_
                                        ; -- End function
	.section	.AMDGPU.csdata,"",@progbits
; Kernel info:
; codeLenInByte = 1068
; NumSgprs: 18
; NumVgprs: 18
; ScratchSize: 0
; MemoryBound: 0
; FloatMode: 240
; IeeeMode: 1
; LDSByteSize: 320 bytes/workgroup (compile time only)
; SGPRBlocks: 2
; VGPRBlocks: 2
; NumSGPRsForWavesPerEU: 18
; NumVGPRsForWavesPerEU: 18
; Occupancy: 16
; WaveLimiterHint : 0
; COMPUTE_PGM_RSRC2:SCRATCH_EN: 0
; COMPUTE_PGM_RSRC2:USER_SGPR: 15
; COMPUTE_PGM_RSRC2:TRAP_HANDLER: 0
; COMPUTE_PGM_RSRC2:TGID_X_EN: 1
; COMPUTE_PGM_RSRC2:TGID_Y_EN: 0
; COMPUTE_PGM_RSRC2:TGID_Z_EN: 0
; COMPUTE_PGM_RSRC2:TIDIG_COMP_CNT: 0
	.section	.text._Z9sort_keysILj256ELj4ELj4EaN10test_utils4lessEEvPKT2_PS2_T3_,"axG",@progbits,_Z9sort_keysILj256ELj4ELj4EaN10test_utils4lessEEvPKT2_PS2_T3_,comdat
	.protected	_Z9sort_keysILj256ELj4ELj4EaN10test_utils4lessEEvPKT2_PS2_T3_ ; -- Begin function _Z9sort_keysILj256ELj4ELj4EaN10test_utils4lessEEvPKT2_PS2_T3_
	.globl	_Z9sort_keysILj256ELj4ELj4EaN10test_utils4lessEEvPKT2_PS2_T3_
	.p2align	8
	.type	_Z9sort_keysILj256ELj4ELj4EaN10test_utils4lessEEvPKT2_PS2_T3_,@function
_Z9sort_keysILj256ELj4ELj4EaN10test_utils4lessEEvPKT2_PS2_T3_: ; @_Z9sort_keysILj256ELj4ELj4EaN10test_utils4lessEEvPKT2_PS2_T3_
; %bb.0:
	s_load_b128 s[4:7], s[0:1], 0x0
	s_lshl_b32 s8, s15, 10
	v_lshlrev_b32_e32 v1, 2, v0
	v_lshrrev_b32_e32 v0, 2, v0
	s_waitcnt lgkmcnt(0)
	s_add_u32 s0, s4, s8
	s_addc_u32 s1, s5, 0
	global_load_b32 v2, v1, s[0:1]
	s_mov_b32 s1, exec_lo
	; wave barrier
	s_waitcnt vmcnt(0)
	v_lshrrev_b32_e32 v3, 8, v2
	v_bfe_i32 v4, v2, 0, 8
	v_perm_b32 v5, v2, v2, 0x7060405
	s_delay_alu instid0(VALU_DEP_3) | instskip(NEXT) | instid1(VALU_DEP_1)
	v_bfe_i32 v3, v3, 0, 8
	v_cmp_lt_i16_e32 vcc_lo, v3, v4
	s_delay_alu instid0(VALU_DEP_3) | instskip(NEXT) | instid1(VALU_DEP_1)
	v_cndmask_b32_e32 v2, v2, v5, vcc_lo
	v_lshrrev_b32_e32 v5, 16, v2
	v_lshrrev_b32_e32 v7, 24, v2
	s_delay_alu instid0(VALU_DEP_2) | instskip(NEXT) | instid1(VALU_DEP_2)
	v_perm_b32 v6, 0, v5, 0xc0c0001
	v_bfe_i32 v7, v7, 0, 8
	v_bfe_i32 v5, v5, 0, 8
	s_delay_alu instid0(VALU_DEP_3) | instskip(NEXT) | instid1(VALU_DEP_2)
	v_lshlrev_b32_e32 v6, 16, v6
	v_cmp_lt_i16_e32 vcc_lo, v7, v5
	v_min_i16 v8, v7, v5
	v_max_i16 v5, v7, v5
	s_delay_alu instid0(VALU_DEP_4) | instskip(NEXT) | instid1(VALU_DEP_3)
	v_and_or_b32 v6, 0xffff, v2, v6
	v_lshlrev_b16 v11, 8, v8
	s_delay_alu instid0(VALU_DEP_2) | instskip(SKIP_2) | instid1(VALU_DEP_3)
	v_cndmask_b32_e32 v2, v2, v6, vcc_lo
	v_max_i16 v6, v3, v4
	v_min_i16 v3, v3, v4
	v_lshrrev_b32_e32 v9, 16, v2
	s_delay_alu instid0(VALU_DEP_3)
	v_and_b32_e32 v10, 0xff, v6
	v_min_i16 v4, v8, v6
	v_cmp_lt_i16_e32 vcc_lo, v8, v6
	v_max_i16 v7, v8, v6
	v_and_b32_e32 v9, 0xffffff00, v9
	v_and_b32_e32 v12, 0xff, v2
	v_cmp_gt_i16_e64 s0, v6, v5
	s_delay_alu instid0(VALU_DEP_3) | instskip(NEXT) | instid1(VALU_DEP_3)
	v_or_b32_e32 v9, v10, v9
	v_or_b32_e32 v11, v12, v11
	v_lshlrev_b16 v10, 8, v3
	v_and_b32_e32 v12, 0xff, v4
	s_delay_alu instid0(VALU_DEP_4) | instskip(NEXT) | instid1(VALU_DEP_4)
	v_lshlrev_b32_e32 v9, 16, v9
	v_and_b32_e32 v11, 0xffff, v11
	s_delay_alu instid0(VALU_DEP_3) | instskip(SKIP_1) | instid1(VALU_DEP_3)
	v_or_b32_e32 v10, v12, v10
	v_lshlrev_b16 v12, 8, v7
	v_or_b32_e32 v9, v11, v9
	v_and_b32_e32 v11, 0xff, v5
	s_delay_alu instid0(VALU_DEP_4) | instskip(NEXT) | instid1(VALU_DEP_3)
	v_and_b32_e32 v10, 0xffff, v10
	v_cndmask_b32_e32 v2, v2, v9, vcc_lo
	s_delay_alu instid0(VALU_DEP_3) | instskip(SKIP_2) | instid1(VALU_DEP_4)
	v_or_b32_e32 v9, v11, v12
	v_cmp_lt_i16_e32 vcc_lo, v8, v3
	v_cndmask_b32_e64 v12, v7, v5, s0
	v_and_or_b32 v10, 0xffff0000, v2, v10
	s_delay_alu instid0(VALU_DEP_4) | instskip(NEXT) | instid1(VALU_DEP_2)
	v_lshlrev_b32_e32 v9, 16, v9
	v_dual_cndmask_b32 v11, v4, v3 :: v_dual_cndmask_b32 v2, v2, v10
	s_delay_alu instid0(VALU_DEP_1) | instskip(SKIP_1) | instid1(VALU_DEP_2)
	v_and_or_b32 v8, 0xffff, v2, v9
	v_mbcnt_lo_u32_b32 v9, -1, 0
	v_cndmask_b32_e64 v10, v2, v8, s0
	s_delay_alu instid0(VALU_DEP_2)
	v_lshlrev_b32_e32 v8, 2, v9
	v_and_b32_e32 v3, 0xff, v11
	v_lshlrev_b16 v9, 8, v12
	s_mov_b32 s0, 0
	v_lshrrev_b32_e32 v2, 16, v10
	v_and_b32_e32 v6, 8, v8
	v_and_b32_e32 v7, 0xff, v10
	s_delay_alu instid0(VALU_DEP_3) | instskip(NEXT) | instid1(VALU_DEP_3)
	v_and_b32_e32 v2, 0xffffff00, v2
	v_or_b32_e32 v5, 4, v6
	v_add_nc_u32_e32 v4, 8, v6
	s_delay_alu instid0(VALU_DEP_4)
	v_or_b32_e32 v9, v7, v9
	v_and_b32_e32 v7, 4, v8
	v_or_b32_e32 v3, v3, v2
	v_and_b32_e32 v2, 12, v8
	v_sub_nc_u32_e32 v8, v4, v5
	v_and_b32_e32 v9, 0xffff, v9
	v_sub_nc_u32_e32 v14, v5, v6
	v_lshlrev_b32_e32 v13, 16, v3
	v_mad_u32_u24 v3, v0, 17, v2
	v_sub_nc_u32_e32 v15, v7, v8
	v_cmp_ge_i32_e32 vcc_lo, v7, v8
	v_mul_u32_u24_e32 v0, 17, v0
	v_or_b32_e32 v13, v9, v13
	v_min_i32_e32 v9, v7, v14
	v_cndmask_b32_e32 v8, 0, v15, vcc_lo
	v_cmp_lt_i16_e32 vcc_lo, v12, v11
	s_delay_alu instid0(VALU_DEP_4)
	v_cndmask_b32_e32 v10, v10, v13, vcc_lo
	ds_store_b32 v3, v10
	; wave barrier
	v_cmpx_lt_i32_e64 v8, v9
	s_cbranch_execz .LBB52_4
; %bb.1:
	v_add_nc_u32_e32 v10, v0, v6
	s_delay_alu instid0(VALU_DEP_1)
	v_add3_u32 v11, v10, v7, 4
	.p2align	6
.LBB52_2:                               ; =>This Inner Loop Header: Depth=1
	v_sub_nc_u32_e32 v12, v9, v8
	s_delay_alu instid0(VALU_DEP_1) | instskip(NEXT) | instid1(VALU_DEP_1)
	v_lshrrev_b32_e32 v13, 31, v12
	v_add_nc_u32_e32 v12, v12, v13
	s_delay_alu instid0(VALU_DEP_1) | instskip(NEXT) | instid1(VALU_DEP_1)
	v_ashrrev_i32_e32 v12, 1, v12
	v_add_nc_u32_e32 v12, v12, v8
	s_delay_alu instid0(VALU_DEP_1)
	v_add_nc_u32_e32 v13, v10, v12
	v_xad_u32 v14, v12, -1, v11
	v_add_nc_u32_e32 v15, 1, v12
	ds_load_i8 v13, v13
	ds_load_i8 v14, v14
	s_waitcnt lgkmcnt(0)
	v_cmp_lt_i16_e32 vcc_lo, v14, v13
	v_cndmask_b32_e32 v9, v9, v12, vcc_lo
	v_cndmask_b32_e32 v8, v15, v8, vcc_lo
	s_delay_alu instid0(VALU_DEP_1) | instskip(SKIP_1) | instid1(SALU_CYCLE_1)
	v_cmp_ge_i32_e32 vcc_lo, v8, v9
	s_or_b32 s0, vcc_lo, s0
	s_and_not1_b32 exec_lo, exec_lo, s0
	s_cbranch_execnz .LBB52_2
; %bb.3:
	s_or_b32 exec_lo, exec_lo, s0
.LBB52_4:
	s_delay_alu instid0(SALU_CYCLE_1) | instskip(SKIP_4) | instid1(VALU_DEP_4)
	s_or_b32 exec_lo, exec_lo, s1
	v_add_nc_u32_e32 v9, v6, v7
	v_add_nc_u32_e32 v10, v8, v6
	;; [unrolled: 1-line block ×3, first 2 shown]
	v_cmp_lt_i32_e32 vcc_lo, 3, v8
	v_sub_nc_u32_e32 v6, v9, v8
	s_delay_alu instid0(VALU_DEP_4) | instskip(NEXT) | instid1(VALU_DEP_2)
	v_add_nc_u32_e32 v9, v0, v10
	v_add_nc_u32_e32 v12, v0, v6
	ds_load_u8 v6, v9
	ds_load_u8 v11, v12 offset:4
	s_waitcnt lgkmcnt(1)
	v_bfe_i32 v6, v6, 0, 8
	s_waitcnt lgkmcnt(0)
	v_bfe_i32 v7, v11, 0, 8
	v_sub_nc_u32_e32 v11, v13, v8
                                        ; implicit-def: $vgpr8
	s_delay_alu instid0(VALU_DEP_2) | instskip(NEXT) | instid1(VALU_DEP_2)
	v_cmp_lt_i16_e64 s0, v7, v6
	v_cmp_gt_i32_e64 s1, v4, v11
	s_delay_alu instid0(VALU_DEP_2)
	s_or_b32 s0, vcc_lo, s0
	s_delay_alu instid0(VALU_DEP_1) | instid1(SALU_CYCLE_1)
	s_and_b32 vcc_lo, s1, s0
	s_delay_alu instid0(SALU_CYCLE_1) | instskip(NEXT) | instid1(SALU_CYCLE_1)
	s_xor_b32 s0, vcc_lo, -1
	s_and_saveexec_b32 s1, s0
	s_delay_alu instid0(SALU_CYCLE_1)
	s_xor_b32 s0, exec_lo, s1
	s_cbranch_execz .LBB52_6
; %bb.5:
	ds_load_u8 v8, v9 offset:1
                                        ; implicit-def: $vgpr12
.LBB52_6:
	s_or_saveexec_b32 s0, s0
	v_mov_b32_e32 v9, v7
	s_xor_b32 exec_lo, exec_lo, s0
	s_cbranch_execz .LBB52_8
; %bb.7:
	ds_load_u8 v9, v12 offset:5
	s_waitcnt lgkmcnt(1)
	v_mov_b32_e32 v8, v6
.LBB52_8:
	s_or_b32 exec_lo, exec_lo, s0
	v_add_nc_u32_e32 v12, 1, v10
	v_add_nc_u32_e32 v14, 1, v11
	s_waitcnt lgkmcnt(0)
	v_bfe_i32 v15, v8, 0, 8
	s_delay_alu instid0(VALU_DEP_3) | instskip(SKIP_2) | instid1(VALU_DEP_3)
	v_cndmask_b32_e32 v13, v12, v10, vcc_lo
	v_bfe_i32 v10, v9, 0, 8
	v_cndmask_b32_e32 v12, v11, v14, vcc_lo
	v_cmp_ge_i32_e64 s0, v13, v5
	s_delay_alu instid0(VALU_DEP_3) | instskip(NEXT) | instid1(VALU_DEP_3)
	v_cmp_lt_i16_e64 s1, v10, v15
	v_cmp_lt_i32_e64 s2, v12, v4
                                        ; implicit-def: $vgpr10
	s_delay_alu instid0(VALU_DEP_2)
	s_or_b32 s0, s0, s1
	s_delay_alu instid0(VALU_DEP_1) | instid1(SALU_CYCLE_1)
	s_and_b32 s0, s2, s0
	s_delay_alu instid0(SALU_CYCLE_1) | instskip(NEXT) | instid1(SALU_CYCLE_1)
	s_xor_b32 s1, s0, -1
	s_and_saveexec_b32 s2, s1
	s_delay_alu instid0(SALU_CYCLE_1)
	s_xor_b32 s1, exec_lo, s2
	s_cbranch_execz .LBB52_10
; %bb.9:
	v_add_nc_u32_e32 v10, v0, v13
	ds_load_u8 v10, v10 offset:1
.LBB52_10:
	s_or_saveexec_b32 s1, s1
	v_mov_b32_e32 v11, v9
	s_xor_b32 exec_lo, exec_lo, s1
	s_cbranch_execz .LBB52_12
; %bb.11:
	s_waitcnt lgkmcnt(0)
	v_add_nc_u32_e32 v10, v0, v12
	ds_load_u8 v11, v10 offset:1
	v_mov_b32_e32 v10, v8
.LBB52_12:
	s_or_b32 exec_lo, exec_lo, s1
	v_add_nc_u32_e32 v14, 1, v13
	v_add_nc_u32_e32 v15, 1, v12
	s_waitcnt lgkmcnt(0)
	v_bfe_i32 v16, v10, 0, 8
	v_bfe_i32 v17, v11, 0, 8
	v_cndmask_b32_e64 v14, v14, v13, s0
	v_cndmask_b32_e64 v13, v12, v15, s0
                                        ; implicit-def: $vgpr12
	s_delay_alu instid0(VALU_DEP_3) | instskip(NEXT) | instid1(VALU_DEP_3)
	v_cmp_lt_i16_e64 s2, v17, v16
	v_cmp_ge_i32_e64 s1, v14, v5
	s_delay_alu instid0(VALU_DEP_3) | instskip(NEXT) | instid1(VALU_DEP_2)
	v_cmp_lt_i32_e64 s3, v13, v4
	s_or_b32 s1, s1, s2
	s_delay_alu instid0(VALU_DEP_1) | instid1(SALU_CYCLE_1)
	s_and_b32 s1, s3, s1
	s_delay_alu instid0(SALU_CYCLE_1) | instskip(NEXT) | instid1(SALU_CYCLE_1)
	s_xor_b32 s2, s1, -1
	s_and_saveexec_b32 s3, s2
	s_delay_alu instid0(SALU_CYCLE_1)
	s_xor_b32 s2, exec_lo, s3
	s_cbranch_execz .LBB52_14
; %bb.13:
	v_add_nc_u32_e32 v12, v0, v14
	ds_load_u8 v12, v12 offset:1
.LBB52_14:
	s_or_saveexec_b32 s2, s2
	v_mov_b32_e32 v15, v11
	s_xor_b32 exec_lo, exec_lo, s2
	s_cbranch_execz .LBB52_16
; %bb.15:
	s_waitcnt lgkmcnt(0)
	v_add_nc_u32_e32 v12, v0, v13
	ds_load_u8 v15, v12 offset:1
	v_mov_b32_e32 v12, v10
.LBB52_16:
	s_or_b32 exec_lo, exec_lo, s2
	v_add_nc_u32_e32 v16, 1, v14
	v_add_nc_u32_e32 v17, 1, v13
	s_waitcnt lgkmcnt(0)
	v_bfe_i32 v18, v12, 0, 8
	v_bfe_i32 v19, v15, 0, 8
	v_cndmask_b32_e64 v10, v10, v11, s1
	v_cndmask_b32_e64 v14, v16, v14, s1
	;; [unrolled: 1-line block ×4, first 2 shown]
	v_cmp_lt_i16_e64 s0, v19, v18
	s_delay_alu instid0(VALU_DEP_4)
	v_cmp_ge_i32_e64 s1, v14, v5
	v_cndmask_b32_e32 v5, v6, v7, vcc_lo
	v_cmp_lt_i32_e32 vcc_lo, v11, v4
	v_sub_nc_u32_e64 v6, v2, 8 clamp
	v_min_i32_e32 v4, 8, v2
	s_or_b32 s0, s1, s0
	; wave barrier
	s_delay_alu instid0(SALU_CYCLE_1)
	s_and_b32 vcc_lo, vcc_lo, s0
	s_mov_b32 s0, exec_lo
	v_cndmask_b32_e32 v7, v12, v15, vcc_lo
	ds_store_b8 v3, v5
	ds_store_b8 v3, v8 offset:1
	ds_store_b8 v3, v10 offset:2
	;; [unrolled: 1-line block ×3, first 2 shown]
	; wave barrier
	v_cmpx_lt_u32_e64 v6, v4
	s_cbranch_execz .LBB52_20
; %bb.17:
	s_mov_b32 s1, 0
	.p2align	6
.LBB52_18:                              ; =>This Inner Loop Header: Depth=1
	v_sub_nc_u32_e32 v5, v4, v6
	s_delay_alu instid0(VALU_DEP_1) | instskip(NEXT) | instid1(VALU_DEP_1)
	v_lshrrev_b32_e32 v7, 31, v5
	v_add_nc_u32_e32 v5, v5, v7
	s_delay_alu instid0(VALU_DEP_1) | instskip(NEXT) | instid1(VALU_DEP_1)
	v_ashrrev_i32_e32 v5, 1, v5
	v_add_nc_u32_e32 v5, v5, v6
	s_delay_alu instid0(VALU_DEP_1)
	v_add_nc_u32_e32 v9, 1, v5
	v_add_nc_u32_e32 v7, v0, v5
	v_xad_u32 v8, v5, -1, v3
	ds_load_i8 v7, v7
	ds_load_i8 v8, v8 offset:8
	s_waitcnt lgkmcnt(0)
	v_cmp_lt_i16_e32 vcc_lo, v8, v7
	v_cndmask_b32_e32 v6, v9, v6, vcc_lo
	v_cndmask_b32_e32 v4, v4, v5, vcc_lo
	s_delay_alu instid0(VALU_DEP_1) | instskip(SKIP_1) | instid1(SALU_CYCLE_1)
	v_cmp_ge_i32_e32 vcc_lo, v6, v4
	s_or_b32 s1, vcc_lo, s1
	s_and_not1_b32 exec_lo, exec_lo, s1
	s_cbranch_execnz .LBB52_18
; %bb.19:
	s_or_b32 exec_lo, exec_lo, s1
.LBB52_20:
	s_delay_alu instid0(SALU_CYCLE_1) | instskip(SKIP_3) | instid1(VALU_DEP_3)
	s_or_b32 exec_lo, exec_lo, s0
	v_sub_nc_u32_e32 v4, v2, v6
	v_add_nc_u32_e32 v5, v0, v6
	v_cmp_lt_i32_e32 vcc_lo, 7, v6
	v_add_nc_u32_e32 v8, v0, v4
	v_add_nc_u32_e32 v7, 8, v4
                                        ; implicit-def: $vgpr4
	ds_load_u8 v2, v5
	ds_load_u8 v3, v8 offset:8
	v_cmp_gt_i32_e64 s1, 16, v7
	s_waitcnt lgkmcnt(1)
	v_bfe_i32 v2, v2, 0, 8
	s_waitcnt lgkmcnt(0)
	v_bfe_i32 v3, v3, 0, 8
	s_delay_alu instid0(VALU_DEP_1) | instskip(NEXT) | instid1(VALU_DEP_1)
	v_cmp_lt_i16_e64 s0, v3, v2
	s_or_b32 s0, vcc_lo, s0
	s_delay_alu instid0(SALU_CYCLE_1) | instskip(NEXT) | instid1(SALU_CYCLE_1)
	s_and_b32 vcc_lo, s1, s0
	s_xor_b32 s0, vcc_lo, -1
	s_delay_alu instid0(SALU_CYCLE_1) | instskip(NEXT) | instid1(SALU_CYCLE_1)
	s_and_saveexec_b32 s1, s0
	s_xor_b32 s0, exec_lo, s1
	s_cbranch_execz .LBB52_22
; %bb.21:
	ds_load_u8 v4, v5 offset:1
                                        ; implicit-def: $vgpr8
.LBB52_22:
	s_or_saveexec_b32 s0, s0
	v_mov_b32_e32 v5, v3
	s_xor_b32 exec_lo, exec_lo, s0
	s_cbranch_execz .LBB52_24
; %bb.23:
	ds_load_u8 v5, v8 offset:9
	s_waitcnt lgkmcnt(1)
	v_mov_b32_e32 v4, v2
.LBB52_24:
	s_or_b32 exec_lo, exec_lo, s0
	v_add_nc_u32_e32 v8, 1, v6
	v_add_nc_u32_e32 v10, 1, v7
	s_waitcnt lgkmcnt(0)
	v_bfe_i32 v11, v4, 0, 8
	s_delay_alu instid0(VALU_DEP_3) | instskip(SKIP_2) | instid1(VALU_DEP_3)
	v_cndmask_b32_e32 v9, v8, v6, vcc_lo
	v_bfe_i32 v6, v5, 0, 8
	v_cndmask_b32_e32 v8, v7, v10, vcc_lo
                                        ; implicit-def: $vgpr7
	v_cmp_lt_i32_e64 s0, 7, v9
	s_delay_alu instid0(VALU_DEP_3) | instskip(NEXT) | instid1(VALU_DEP_3)
	v_cmp_lt_i16_e64 s1, v6, v11
	v_cmp_gt_i32_e64 s2, 16, v8
	s_delay_alu instid0(VALU_DEP_2)
	s_or_b32 s0, s0, s1
	s_delay_alu instid0(VALU_DEP_1) | instid1(SALU_CYCLE_1)
	s_and_b32 s0, s2, s0
	s_delay_alu instid0(SALU_CYCLE_1) | instskip(NEXT) | instid1(SALU_CYCLE_1)
	s_xor_b32 s1, s0, -1
	s_and_saveexec_b32 s2, s1
	s_delay_alu instid0(SALU_CYCLE_1)
	s_xor_b32 s1, exec_lo, s2
	s_cbranch_execz .LBB52_26
; %bb.25:
	v_add_nc_u32_e32 v6, v0, v9
	ds_load_u8 v7, v6 offset:1
.LBB52_26:
	s_or_saveexec_b32 s1, s1
	v_mov_b32_e32 v6, v5
	s_xor_b32 exec_lo, exec_lo, s1
	s_cbranch_execz .LBB52_28
; %bb.27:
	v_add_nc_u32_e32 v6, v0, v8
	s_waitcnt lgkmcnt(0)
	v_mov_b32_e32 v7, v4
	ds_load_u8 v6, v6 offset:1
.LBB52_28:
	s_or_b32 exec_lo, exec_lo, s1
	v_add_nc_u32_e32 v10, 1, v9
	v_add_nc_u32_e32 v12, 1, v8
	s_waitcnt lgkmcnt(0)
	v_bfe_i32 v13, v7, 0, 8
	s_delay_alu instid0(VALU_DEP_3) | instskip(SKIP_2) | instid1(VALU_DEP_3)
	v_cndmask_b32_e64 v11, v10, v9, s0
	v_bfe_i32 v9, v6, 0, 8
	v_cndmask_b32_e64 v8, v8, v12, s0
                                        ; implicit-def: $vgpr10
	v_cmp_gt_i32_e64 s1, 8, v11
	s_delay_alu instid0(VALU_DEP_3) | instskip(NEXT) | instid1(VALU_DEP_3)
	v_cmp_ge_i16_e64 s2, v9, v13
	v_cmp_lt_i32_e64 s3, 15, v8
                                        ; implicit-def: $vgpr9
	s_delay_alu instid0(VALU_DEP_2)
	s_and_b32 s1, s1, s2
	s_delay_alu instid0(VALU_DEP_1) | instid1(SALU_CYCLE_1)
	s_or_b32 s1, s3, s1
	s_delay_alu instid0(SALU_CYCLE_1) | instskip(NEXT) | instid1(SALU_CYCLE_1)
	s_and_saveexec_b32 s2, s1
	s_xor_b32 s1, exec_lo, s2
	s_cbranch_execz .LBB52_30
; %bb.29:
	v_add_nc_u32_e32 v0, v0, v11
	v_add_nc_u32_e32 v10, 1, v11
                                        ; implicit-def: $vgpr11
	ds_load_u8 v9, v0 offset:1
                                        ; implicit-def: $vgpr0
.LBB52_30:
	s_or_saveexec_b32 s1, s1
	v_mov_b32_e32 v12, v7
	s_xor_b32 exec_lo, exec_lo, s1
	s_cbranch_execz .LBB52_32
; %bb.31:
	s_waitcnt lgkmcnt(0)
	v_dual_mov_b32 v9, v7 :: v_dual_add_nc_u32 v0, v0, v8
	v_add_nc_u32_e32 v8, 1, v8
	v_mov_b32_e32 v12, v6
	v_mov_b32_e32 v10, v11
	ds_load_u8 v0, v0 offset:1
	s_waitcnt lgkmcnt(0)
	v_mov_b32_e32 v6, v0
.LBB52_32:
	s_or_b32 exec_lo, exec_lo, s1
	s_waitcnt lgkmcnt(0)
	v_bfe_i32 v0, v9, 0, 8
	s_delay_alu instid0(VALU_DEP_2) | instskip(SKIP_3) | instid1(VALU_DEP_4)
	v_bfe_i32 v7, v6, 0, 8
	v_cmp_lt_i32_e64 s1, 7, v10
	v_cmp_gt_i32_e64 s3, 16, v8
	v_cndmask_b32_e32 v2, v2, v3, vcc_lo
	v_cmp_lt_i16_e64 s2, v7, v0
	v_cndmask_b32_e64 v0, v4, v5, s0
	v_and_b32_e32 v4, 0xff, v12
	s_delay_alu instid0(VALU_DEP_3) | instskip(NEXT) | instid1(VALU_DEP_2)
	s_or_b32 s0, s1, s2
	v_lshlrev_b16 v0, 8, v0
	s_and_b32 vcc_lo, s3, s0
	s_add_u32 s0, s6, s8
	v_cndmask_b32_e32 v3, v9, v6, vcc_lo
	v_and_b32_e32 v2, 0xff, v2
	s_addc_u32 s1, s7, 0
	s_delay_alu instid0(VALU_DEP_2) | instskip(NEXT) | instid1(VALU_DEP_2)
	v_lshlrev_b16 v3, 8, v3
	v_or_b32_e32 v0, v2, v0
	s_delay_alu instid0(VALU_DEP_2) | instskip(NEXT) | instid1(VALU_DEP_2)
	v_or_b32_e32 v2, v4, v3
	v_and_b32_e32 v3, 0xffff, v0
	v_add_co_u32 v0, s0, s0, v1
	s_delay_alu instid0(VALU_DEP_1) | instskip(NEXT) | instid1(VALU_DEP_4)
	v_add_co_ci_u32_e64 v1, null, s1, 0, s0
	v_lshlrev_b32_e32 v2, 16, v2
	s_delay_alu instid0(VALU_DEP_1)
	v_or_b32_e32 v2, v3, v2
	global_store_b32 v[0:1], v2, off
	s_nop 0
	s_sendmsg sendmsg(MSG_DEALLOC_VGPRS)
	s_endpgm
	.section	.rodata,"a",@progbits
	.p2align	6, 0x0
	.amdhsa_kernel _Z9sort_keysILj256ELj4ELj4EaN10test_utils4lessEEvPKT2_PS2_T3_
		.amdhsa_group_segment_fixed_size 1088
		.amdhsa_private_segment_fixed_size 0
		.amdhsa_kernarg_size 20
		.amdhsa_user_sgpr_count 15
		.amdhsa_user_sgpr_dispatch_ptr 0
		.amdhsa_user_sgpr_queue_ptr 0
		.amdhsa_user_sgpr_kernarg_segment_ptr 1
		.amdhsa_user_sgpr_dispatch_id 0
		.amdhsa_user_sgpr_private_segment_size 0
		.amdhsa_wavefront_size32 1
		.amdhsa_uses_dynamic_stack 0
		.amdhsa_enable_private_segment 0
		.amdhsa_system_sgpr_workgroup_id_x 1
		.amdhsa_system_sgpr_workgroup_id_y 0
		.amdhsa_system_sgpr_workgroup_id_z 0
		.amdhsa_system_sgpr_workgroup_info 0
		.amdhsa_system_vgpr_workitem_id 0
		.amdhsa_next_free_vgpr 20
		.amdhsa_next_free_sgpr 16
		.amdhsa_reserve_vcc 1
		.amdhsa_float_round_mode_32 0
		.amdhsa_float_round_mode_16_64 0
		.amdhsa_float_denorm_mode_32 3
		.amdhsa_float_denorm_mode_16_64 3
		.amdhsa_dx10_clamp 1
		.amdhsa_ieee_mode 1
		.amdhsa_fp16_overflow 0
		.amdhsa_workgroup_processor_mode 1
		.amdhsa_memory_ordered 1
		.amdhsa_forward_progress 0
		.amdhsa_shared_vgpr_count 0
		.amdhsa_exception_fp_ieee_invalid_op 0
		.amdhsa_exception_fp_denorm_src 0
		.amdhsa_exception_fp_ieee_div_zero 0
		.amdhsa_exception_fp_ieee_overflow 0
		.amdhsa_exception_fp_ieee_underflow 0
		.amdhsa_exception_fp_ieee_inexact 0
		.amdhsa_exception_int_div_zero 0
	.end_amdhsa_kernel
	.section	.text._Z9sort_keysILj256ELj4ELj4EaN10test_utils4lessEEvPKT2_PS2_T3_,"axG",@progbits,_Z9sort_keysILj256ELj4ELj4EaN10test_utils4lessEEvPKT2_PS2_T3_,comdat
.Lfunc_end52:
	.size	_Z9sort_keysILj256ELj4ELj4EaN10test_utils4lessEEvPKT2_PS2_T3_, .Lfunc_end52-_Z9sort_keysILj256ELj4ELj4EaN10test_utils4lessEEvPKT2_PS2_T3_
                                        ; -- End function
	.section	.AMDGPU.csdata,"",@progbits
; Kernel info:
; codeLenInByte = 2212
; NumSgprs: 18
; NumVgprs: 20
; ScratchSize: 0
; MemoryBound: 0
; FloatMode: 240
; IeeeMode: 1
; LDSByteSize: 1088 bytes/workgroup (compile time only)
; SGPRBlocks: 2
; VGPRBlocks: 2
; NumSGPRsForWavesPerEU: 18
; NumVGPRsForWavesPerEU: 20
; Occupancy: 16
; WaveLimiterHint : 0
; COMPUTE_PGM_RSRC2:SCRATCH_EN: 0
; COMPUTE_PGM_RSRC2:USER_SGPR: 15
; COMPUTE_PGM_RSRC2:TRAP_HANDLER: 0
; COMPUTE_PGM_RSRC2:TGID_X_EN: 1
; COMPUTE_PGM_RSRC2:TGID_Y_EN: 0
; COMPUTE_PGM_RSRC2:TGID_Z_EN: 0
; COMPUTE_PGM_RSRC2:TIDIG_COMP_CNT: 0
	.section	.text._Z10sort_pairsILj256ELj4ELj4EaN10test_utils4lessEEvPKT2_PS2_T3_,"axG",@progbits,_Z10sort_pairsILj256ELj4ELj4EaN10test_utils4lessEEvPKT2_PS2_T3_,comdat
	.protected	_Z10sort_pairsILj256ELj4ELj4EaN10test_utils4lessEEvPKT2_PS2_T3_ ; -- Begin function _Z10sort_pairsILj256ELj4ELj4EaN10test_utils4lessEEvPKT2_PS2_T3_
	.globl	_Z10sort_pairsILj256ELj4ELj4EaN10test_utils4lessEEvPKT2_PS2_T3_
	.p2align	8
	.type	_Z10sort_pairsILj256ELj4ELj4EaN10test_utils4lessEEvPKT2_PS2_T3_,@function
_Z10sort_pairsILj256ELj4ELj4EaN10test_utils4lessEEvPKT2_PS2_T3_: ; @_Z10sort_pairsILj256ELj4ELj4EaN10test_utils4lessEEvPKT2_PS2_T3_
; %bb.0:
	s_load_b128 s[8:11], s[0:1], 0x0
	s_lshl_b32 s12, s15, 10
	v_lshlrev_b32_e32 v1, 2, v0
	v_lshrrev_b32_e32 v0, 2, v0
	s_mov_b32 s6, 0
	s_mov_b32 s7, exec_lo
	s_waitcnt lgkmcnt(0)
	s_add_u32 s0, s8, s12
	s_addc_u32 s1, s9, 0
	global_load_b32 v8, v1, s[0:1]
	; wave barrier
	s_waitcnt vmcnt(0)
	v_lshrrev_b32_e32 v2, 8, v8
	v_bfe_i32 v4, v8, 0, 8
	s_delay_alu instid0(VALU_DEP_2) | instskip(SKIP_1) | instid1(VALU_DEP_2)
	v_bfe_i32 v5, v2, 0, 8
	v_perm_b32 v2, v8, v8, 0x7060405
	v_cmp_lt_i16_e32 vcc_lo, v5, v4
	s_delay_alu instid0(VALU_DEP_2) | instskip(NEXT) | instid1(VALU_DEP_1)
	v_cndmask_b32_e32 v2, v8, v2, vcc_lo
	v_lshrrev_b32_e32 v3, 16, v2
	v_lshrrev_b32_e32 v7, 24, v2
	s_delay_alu instid0(VALU_DEP_2) | instskip(NEXT) | instid1(VALU_DEP_2)
	v_perm_b32 v6, 0, v3, 0xc0c0001
	v_bfe_i32 v7, v7, 0, 8
	v_bfe_i32 v3, v3, 0, 8
	s_delay_alu instid0(VALU_DEP_3) | instskip(NEXT) | instid1(VALU_DEP_2)
	v_lshlrev_b32_e32 v6, 16, v6
	v_cmp_lt_i16_e64 s0, v7, v3
	v_min_i16 v3, v7, v3
	s_delay_alu instid0(VALU_DEP_3) | instskip(NEXT) | instid1(VALU_DEP_2)
	v_and_or_b32 v6, 0xffff, v2, v6
	v_lshlrev_b16 v7, 8, v3
	s_delay_alu instid0(VALU_DEP_2) | instskip(NEXT) | instid1(VALU_DEP_1)
	v_cndmask_b32_e64 v2, v2, v6, s0
	v_lshrrev_b32_e32 v6, 16, v2
	v_lshrrev_b16 v9, 8, v2
	v_and_b32_e32 v10, 0xff, v2
	s_delay_alu instid0(VALU_DEP_3) | instskip(NEXT) | instid1(VALU_DEP_2)
	v_and_b32_e32 v6, 0xffffff00, v6
	v_or_b32_e32 v7, v10, v7
	s_delay_alu instid0(VALU_DEP_2) | instskip(SKIP_1) | instid1(VALU_DEP_3)
	v_or_b32_e32 v6, v9, v6
	v_lshrrev_b32_e32 v9, 8, v2
	v_and_b32_e32 v7, 0xffff, v7
	s_delay_alu instid0(VALU_DEP_3) | instskip(NEXT) | instid1(VALU_DEP_3)
	v_lshlrev_b32_e32 v6, 16, v6
	v_bfe_i32 v9, v9, 0, 8
	s_delay_alu instid0(VALU_DEP_2) | instskip(NEXT) | instid1(VALU_DEP_2)
	v_or_b32_e32 v6, v7, v6
	v_cmp_lt_i16_e64 s2, v3, v9
	v_min_i16 v7, v3, v9
	v_mbcnt_lo_u32_b32 v9, -1, 0
	s_delay_alu instid0(VALU_DEP_3) | instskip(NEXT) | instid1(VALU_DEP_3)
	v_cndmask_b32_e64 v2, v2, v6, s2
	v_and_b32_e32 v3, 0xff, v7
	s_delay_alu instid0(VALU_DEP_2) | instskip(NEXT) | instid1(VALU_DEP_1)
	v_lshlrev_b16 v6, 8, v2
	v_or_b32_e32 v3, v3, v6
	v_bfe_i32 v6, v2, 0, 8
	s_delay_alu instid0(VALU_DEP_2) | instskip(NEXT) | instid1(VALU_DEP_2)
	v_and_b32_e32 v3, 0xffff, v3
	v_cmp_lt_i16_e64 s3, v7, v6
	s_delay_alu instid0(VALU_DEP_2) | instskip(NEXT) | instid1(VALU_DEP_1)
	v_and_or_b32 v3, 0xffff0000, v2, v3
	v_cndmask_b32_e64 v2, v2, v3, s3
	s_delay_alu instid0(VALU_DEP_1) | instskip(SKIP_1) | instid1(VALU_DEP_2)
	v_lshrrev_b32_e32 v3, 16, v2
	v_lshrrev_b32_e32 v7, 24, v2
	v_perm_b32 v6, 0, v3, 0xc0c0001
	s_delay_alu instid0(VALU_DEP_2) | instskip(SKIP_1) | instid1(VALU_DEP_3)
	v_bfe_i32 v7, v7, 0, 8
	v_bfe_i32 v3, v3, 0, 8
	v_lshlrev_b32_e32 v6, 16, v6
	s_delay_alu instid0(VALU_DEP_2) | instskip(SKIP_1) | instid1(VALU_DEP_3)
	v_cmp_lt_i16_e64 s1, v7, v3
	v_min_i16 v14, v7, v3
	v_and_or_b32 v6, 0xffff, v2, v6
	s_delay_alu instid0(VALU_DEP_2) | instskip(NEXT) | instid1(VALU_DEP_2)
	v_lshlrev_b16 v10, 8, v14
	v_cndmask_b32_e64 v13, v2, v6, s1
	v_lshlrev_b32_e32 v2, 2, v9
	s_delay_alu instid0(VALU_DEP_2) | instskip(NEXT) | instid1(VALU_DEP_2)
	v_lshrrev_b32_e32 v3, 16, v13
	v_and_b32_e32 v9, 8, v2
	v_lshrrev_b16 v11, 8, v13
	v_and_b32_e32 v12, 0xff, v13
	v_lshrrev_b32_e32 v16, 8, v13
	v_and_b32_e32 v15, 0xffffff00, v3
	v_or_b32_e32 v7, 4, v9
	v_add_nc_u32_e32 v6, 8, v9
	v_or_b32_e32 v10, v12, v10
	v_bfe_i32 v16, v16, 0, 8
	v_or_b32_e32 v12, v11, v15
	v_and_b32_e32 v11, 4, v2
	v_sub_nc_u32_e32 v15, v6, v7
	v_and_b32_e32 v10, 0xffff, v10
	v_and_b32_e32 v3, 12, v2
	v_lshlrev_b32_e32 v12, 16, v12
	v_sub_nc_u32_e32 v17, v7, v9
	v_sub_nc_u32_e32 v18, v11, v15
	v_cmp_ge_i32_e64 s4, v11, v15
	v_mad_u32_u24 v2, v0, 17, v3
	v_or_b32_e32 v19, v10, v12
	v_min_i32_e32 v10, v11, v17
	v_mul_u32_u24_e32 v0, 17, v0
	v_cndmask_b32_e64 v12, 0, v18, s4
	v_cmp_lt_i16_e64 s4, v14, v16
	s_delay_alu instid0(VALU_DEP_1)
	v_cndmask_b32_e64 v13, v13, v19, s4
	ds_store_b32 v2, v13
	; wave barrier
	v_cmpx_lt_i32_e64 v12, v10
	s_cbranch_execz .LBB53_4
; %bb.1:
	v_add_nc_u32_e32 v13, v0, v9
	s_delay_alu instid0(VALU_DEP_1)
	v_add3_u32 v14, v13, v11, 4
	.p2align	6
.LBB53_2:                               ; =>This Inner Loop Header: Depth=1
	v_sub_nc_u32_e32 v15, v10, v12
	s_delay_alu instid0(VALU_DEP_1) | instskip(NEXT) | instid1(VALU_DEP_1)
	v_lshrrev_b32_e32 v16, 31, v15
	v_add_nc_u32_e32 v15, v15, v16
	s_delay_alu instid0(VALU_DEP_1) | instskip(NEXT) | instid1(VALU_DEP_1)
	v_ashrrev_i32_e32 v15, 1, v15
	v_add_nc_u32_e32 v15, v15, v12
	s_delay_alu instid0(VALU_DEP_1)
	v_add_nc_u32_e32 v16, v13, v15
	v_xad_u32 v17, v15, -1, v14
	v_add_nc_u32_e32 v18, 1, v15
	ds_load_i8 v16, v16
	ds_load_i8 v17, v17
	s_waitcnt lgkmcnt(0)
	v_cmp_lt_i16_e64 s5, v17, v16
	s_delay_alu instid0(VALU_DEP_1) | instskip(SKIP_1) | instid1(VALU_DEP_1)
	v_cndmask_b32_e64 v10, v10, v15, s5
	v_cndmask_b32_e64 v12, v18, v12, s5
	v_cmp_ge_i32_e64 s5, v12, v10
	s_delay_alu instid0(VALU_DEP_1) | instskip(NEXT) | instid1(SALU_CYCLE_1)
	s_or_b32 s6, s5, s6
	s_and_not1_b32 exec_lo, exec_lo, s6
	s_cbranch_execnz .LBB53_2
; %bb.3:
	s_or_b32 exec_lo, exec_lo, s6
.LBB53_4:
	s_delay_alu instid0(SALU_CYCLE_1)
	s_or_b32 exec_lo, exec_lo, s7
	v_lshrrev_b32_e32 v16, 16, v8
	v_lshrrev_b32_e32 v15, 24, v8
	v_add_nc_u32_e32 v8, v9, v11
	v_add_nc_u32_e32 v10, v12, v9
	;; [unrolled: 1-line block ×3, first 2 shown]
	v_cmp_lt_i32_e64 s5, 3, v12
	s_delay_alu instid0(VALU_DEP_4) | instskip(NEXT) | instid1(VALU_DEP_4)
	v_sub_nc_u32_e32 v8, v8, v12
	v_add_nc_u32_e32 v17, v0, v10
	s_delay_alu instid0(VALU_DEP_4) | instskip(NEXT) | instid1(VALU_DEP_3)
	v_sub_nc_u32_e32 v13, v11, v12
                                        ; implicit-def: $vgpr11
	v_add_nc_u32_e32 v14, v0, v8
	ds_load_u8 v8, v17
	ds_load_u8 v9, v14 offset:4
	v_cmp_gt_i32_e64 s7, v6, v13
	s_waitcnt lgkmcnt(1)
	v_bfe_i32 v8, v8, 0, 8
	s_waitcnt lgkmcnt(0)
	v_bfe_i32 v9, v9, 0, 8
	s_delay_alu instid0(VALU_DEP_1) | instskip(NEXT) | instid1(VALU_DEP_1)
	v_cmp_lt_i16_e64 s6, v9, v8
	s_or_b32 s5, s5, s6
	s_delay_alu instid0(SALU_CYCLE_1) | instskip(NEXT) | instid1(SALU_CYCLE_1)
	s_and_b32 s5, s7, s5
	s_xor_b32 s6, s5, -1
	s_delay_alu instid0(SALU_CYCLE_1) | instskip(NEXT) | instid1(SALU_CYCLE_1)
	s_and_saveexec_b32 s7, s6
	s_xor_b32 s6, exec_lo, s7
	s_cbranch_execz .LBB53_6
; %bb.5:
	ds_load_u8 v11, v17 offset:1
                                        ; implicit-def: $vgpr14
.LBB53_6:
	s_or_saveexec_b32 s6, s6
	v_mov_b32_e32 v12, v9
	s_xor_b32 exec_lo, exec_lo, s6
	s_cbranch_execz .LBB53_8
; %bb.7:
	ds_load_u8 v12, v14 offset:5
	s_waitcnt lgkmcnt(1)
	v_mov_b32_e32 v11, v8
.LBB53_8:
	s_or_b32 exec_lo, exec_lo, s6
	v_add_nc_u32_e32 v14, 1, v10
	v_add_nc_u32_e32 v17, 1, v13
	s_waitcnt lgkmcnt(0)
	v_bfe_i32 v20, v11, 0, 8
	s_delay_alu instid0(VALU_DEP_3) | instskip(SKIP_2) | instid1(VALU_DEP_3)
	v_cndmask_b32_e64 v18, v14, v10, s5
	v_bfe_i32 v14, v12, 0, 8
	v_cndmask_b32_e64 v19, v13, v17, s5
	v_cmp_ge_i32_e64 s6, v18, v7
	s_delay_alu instid0(VALU_DEP_3) | instskip(NEXT) | instid1(VALU_DEP_3)
	v_cmp_lt_i16_e64 s7, v14, v20
	v_cmp_lt_i32_e64 s8, v19, v6
                                        ; implicit-def: $vgpr14
	s_delay_alu instid0(VALU_DEP_2)
	s_or_b32 s6, s6, s7
	s_delay_alu instid0(VALU_DEP_1) | instid1(SALU_CYCLE_1)
	s_and_b32 s6, s8, s6
	s_delay_alu instid0(SALU_CYCLE_1) | instskip(NEXT) | instid1(SALU_CYCLE_1)
	s_xor_b32 s7, s6, -1
	s_and_saveexec_b32 s8, s7
	s_delay_alu instid0(SALU_CYCLE_1)
	s_xor_b32 s7, exec_lo, s8
	s_cbranch_execz .LBB53_10
; %bb.9:
	v_add_nc_u32_e32 v14, v0, v18
	ds_load_u8 v14, v14 offset:1
.LBB53_10:
	s_or_saveexec_b32 s7, s7
	v_mov_b32_e32 v17, v12
	s_xor_b32 exec_lo, exec_lo, s7
	s_cbranch_execz .LBB53_12
; %bb.11:
	s_waitcnt lgkmcnt(0)
	v_add_nc_u32_e32 v14, v0, v19
	ds_load_u8 v17, v14 offset:1
	v_mov_b32_e32 v14, v11
.LBB53_12:
	s_or_b32 exec_lo, exec_lo, s7
	v_add_nc_u32_e32 v20, 1, v18
	v_add_nc_u32_e32 v21, 1, v19
	s_waitcnt lgkmcnt(0)
	v_bfe_i32 v23, v14, 0, 8
	s_delay_alu instid0(VALU_DEP_3) | instskip(SKIP_2) | instid1(VALU_DEP_3)
	v_cndmask_b32_e64 v22, v20, v18, s6
	v_bfe_i32 v20, v17, 0, 8
	v_cndmask_b32_e64 v21, v19, v21, s6
	v_cmp_ge_i32_e64 s7, v22, v7
	s_delay_alu instid0(VALU_DEP_3) | instskip(NEXT) | instid1(VALU_DEP_3)
	v_cmp_lt_i16_e64 s8, v20, v23
	v_cmp_lt_i32_e64 s9, v21, v6
                                        ; implicit-def: $vgpr20
	s_delay_alu instid0(VALU_DEP_2)
	s_or_b32 s7, s7, s8
	s_delay_alu instid0(VALU_DEP_1) | instid1(SALU_CYCLE_1)
	s_and_b32 s7, s9, s7
	s_delay_alu instid0(SALU_CYCLE_1) | instskip(NEXT) | instid1(SALU_CYCLE_1)
	s_xor_b32 s8, s7, -1
	s_and_saveexec_b32 s9, s8
	s_delay_alu instid0(SALU_CYCLE_1)
	s_xor_b32 s8, exec_lo, s9
	s_cbranch_execz .LBB53_14
; %bb.13:
	v_add_nc_u32_e32 v20, v0, v22
	ds_load_u8 v20, v20 offset:1
.LBB53_14:
	s_or_saveexec_b32 s8, s8
	v_mov_b32_e32 v23, v17
	s_xor_b32 exec_lo, exec_lo, s8
	s_cbranch_execz .LBB53_16
; %bb.15:
	s_waitcnt lgkmcnt(0)
	v_add_nc_u32_e32 v20, v0, v21
	ds_load_u8 v23, v20 offset:1
	v_mov_b32_e32 v20, v14
.LBB53_16:
	s_or_b32 exec_lo, exec_lo, s8
	v_add_nc_u16 v16, v16, 1
	v_add_nc_u16 v5, v5, 1
	;; [unrolled: 1-line block ×3, first 2 shown]
	v_lshlrev_b16 v15, 8, v15
	v_cndmask_b32_e64 v18, v18, v19, s6
	v_and_b32_e32 v16, 0xff, v16
	v_lshlrev_b16 v24, 8, v5
	v_and_b32_e32 v25, 0xff, v4
	v_lshlrev_b16 v4, 8, v4
	v_and_b32_e32 v5, 0xff, v5
	v_or_b32_e32 v15, v15, v16
	s_waitcnt lgkmcnt(0)
	v_bfe_i32 v19, v20, 0, 8
	v_or_b32_e32 v16, v25, v24
	v_bfe_i32 v25, v23, 0, 8
	v_or_b32_e32 v4, v5, v4
	v_add_nc_u16 v5, v15, 0x100
	v_cndmask_b32_e64 v10, v10, v13, s5
	v_and_b32_e32 v15, 0xffff, v16
	v_cndmask_b32_e64 v24, v22, v21, s7
	v_and_b32_e32 v4, 0xffff, v4
	v_lshlrev_b32_e32 v16, 16, v5
	v_perm_b32 v5, 0, v5, 0xc0c0001
	; wave barrier
	s_delay_alu instid0(VALU_DEP_3) | instskip(NEXT) | instid1(VALU_DEP_2)
	v_dual_cndmask_b32 v4, v15, v4 :: v_dual_add_nc_u32 v15, 1, v21
	v_lshlrev_b32_e32 v5, 16, v5
	v_cmp_lt_i16_e32 vcc_lo, v25, v19
	v_cndmask_b32_e64 v8, v8, v9, s5
	s_delay_alu instid0(VALU_DEP_4)
	v_or_b32_e32 v4, v4, v16
	v_add_nc_u32_e32 v16, 1, v22
	v_cndmask_b32_e64 v13, v21, v15, s7
	v_add_nc_u32_e32 v15, v0, v3
	v_cndmask_b32_e64 v9, v11, v12, s6
	v_and_or_b32 v5, 0xffff, v4, v5
	v_cndmask_b32_e64 v16, v16, v22, s7
	v_cndmask_b32_e64 v14, v14, v17, s7
	s_delay_alu instid0(VALU_DEP_3) | instskip(NEXT) | instid1(VALU_DEP_3)
	v_cndmask_b32_e64 v4, v4, v5, s0
	v_cmp_ge_i32_e64 s0, v16, v7
	v_add_nc_u32_e32 v7, v0, v18
	s_delay_alu instid0(VALU_DEP_3) | instskip(NEXT) | instid1(VALU_DEP_3)
	v_perm_b32 v5, v4, v4, 0x7050604
	s_or_b32 s0, s0, vcc_lo
	s_delay_alu instid0(VALU_DEP_1) | instskip(NEXT) | instid1(VALU_DEP_1)
	v_cndmask_b32_e64 v4, v4, v5, s2
	v_perm_b32 v5, 0, v4, 0xc0c0001
	s_delay_alu instid0(VALU_DEP_1) | instskip(NEXT) | instid1(VALU_DEP_1)
	v_and_or_b32 v5, 0xffff0000, v4, v5
	v_cndmask_b32_e64 v4, v4, v5, s3
	s_delay_alu instid0(VALU_DEP_1) | instskip(NEXT) | instid1(VALU_DEP_1)
	v_lshrrev_b32_e32 v5, 16, v4
	v_perm_b32 v5, 0, v5, 0xc0c0001
	s_delay_alu instid0(VALU_DEP_1) | instskip(NEXT) | instid1(VALU_DEP_1)
	v_lshlrev_b32_e32 v5, 16, v5
	v_and_or_b32 v5, 0xffff, v4, v5
	s_delay_alu instid0(VALU_DEP_1) | instskip(SKIP_1) | instid1(VALU_DEP_2)
	v_cndmask_b32_e64 v4, v4, v5, s1
	v_cmp_lt_i32_e64 s1, v13, v6
	v_perm_b32 v5, v4, v4, 0x7050604
	s_delay_alu instid0(VALU_DEP_2)
	s_and_b32 vcc_lo, s1, s0
	s_mov_b32 s0, exec_lo
	v_cndmask_b32_e32 v6, v16, v13, vcc_lo
	v_cndmask_b32_e32 v19, v20, v23, vcc_lo
	v_cndmask_b32_e64 v4, v4, v5, s4
	v_add_nc_u32_e32 v5, v0, v10
	v_add_nc_u32_e32 v10, v0, v24
	;; [unrolled: 1-line block ×3, first 2 shown]
	ds_store_b32 v15, v4
	; wave barrier
	ds_load_u8 v4, v5
	ds_load_u8 v5, v7
	;; [unrolled: 1-line block ×4, first 2 shown]
	v_sub_nc_u32_e64 v10, v3, 8 clamp
	v_min_i32_e32 v13, 8, v3
	; wave barrier
	ds_store_b8 v15, v8
	ds_store_b8 v15, v9 offset:1
	ds_store_b8 v15, v14 offset:2
	;; [unrolled: 1-line block ×3, first 2 shown]
	; wave barrier
	v_cmpx_lt_u32_e64 v10, v13
	s_cbranch_execz .LBB53_20
; %bb.17:
	s_mov_b32 s1, 0
	.p2align	6
.LBB53_18:                              ; =>This Inner Loop Header: Depth=1
	v_sub_nc_u32_e32 v8, v13, v10
	s_delay_alu instid0(VALU_DEP_1) | instskip(NEXT) | instid1(VALU_DEP_1)
	v_lshrrev_b32_e32 v9, 31, v8
	v_add_nc_u32_e32 v8, v8, v9
	s_delay_alu instid0(VALU_DEP_1) | instskip(NEXT) | instid1(VALU_DEP_1)
	v_ashrrev_i32_e32 v8, 1, v8
	v_add_nc_u32_e32 v8, v8, v10
	s_delay_alu instid0(VALU_DEP_1)
	v_add_nc_u32_e32 v9, v0, v8
	v_xad_u32 v11, v8, -1, v2
	v_add_nc_u32_e32 v12, 1, v8
	ds_load_i8 v9, v9
	ds_load_i8 v11, v11 offset:8
	s_waitcnt lgkmcnt(0)
	v_cmp_lt_i16_e32 vcc_lo, v11, v9
	v_dual_cndmask_b32 v13, v13, v8 :: v_dual_cndmask_b32 v10, v12, v10
	s_delay_alu instid0(VALU_DEP_1) | instskip(SKIP_1) | instid1(SALU_CYCLE_1)
	v_cmp_ge_i32_e32 vcc_lo, v10, v13
	s_or_b32 s1, vcc_lo, s1
	s_and_not1_b32 exec_lo, exec_lo, s1
	s_cbranch_execnz .LBB53_18
; %bb.19:
	s_or_b32 exec_lo, exec_lo, s1
.LBB53_20:
	s_delay_alu instid0(SALU_CYCLE_1) | instskip(SKIP_3) | instid1(VALU_DEP_3)
	s_or_b32 exec_lo, exec_lo, s0
	v_sub_nc_u32_e32 v9, v3, v10
	v_add_nc_u32_e32 v11, v0, v10
	v_cmp_lt_i32_e32 vcc_lo, 7, v10
	v_add_nc_u32_e32 v13, v0, v9
	v_add_nc_u32_e32 v12, 8, v9
                                        ; implicit-def: $vgpr9
	ds_load_u8 v3, v11
	ds_load_u8 v8, v13 offset:8
	v_cmp_gt_i32_e64 s1, 16, v12
	s_waitcnt lgkmcnt(1)
	v_bfe_i32 v3, v3, 0, 8
	s_waitcnt lgkmcnt(0)
	v_bfe_i32 v8, v8, 0, 8
	s_delay_alu instid0(VALU_DEP_1) | instskip(NEXT) | instid1(VALU_DEP_1)
	v_cmp_lt_i16_e64 s0, v8, v3
	s_or_b32 s0, vcc_lo, s0
	s_delay_alu instid0(SALU_CYCLE_1) | instskip(NEXT) | instid1(SALU_CYCLE_1)
	s_and_b32 vcc_lo, s1, s0
	s_xor_b32 s0, vcc_lo, -1
	s_delay_alu instid0(SALU_CYCLE_1) | instskip(NEXT) | instid1(SALU_CYCLE_1)
	s_and_saveexec_b32 s1, s0
	s_xor_b32 s0, exec_lo, s1
	s_cbranch_execz .LBB53_22
; %bb.21:
	ds_load_u8 v9, v11 offset:1
                                        ; implicit-def: $vgpr13
.LBB53_22:
	s_or_saveexec_b32 s0, s0
	v_mov_b32_e32 v11, v8
	s_xor_b32 exec_lo, exec_lo, s0
	s_cbranch_execz .LBB53_24
; %bb.23:
	ds_load_u8 v11, v13 offset:9
	s_waitcnt lgkmcnt(1)
	v_mov_b32_e32 v9, v3
.LBB53_24:
	s_or_b32 exec_lo, exec_lo, s0
	v_add_nc_u32_e32 v13, 1, v10
	v_add_nc_u32_e32 v14, 1, v12
	s_waitcnt lgkmcnt(0)
	v_bfe_i32 v15, v9, 0, 8
	v_bfe_i32 v16, v11, 0, 8
	v_cndmask_b32_e32 v13, v13, v10, vcc_lo
	v_cndmask_b32_e32 v14, v12, v14, vcc_lo
	s_delay_alu instid0(VALU_DEP_3) | instskip(NEXT) | instid1(VALU_DEP_3)
	v_cmp_lt_i16_e64 s1, v16, v15
                                        ; implicit-def: $vgpr16
	v_cmp_lt_i32_e64 s0, 7, v13
	s_delay_alu instid0(VALU_DEP_3) | instskip(NEXT) | instid1(VALU_DEP_2)
	v_cmp_gt_i32_e64 s2, 16, v14
	s_or_b32 s0, s0, s1
	s_delay_alu instid0(VALU_DEP_1) | instid1(SALU_CYCLE_1)
	s_and_b32 s0, s2, s0
	s_delay_alu instid0(SALU_CYCLE_1) | instskip(NEXT) | instid1(SALU_CYCLE_1)
	s_xor_b32 s1, s0, -1
	s_and_saveexec_b32 s2, s1
	s_delay_alu instid0(SALU_CYCLE_1)
	s_xor_b32 s1, exec_lo, s2
	s_cbranch_execz .LBB53_26
; %bb.25:
	v_add_nc_u32_e32 v15, v0, v13
	ds_load_u8 v16, v15 offset:1
.LBB53_26:
	s_or_saveexec_b32 s1, s1
	v_mov_b32_e32 v15, v11
	s_xor_b32 exec_lo, exec_lo, s1
	s_cbranch_execz .LBB53_28
; %bb.27:
	s_waitcnt lgkmcnt(0)
	v_dual_mov_b32 v16, v9 :: v_dual_add_nc_u32 v15, v0, v14
	ds_load_u8 v15, v15 offset:1
.LBB53_28:
	s_or_b32 exec_lo, exec_lo, s1
	v_add_nc_u32_e32 v17, 1, v13
	v_add_nc_u32_e32 v18, 1, v14
	s_waitcnt lgkmcnt(0)
	v_bfe_i32 v19, v16, 0, 8
	v_bfe_i32 v20, v15, 0, 8
	v_cndmask_b32_e64 v22, v17, v13, s0
	v_cndmask_b32_e64 v17, v14, v18, s0
	s_delay_alu instid0(VALU_DEP_3) | instskip(NEXT) | instid1(VALU_DEP_3)
	v_cmp_ge_i16_e64 s2, v20, v19
                                        ; implicit-def: $vgpr20
                                        ; implicit-def: $vgpr19
	v_cmp_gt_i32_e64 s1, 8, v22
	s_delay_alu instid0(VALU_DEP_3) | instskip(NEXT) | instid1(VALU_DEP_2)
	v_cmp_lt_i32_e64 s3, 15, v17
	s_and_b32 s1, s1, s2
	s_delay_alu instid0(VALU_DEP_1) | instid1(SALU_CYCLE_1)
	s_or_b32 s1, s3, s1
	s_delay_alu instid0(SALU_CYCLE_1) | instskip(NEXT) | instid1(SALU_CYCLE_1)
	s_and_saveexec_b32 s2, s1
	s_xor_b32 s1, exec_lo, s2
	s_cbranch_execz .LBB53_30
; %bb.29:
	v_add_nc_u32_e32 v18, v0, v22
	v_add_nc_u32_e32 v19, 1, v22
	ds_load_u8 v20, v18 offset:1
.LBB53_30:
	s_or_saveexec_b32 s1, s1
	v_dual_mov_b32 v18, v16 :: v_dual_mov_b32 v21, v22
	s_xor_b32 exec_lo, exec_lo, s1
	s_cbranch_execz .LBB53_32
; %bb.31:
	v_dual_mov_b32 v21, v17 :: v_dual_add_nc_u32 v18, v0, v17
	s_waitcnt lgkmcnt(0)
	v_dual_mov_b32 v19, v22 :: v_dual_add_nc_u32 v20, 1, v17
	ds_load_u8 v23, v18 offset:1
	v_dual_mov_b32 v18, v15 :: v_dual_mov_b32 v17, v20
	s_waitcnt lgkmcnt(0)
	v_dual_mov_b32 v20, v16 :: v_dual_mov_b32 v15, v23
.LBB53_32:
	s_or_b32 exec_lo, exec_lo, s1
	s_waitcnt lgkmcnt(0)
	s_delay_alu instid0(VALU_DEP_1) | instskip(NEXT) | instid1(VALU_DEP_2)
	v_bfe_i32 v16, v20, 0, 8
	v_bfe_i32 v22, v15, 0, 8
	v_cmp_lt_i32_e64 s1, 7, v19
	v_cmp_gt_i32_e64 s3, 16, v17
	v_cndmask_b32_e64 v13, v13, v14, s0
	s_delay_alu instid0(VALU_DEP_4)
	v_cmp_lt_i16_e64 s2, v22, v16
	; wave barrier
	ds_store_b8 v2, v4
	ds_store_b8 v2, v5 offset:1
	ds_store_b8 v2, v6 offset:2
	;; [unrolled: 1-line block ×3, first 2 shown]
	v_dual_cndmask_b32 v3, v3, v8 :: v_dual_add_nc_u32 v2, v0, v13
	s_or_b32 s1, s1, s2
	s_delay_alu instid0(SALU_CYCLE_1) | instskip(NEXT) | instid1(SALU_CYCLE_1)
	s_and_b32 s1, s3, s1
	; wave barrier
	v_cndmask_b32_e64 v14, v19, v17, s1
	v_cndmask_b32_e32 v10, v10, v12, vcc_lo
	v_cndmask_b32_e64 v12, v20, v15, s1
	v_cndmask_b32_e64 v6, v9, v11, s0
	s_add_u32 s0, s10, s12
	v_add_nc_u32_e32 v5, v0, v14
	v_add_nc_u32_e32 v4, v0, v10
	;; [unrolled: 1-line block ×3, first 2 shown]
	ds_load_u8 v2, v2
	ds_load_u8 v4, v4
	;; [unrolled: 1-line block ×4, first 2 shown]
	s_addc_u32 s1, s11, 0
	s_waitcnt lgkmcnt(3)
	v_add_nc_u16 v2, v2, v6
	s_waitcnt lgkmcnt(2)
	v_add_nc_u16 v3, v4, v3
	;; [unrolled: 2-line block ×4, first 2 shown]
	v_lshlrev_b16 v2, 8, v2
	v_and_b32_e32 v3, 0xff, v3
	v_lshlrev_b16 v4, 8, v4
	s_delay_alu instid0(VALU_DEP_4) | instskip(NEXT) | instid1(VALU_DEP_3)
	v_and_b32_e32 v0, 0xff, v0
	v_or_b32_e32 v2, v3, v2
	s_delay_alu instid0(VALU_DEP_2) | instskip(NEXT) | instid1(VALU_DEP_2)
	v_or_b32_e32 v0, v0, v4
	v_and_b32_e32 v2, 0xffff, v2
	s_delay_alu instid0(VALU_DEP_2) | instskip(SKIP_1) | instid1(VALU_DEP_1)
	v_lshlrev_b32_e32 v3, 16, v0
	v_add_co_u32 v0, s0, s0, v1
	v_add_co_ci_u32_e64 v1, null, s1, 0, s0
	s_delay_alu instid0(VALU_DEP_3)
	v_or_b32_e32 v2, v2, v3
	global_store_b32 v[0:1], v2, off
	s_nop 0
	s_sendmsg sendmsg(MSG_DEALLOC_VGPRS)
	s_endpgm
	.section	.rodata,"a",@progbits
	.p2align	6, 0x0
	.amdhsa_kernel _Z10sort_pairsILj256ELj4ELj4EaN10test_utils4lessEEvPKT2_PS2_T3_
		.amdhsa_group_segment_fixed_size 1088
		.amdhsa_private_segment_fixed_size 0
		.amdhsa_kernarg_size 20
		.amdhsa_user_sgpr_count 15
		.amdhsa_user_sgpr_dispatch_ptr 0
		.amdhsa_user_sgpr_queue_ptr 0
		.amdhsa_user_sgpr_kernarg_segment_ptr 1
		.amdhsa_user_sgpr_dispatch_id 0
		.amdhsa_user_sgpr_private_segment_size 0
		.amdhsa_wavefront_size32 1
		.amdhsa_uses_dynamic_stack 0
		.amdhsa_enable_private_segment 0
		.amdhsa_system_sgpr_workgroup_id_x 1
		.amdhsa_system_sgpr_workgroup_id_y 0
		.amdhsa_system_sgpr_workgroup_id_z 0
		.amdhsa_system_sgpr_workgroup_info 0
		.amdhsa_system_vgpr_workitem_id 0
		.amdhsa_next_free_vgpr 26
		.amdhsa_next_free_sgpr 16
		.amdhsa_reserve_vcc 1
		.amdhsa_float_round_mode_32 0
		.amdhsa_float_round_mode_16_64 0
		.amdhsa_float_denorm_mode_32 3
		.amdhsa_float_denorm_mode_16_64 3
		.amdhsa_dx10_clamp 1
		.amdhsa_ieee_mode 1
		.amdhsa_fp16_overflow 0
		.amdhsa_workgroup_processor_mode 1
		.amdhsa_memory_ordered 1
		.amdhsa_forward_progress 0
		.amdhsa_shared_vgpr_count 0
		.amdhsa_exception_fp_ieee_invalid_op 0
		.amdhsa_exception_fp_denorm_src 0
		.amdhsa_exception_fp_ieee_div_zero 0
		.amdhsa_exception_fp_ieee_overflow 0
		.amdhsa_exception_fp_ieee_underflow 0
		.amdhsa_exception_fp_ieee_inexact 0
		.amdhsa_exception_int_div_zero 0
	.end_amdhsa_kernel
	.section	.text._Z10sort_pairsILj256ELj4ELj4EaN10test_utils4lessEEvPKT2_PS2_T3_,"axG",@progbits,_Z10sort_pairsILj256ELj4ELj4EaN10test_utils4lessEEvPKT2_PS2_T3_,comdat
.Lfunc_end53:
	.size	_Z10sort_pairsILj256ELj4ELj4EaN10test_utils4lessEEvPKT2_PS2_T3_, .Lfunc_end53-_Z10sort_pairsILj256ELj4ELj4EaN10test_utils4lessEEvPKT2_PS2_T3_
                                        ; -- End function
	.section	.AMDGPU.csdata,"",@progbits
; Kernel info:
; codeLenInByte = 2868
; NumSgprs: 18
; NumVgprs: 26
; ScratchSize: 0
; MemoryBound: 0
; FloatMode: 240
; IeeeMode: 1
; LDSByteSize: 1088 bytes/workgroup (compile time only)
; SGPRBlocks: 2
; VGPRBlocks: 3
; NumSGPRsForWavesPerEU: 18
; NumVGPRsForWavesPerEU: 26
; Occupancy: 16
; WaveLimiterHint : 0
; COMPUTE_PGM_RSRC2:SCRATCH_EN: 0
; COMPUTE_PGM_RSRC2:USER_SGPR: 15
; COMPUTE_PGM_RSRC2:TRAP_HANDLER: 0
; COMPUTE_PGM_RSRC2:TGID_X_EN: 1
; COMPUTE_PGM_RSRC2:TGID_Y_EN: 0
; COMPUTE_PGM_RSRC2:TGID_Z_EN: 0
; COMPUTE_PGM_RSRC2:TIDIG_COMP_CNT: 0
	.section	.text._Z19sort_keys_segmentedILj256ELj4ELj4EaN10test_utils4lessEEvPKT2_PS2_PKjT3_,"axG",@progbits,_Z19sort_keys_segmentedILj256ELj4ELj4EaN10test_utils4lessEEvPKT2_PS2_PKjT3_,comdat
	.protected	_Z19sort_keys_segmentedILj256ELj4ELj4EaN10test_utils4lessEEvPKT2_PS2_PKjT3_ ; -- Begin function _Z19sort_keys_segmentedILj256ELj4ELj4EaN10test_utils4lessEEvPKT2_PS2_PKjT3_
	.globl	_Z19sort_keys_segmentedILj256ELj4ELj4EaN10test_utils4lessEEvPKT2_PS2_PKjT3_
	.p2align	8
	.type	_Z19sort_keys_segmentedILj256ELj4ELj4EaN10test_utils4lessEEvPKT2_PS2_PKjT3_,@function
_Z19sort_keys_segmentedILj256ELj4ELj4EaN10test_utils4lessEEvPKT2_PS2_PKjT3_: ; @_Z19sort_keys_segmentedILj256ELj4ELj4EaN10test_utils4lessEEvPKT2_PS2_PKjT3_
; %bb.0:
	s_clause 0x1
	s_load_b64 s[2:3], s[0:1], 0x10
	s_load_b128 s[8:11], s[0:1], 0x0
	v_lshrrev_b32_e32 v5, 2, v0
	v_mov_b32_e32 v1, 0
                                        ; implicit-def: $vgpr8
	s_delay_alu instid0(VALU_DEP_2) | instskip(NEXT) | instid1(VALU_DEP_1)
	v_lshl_or_b32 v0, s15, 6, v5
	v_lshlrev_b64 v[1:2], 2, v[0:1]
	v_lshlrev_b32_e32 v3, 4, v0
	s_waitcnt lgkmcnt(0)
	s_delay_alu instid0(VALU_DEP_2) | instskip(NEXT) | instid1(VALU_DEP_3)
	v_add_co_u32 v1, vcc_lo, s2, v1
	v_add_co_ci_u32_e32 v2, vcc_lo, s3, v2, vcc_lo
	s_delay_alu instid0(VALU_DEP_3) | instskip(SKIP_2) | instid1(VALU_DEP_1)
	v_add_co_u32 v0, s0, s8, v3
	global_load_b32 v4, v[1:2], off
	v_mbcnt_lo_u32_b32 v1, -1, 0
	v_lshlrev_b32_e32 v6, 2, v1
	v_add_co_ci_u32_e64 v1, null, s9, 0, s0
	s_delay_alu instid0(VALU_DEP_2) | instskip(NEXT) | instid1(VALU_DEP_1)
	v_and_b32_e32 v2, 12, v6
	v_add_co_u32 v0, vcc_lo, v0, v2
	s_delay_alu instid0(VALU_DEP_3)
	v_add_co_ci_u32_e32 v1, vcc_lo, 0, v1, vcc_lo
	s_waitcnt vmcnt(0)
	v_cmp_lt_u32_e32 vcc_lo, v2, v4
	s_and_saveexec_b32 s0, vcc_lo
	s_cbranch_execz .LBB54_2
; %bb.1:
	global_load_u8 v8, v[0:1], off
.LBB54_2:
	s_or_b32 exec_lo, exec_lo, s0
	v_or_b32_e32 v7, 1, v2
                                        ; implicit-def: $vgpr10
	s_delay_alu instid0(VALU_DEP_1) | instskip(NEXT) | instid1(VALU_DEP_1)
	v_cmp_lt_u32_e64 s0, v7, v4
	s_and_saveexec_b32 s1, s0
	s_cbranch_execz .LBB54_4
; %bb.3:
	global_load_u8 v10, v[0:1], off offset:1
.LBB54_4:
	s_or_b32 exec_lo, exec_lo, s1
	v_or_b32_e32 v9, 2, v2
                                        ; implicit-def: $vgpr12
	s_delay_alu instid0(VALU_DEP_1) | instskip(NEXT) | instid1(VALU_DEP_1)
	v_cmp_lt_u32_e64 s1, v9, v4
	s_and_saveexec_b32 s2, s1
	s_cbranch_execz .LBB54_6
; %bb.5:
	global_load_u8 v12, v[0:1], off offset:2
.LBB54_6:
	s_or_b32 exec_lo, exec_lo, s2
	v_or_b32_e32 v11, 3, v2
                                        ; implicit-def: $vgpr13
	s_delay_alu instid0(VALU_DEP_1) | instskip(NEXT) | instid1(VALU_DEP_1)
	v_cmp_lt_u32_e64 s2, v11, v4
	s_and_saveexec_b32 s3, s2
	s_cbranch_execz .LBB54_8
; %bb.7:
	global_load_u8 v13, v[0:1], off offset:3
.LBB54_8:
	s_or_b32 exec_lo, exec_lo, s3
	s_waitcnt vmcnt(0)
	v_and_b32_e32 v0, 0xff, v8
	v_lshlrev_b16 v1, 8, v10
	v_and_b32_e32 v8, 0xff, v12
	v_lshlrev_b16 v10, 8, v13
	v_cmp_lt_i32_e64 s3, v7, v4
	s_mov_b32 s5, exec_lo
	v_or_b32_e32 v1, v0, v1
	v_or_b32_e32 v0, 0x7f00, v0
	;; [unrolled: 1-line block ×3, first 2 shown]
	s_delay_alu instid0(VALU_DEP_3) | instskip(NEXT) | instid1(VALU_DEP_3)
	v_and_b32_e32 v1, 0xffff, v1
	v_and_b32_e32 v0, 0xffff, v0
	s_delay_alu instid0(VALU_DEP_3) | instskip(NEXT) | instid1(VALU_DEP_1)
	v_lshlrev_b32_e32 v8, 16, v8
	v_or_b32_e32 v1, v1, v8
	s_delay_alu instid0(VALU_DEP_3) | instskip(NEXT) | instid1(VALU_DEP_1)
	v_or_b32_e32 v0, v0, v8
	v_cndmask_b32_e64 v0, v0, v1, s3
	v_cmp_lt_i32_e64 s3, v9, v4
	s_delay_alu instid0(VALU_DEP_2) | instskip(NEXT) | instid1(VALU_DEP_1)
	v_lshrrev_b32_e32 v7, 16, v0
	v_and_b32_e32 v7, 0xffffff00, v7
	s_delay_alu instid0(VALU_DEP_1) | instskip(NEXT) | instid1(VALU_DEP_1)
	v_or_b32_e32 v7, 0x7f, v7
	v_lshlrev_b32_e32 v7, 16, v7
	s_delay_alu instid0(VALU_DEP_1) | instskip(NEXT) | instid1(VALU_DEP_1)
	v_and_or_b32 v0, 0xffff, v0, v7
	v_cndmask_b32_e64 v0, v0, v1, s3
	v_cmp_lt_i32_e64 s3, v11, v4
	s_delay_alu instid0(VALU_DEP_2) | instskip(NEXT) | instid1(VALU_DEP_1)
	v_lshrrev_b32_e32 v7, 16, v0
	v_and_b32_e32 v7, 0xff, v7
	s_delay_alu instid0(VALU_DEP_1) | instskip(NEXT) | instid1(VALU_DEP_1)
	v_or_b32_e32 v7, 0x7f00, v7
	v_lshlrev_b32_e32 v7, 16, v7
	s_delay_alu instid0(VALU_DEP_1) | instskip(NEXT) | instid1(VALU_DEP_1)
	v_and_or_b32 v0, 0xffff, v0, v7
	v_cndmask_b32_e64 v10, v0, v1, s3
	v_cmpx_lt_i32_e64 v2, v4
	s_cbranch_execz .LBB54_10
; %bb.9:
	s_delay_alu instid0(VALU_DEP_2) | instskip(SKIP_2) | instid1(VALU_DEP_3)
	v_lshrrev_b32_e32 v0, 8, v10
	v_bfe_i32 v1, v10, 0, 8
	v_perm_b32 v7, v10, v10, 0x7060405
	v_bfe_i32 v0, v0, 0, 8
	s_delay_alu instid0(VALU_DEP_1) | instskip(NEXT) | instid1(VALU_DEP_1)
	v_cmp_lt_i16_e64 s3, v0, v1
	v_cndmask_b32_e64 v7, v10, v7, s3
	s_delay_alu instid0(VALU_DEP_1) | instskip(SKIP_1) | instid1(VALU_DEP_2)
	v_lshrrev_b32_e32 v8, 16, v7
	v_lshrrev_b32_e32 v10, 24, v7
	v_perm_b32 v9, 0, v8, 0xc0c0001
	s_delay_alu instid0(VALU_DEP_2) | instskip(SKIP_1) | instid1(VALU_DEP_3)
	v_bfe_i32 v10, v10, 0, 8
	v_bfe_i32 v8, v8, 0, 8
	v_lshlrev_b32_e32 v9, 16, v9
	s_delay_alu instid0(VALU_DEP_2) | instskip(SKIP_2) | instid1(VALU_DEP_4)
	v_cmp_lt_i16_e64 s3, v10, v8
	v_min_i16 v11, v10, v8
	v_max_i16 v8, v10, v8
	v_and_or_b32 v9, 0xffff, v7, v9
	s_delay_alu instid0(VALU_DEP_3) | instskip(NEXT) | instid1(VALU_DEP_2)
	v_lshlrev_b16 v14, 8, v11
	v_cndmask_b32_e64 v7, v7, v9, s3
	v_max_i16 v9, v0, v1
	v_min_i16 v0, v0, v1
	s_delay_alu instid0(VALU_DEP_3) | instskip(NEXT) | instid1(VALU_DEP_3)
	v_lshrrev_b32_e32 v12, 16, v7
	v_and_b32_e32 v13, 0xff, v9
	v_and_b32_e32 v15, 0xff, v7
	v_min_i16 v1, v11, v9
	v_max_i16 v10, v11, v9
	v_and_b32_e32 v12, 0xffffff00, v12
	v_cmp_lt_i16_e64 s3, v11, v9
	v_or_b32_e32 v14, v15, v14
	v_and_b32_e32 v15, 0xff, v1
	v_cmp_gt_i16_e64 s4, v9, v8
	v_or_b32_e32 v12, v13, v12
	v_lshlrev_b16 v13, 8, v0
	v_and_b32_e32 v14, 0xffff, v14
	s_delay_alu instid0(VALU_DEP_3) | instskip(NEXT) | instid1(VALU_DEP_3)
	v_lshlrev_b32_e32 v12, 16, v12
	v_or_b32_e32 v13, v15, v13
	v_lshlrev_b16 v15, 8, v10
	s_delay_alu instid0(VALU_DEP_3) | instskip(SKIP_1) | instid1(VALU_DEP_4)
	v_or_b32_e32 v12, v14, v12
	v_and_b32_e32 v14, 0xff, v8
	v_and_b32_e32 v13, 0xffff, v13
	v_cndmask_b32_e64 v8, v10, v8, s4
	s_delay_alu instid0(VALU_DEP_4) | instskip(NEXT) | instid1(VALU_DEP_4)
	v_cndmask_b32_e64 v7, v7, v12, s3
	v_or_b32_e32 v12, v14, v15
	v_cmp_lt_i16_e64 s3, v11, v0
	s_delay_alu instid0(VALU_DEP_4) | instskip(NEXT) | instid1(VALU_DEP_4)
	v_lshlrev_b16 v10, 8, v8
	v_and_or_b32 v13, 0xffff0000, v7, v13
	s_delay_alu instid0(VALU_DEP_4) | instskip(NEXT) | instid1(VALU_DEP_4)
	v_lshlrev_b32_e32 v12, 16, v12
	v_cndmask_b32_e64 v0, v1, v0, s3
	s_delay_alu instid0(VALU_DEP_3) | instskip(NEXT) | instid1(VALU_DEP_2)
	v_cndmask_b32_e64 v7, v7, v13, s3
	v_cmp_lt_i16_e64 s3, v8, v0
	s_delay_alu instid0(VALU_DEP_2) | instskip(NEXT) | instid1(VALU_DEP_1)
	v_and_or_b32 v11, 0xffff, v7, v12
	v_cndmask_b32_e64 v7, v7, v11, s4
	v_and_b32_e32 v11, 0xff, v0
	s_delay_alu instid0(VALU_DEP_2) | instskip(SKIP_1) | instid1(VALU_DEP_2)
	v_lshrrev_b32_e32 v9, 16, v7
	v_and_b32_e32 v1, 0xff, v7
	v_and_b32_e32 v9, 0xffffff00, v9
	s_delay_alu instid0(VALU_DEP_2) | instskip(NEXT) | instid1(VALU_DEP_2)
	v_or_b32_e32 v1, v1, v10
	v_or_b32_e32 v9, v11, v9
	s_delay_alu instid0(VALU_DEP_2) | instskip(NEXT) | instid1(VALU_DEP_2)
	v_and_b32_e32 v1, 0xffff, v1
	v_lshlrev_b32_e32 v9, 16, v9
	s_delay_alu instid0(VALU_DEP_1) | instskip(NEXT) | instid1(VALU_DEP_1)
	v_or_b32_e32 v1, v1, v9
	v_cndmask_b32_e64 v10, v7, v1, s3
.LBB54_10:
	s_or_b32 exec_lo, exec_lo, s5
	v_and_b32_e32 v0, 8, v6
	v_and_b32_e32 v6, 4, v6
	v_mad_u32_u24 v12, v5, 17, v2
	s_mov_b32 s5, 0
	s_mov_b32 s4, exec_lo
	v_min_i32_e32 v8, v4, v0
	v_min_i32_e32 v6, v4, v6
	; wave barrier
	ds_store_b32 v12, v10
	v_add_nc_u32_e32 v0, 4, v8
	; wave barrier
	s_delay_alu instid0(VALU_DEP_1) | instskip(NEXT) | instid1(VALU_DEP_1)
	v_min_i32_e32 v1, v4, v0
	v_add_nc_u32_e32 v0, 4, v1
	v_sub_nc_u32_e32 v11, v1, v8
	s_delay_alu instid0(VALU_DEP_2) | instskip(NEXT) | instid1(VALU_DEP_2)
	v_min_i32_e32 v7, v4, v0
	v_min_i32_e32 v11, v6, v11
	s_delay_alu instid0(VALU_DEP_2) | instskip(NEXT) | instid1(VALU_DEP_1)
	v_sub_nc_u32_e32 v0, v7, v1
	v_sub_nc_u32_e32 v9, v6, v0
	v_cmp_ge_i32_e64 s3, v6, v0
	v_mul_u32_u24_e32 v0, 17, v5
	s_delay_alu instid0(VALU_DEP_2) | instskip(NEXT) | instid1(VALU_DEP_1)
	v_cndmask_b32_e64 v9, 0, v9, s3
	v_cmpx_lt_i32_e64 v9, v11
	s_cbranch_execz .LBB54_14
; %bb.11:
	s_delay_alu instid0(VALU_DEP_3)
	v_add_nc_u32_e32 v5, v0, v8
	v_add3_u32 v10, v0, v1, v6
	.p2align	6
.LBB54_12:                              ; =>This Inner Loop Header: Depth=1
	v_sub_nc_u32_e32 v12, v11, v9
	s_delay_alu instid0(VALU_DEP_1) | instskip(NEXT) | instid1(VALU_DEP_1)
	v_lshrrev_b32_e32 v13, 31, v12
	v_add_nc_u32_e32 v12, v12, v13
	s_delay_alu instid0(VALU_DEP_1) | instskip(NEXT) | instid1(VALU_DEP_1)
	v_ashrrev_i32_e32 v12, 1, v12
	v_add_nc_u32_e32 v12, v12, v9
	s_delay_alu instid0(VALU_DEP_1)
	v_add_nc_u32_e32 v13, v5, v12
	v_xad_u32 v14, v12, -1, v10
	v_add_nc_u32_e32 v15, 1, v12
	ds_load_i8 v13, v13
	ds_load_i8 v14, v14
	s_waitcnt lgkmcnt(0)
	v_cmp_lt_i16_e64 s3, v14, v13
	s_delay_alu instid0(VALU_DEP_1) | instskip(SKIP_1) | instid1(VALU_DEP_1)
	v_cndmask_b32_e64 v11, v11, v12, s3
	v_cndmask_b32_e64 v9, v15, v9, s3
	v_cmp_ge_i32_e64 s3, v9, v11
	s_delay_alu instid0(VALU_DEP_1) | instskip(NEXT) | instid1(SALU_CYCLE_1)
	s_or_b32 s5, s3, s5
	s_and_not1_b32 exec_lo, exec_lo, s5
	s_cbranch_execnz .LBB54_12
; %bb.13:
	s_or_b32 exec_lo, exec_lo, s5
.LBB54_14:
	s_delay_alu instid0(SALU_CYCLE_1) | instskip(SKIP_2) | instid1(VALU_DEP_2)
	s_or_b32 exec_lo, exec_lo, s4
	v_add_nc_u32_e32 v5, v1, v6
	v_add_nc_u32_e32 v11, v9, v8
	v_sub_nc_u32_e32 v5, v5, v9
	s_delay_alu instid0(VALU_DEP_2) | instskip(SKIP_1) | instid1(VALU_DEP_3)
	v_add_nc_u32_e32 v10, v0, v11
	v_cmp_le_i32_e64 s3, v1, v11
                                        ; implicit-def: $vgpr9
	v_add_nc_u32_e32 v12, v0, v5
	v_cmp_gt_i32_e64 s5, v7, v5
	ds_load_u8 v6, v10
	ds_load_u8 v8, v12
	s_waitcnt lgkmcnt(1)
	v_bfe_i32 v6, v6, 0, 8
	s_waitcnt lgkmcnt(0)
	v_bfe_i32 v8, v8, 0, 8
	s_delay_alu instid0(VALU_DEP_1) | instskip(NEXT) | instid1(VALU_DEP_1)
	v_cmp_lt_i16_e64 s4, v8, v6
	s_or_b32 s3, s3, s4
	s_delay_alu instid0(SALU_CYCLE_1) | instskip(NEXT) | instid1(SALU_CYCLE_1)
	s_and_b32 s3, s5, s3
	s_xor_b32 s4, s3, -1
	s_delay_alu instid0(SALU_CYCLE_1) | instskip(NEXT) | instid1(SALU_CYCLE_1)
	s_and_saveexec_b32 s5, s4
	s_xor_b32 s4, exec_lo, s5
	s_cbranch_execz .LBB54_16
; %bb.15:
	ds_load_u8 v9, v10 offset:1
                                        ; implicit-def: $vgpr12
.LBB54_16:
	s_or_saveexec_b32 s4, s4
	v_mov_b32_e32 v10, v8
	s_xor_b32 exec_lo, exec_lo, s4
	s_cbranch_execz .LBB54_18
; %bb.17:
	ds_load_u8 v10, v12 offset:1
	s_waitcnt lgkmcnt(1)
	v_mov_b32_e32 v9, v6
.LBB54_18:
	s_or_b32 exec_lo, exec_lo, s4
	v_add_nc_u32_e32 v12, 1, v11
	v_add_nc_u32_e32 v13, 1, v5
	s_waitcnt lgkmcnt(0)
	v_bfe_i32 v14, v9, 0, 8
	s_delay_alu instid0(VALU_DEP_3) | instskip(SKIP_2) | instid1(VALU_DEP_3)
	v_cndmask_b32_e64 v12, v12, v11, s3
	v_bfe_i32 v11, v10, 0, 8
	v_cndmask_b32_e64 v5, v5, v13, s3
	v_cmp_ge_i32_e64 s4, v12, v1
	s_delay_alu instid0(VALU_DEP_3) | instskip(NEXT) | instid1(VALU_DEP_3)
	v_cmp_lt_i16_e64 s5, v11, v14
	v_cmp_lt_i32_e64 s6, v5, v7
                                        ; implicit-def: $vgpr11
	s_delay_alu instid0(VALU_DEP_2)
	s_or_b32 s4, s4, s5
	s_delay_alu instid0(VALU_DEP_1) | instid1(SALU_CYCLE_1)
	s_and_b32 s4, s6, s4
	s_delay_alu instid0(SALU_CYCLE_1) | instskip(NEXT) | instid1(SALU_CYCLE_1)
	s_xor_b32 s5, s4, -1
	s_and_saveexec_b32 s6, s5
	s_delay_alu instid0(SALU_CYCLE_1)
	s_xor_b32 s5, exec_lo, s6
	s_cbranch_execz .LBB54_20
; %bb.19:
	v_add_nc_u32_e32 v11, v0, v12
	ds_load_u8 v11, v11 offset:1
.LBB54_20:
	s_or_saveexec_b32 s5, s5
	v_mov_b32_e32 v13, v10
	s_xor_b32 exec_lo, exec_lo, s5
	s_cbranch_execz .LBB54_22
; %bb.21:
	s_waitcnt lgkmcnt(0)
	v_add_nc_u32_e32 v11, v0, v5
	ds_load_u8 v13, v11 offset:1
	v_mov_b32_e32 v11, v9
.LBB54_22:
	s_or_b32 exec_lo, exec_lo, s5
	v_add_nc_u32_e32 v14, 1, v12
	v_add_nc_u32_e32 v15, 1, v5
	s_waitcnt lgkmcnt(0)
	v_bfe_i32 v17, v11, 0, 8
	s_delay_alu instid0(VALU_DEP_3) | instskip(SKIP_2) | instid1(VALU_DEP_3)
	v_cndmask_b32_e64 v14, v14, v12, s4
	v_bfe_i32 v12, v13, 0, 8
	v_cndmask_b32_e64 v16, v5, v15, s4
                                        ; implicit-def: $vgpr15
	v_cmp_ge_i32_e64 s5, v14, v1
	s_delay_alu instid0(VALU_DEP_3) | instskip(NEXT) | instid1(VALU_DEP_3)
	v_cmp_lt_i16_e64 s6, v12, v17
	v_cmp_lt_i32_e64 s7, v16, v7
	s_delay_alu instid0(VALU_DEP_2)
	s_or_b32 s5, s5, s6
	s_delay_alu instid0(VALU_DEP_1) | instid1(SALU_CYCLE_1)
	s_and_b32 s5, s7, s5
	s_delay_alu instid0(SALU_CYCLE_1) | instskip(NEXT) | instid1(SALU_CYCLE_1)
	s_xor_b32 s6, s5, -1
	s_and_saveexec_b32 s7, s6
	s_delay_alu instid0(SALU_CYCLE_1)
	s_xor_b32 s6, exec_lo, s7
	s_cbranch_execz .LBB54_24
; %bb.23:
	v_add_nc_u32_e32 v5, v0, v14
	ds_load_u8 v15, v5 offset:1
.LBB54_24:
	s_or_saveexec_b32 s6, s6
	v_mov_b32_e32 v17, v13
	s_xor_b32 exec_lo, exec_lo, s6
	s_cbranch_execz .LBB54_26
; %bb.25:
	v_add_nc_u32_e32 v5, v0, v16
	s_waitcnt lgkmcnt(0)
	v_mov_b32_e32 v15, v11
	ds_load_u8 v17, v5 offset:1
.LBB54_26:
	s_or_b32 exec_lo, exec_lo, s6
	v_min_i32_e32 v12, 0, v4
	v_add_nc_u32_e32 v19, 1, v14
	v_cndmask_b32_e64 v8, v6, v8, s3
	v_cndmask_b32_e64 v11, v11, v13, s5
	v_add_nc_u32_e32 v13, 1, v16
	v_add_nc_u32_e32 v5, 8, v12
	v_cndmask_b32_e64 v9, v9, v10, s4
	s_waitcnt lgkmcnt(0)
	v_bfe_i32 v10, v15, 0, 8
	v_cndmask_b32_e64 v14, v19, v14, s5
	v_cndmask_b32_e64 v13, v16, v13, s5
	v_min_i32_e32 v5, v4, v5
	v_add_nc_u32_e32 v20, v0, v2
	s_delay_alu instid0(VALU_DEP_4) | instskip(NEXT) | instid1(VALU_DEP_4)
	v_cmp_ge_i32_e64 s4, v14, v1
	v_cmp_lt_i32_e64 s5, v13, v7
	s_delay_alu instid0(VALU_DEP_4) | instskip(SKIP_1) | instid1(VALU_DEP_2)
	v_add_nc_u32_e32 v18, 8, v5
	v_sub_nc_u32_e32 v16, v5, v12
	; wave barrier
	v_min_i32_e32 v6, v4, v18
	v_bfe_i32 v18, v17, 0, 8
	v_min_i32_e32 v4, v4, v2
	s_delay_alu instid0(VALU_DEP_3) | instskip(NEXT) | instid1(VALU_DEP_3)
	v_sub_nc_u32_e32 v21, v6, v5
	v_cmp_lt_i16_e64 s3, v18, v10
	s_delay_alu instid0(VALU_DEP_3) | instskip(NEXT) | instid1(VALU_DEP_3)
	v_min_i32_e32 v7, v4, v16
	v_sub_nc_u32_e32 v10, v4, v21
	v_cmp_ge_i32_e64 s6, v4, v21
	s_delay_alu instid0(VALU_DEP_4)
	s_or_b32 s3, s4, s3
	s_mov_b32 s4, exec_lo
	s_and_b32 s3, s5, s3
	s_mov_b32 s5, 0
	v_cndmask_b32_e64 v1, 0, v10, s6
	v_cndmask_b32_e64 v10, v15, v17, s3
	ds_store_b8 v20, v8
	ds_store_b8 v20, v9 offset:1
	ds_store_b8 v20, v11 offset:2
	ds_store_b8 v20, v10 offset:3
	; wave barrier
	v_cmpx_lt_i32_e64 v1, v7
	s_cbranch_execz .LBB54_30
; %bb.27:
	v_add_nc_u32_e32 v8, v0, v12
	v_add3_u32 v9, v0, v5, v4
	.p2align	6
.LBB54_28:                              ; =>This Inner Loop Header: Depth=1
	v_sub_nc_u32_e32 v10, v7, v1
	s_delay_alu instid0(VALU_DEP_1) | instskip(NEXT) | instid1(VALU_DEP_1)
	v_lshrrev_b32_e32 v11, 31, v10
	v_add_nc_u32_e32 v10, v10, v11
	s_delay_alu instid0(VALU_DEP_1) | instskip(NEXT) | instid1(VALU_DEP_1)
	v_ashrrev_i32_e32 v10, 1, v10
	v_add_nc_u32_e32 v10, v10, v1
	s_delay_alu instid0(VALU_DEP_1)
	v_add_nc_u32_e32 v11, v8, v10
	v_xad_u32 v13, v10, -1, v9
	v_add_nc_u32_e32 v14, 1, v10
	ds_load_i8 v11, v11
	ds_load_i8 v13, v13
	s_waitcnt lgkmcnt(0)
	v_cmp_lt_i16_e64 s3, v13, v11
	s_delay_alu instid0(VALU_DEP_1) | instskip(SKIP_1) | instid1(VALU_DEP_1)
	v_cndmask_b32_e64 v7, v7, v10, s3
	v_cndmask_b32_e64 v1, v14, v1, s3
	v_cmp_ge_i32_e64 s3, v1, v7
	s_delay_alu instid0(VALU_DEP_1) | instskip(NEXT) | instid1(SALU_CYCLE_1)
	s_or_b32 s5, s3, s5
	s_and_not1_b32 exec_lo, exec_lo, s5
	s_cbranch_execnz .LBB54_28
; %bb.29:
	s_or_b32 exec_lo, exec_lo, s5
.LBB54_30:
	s_delay_alu instid0(SALU_CYCLE_1) | instskip(SKIP_2) | instid1(VALU_DEP_2)
	s_or_b32 exec_lo, exec_lo, s4
	v_add_nc_u32_e32 v4, v5, v4
	v_add_nc_u32_e32 v10, v1, v12
                                        ; implicit-def: $vgpr8
	v_sub_nc_u32_e32 v1, v4, v1
	s_delay_alu instid0(VALU_DEP_2) | instskip(SKIP_1) | instid1(VALU_DEP_3)
	v_add_nc_u32_e32 v9, v0, v10
	v_cmp_le_i32_e64 s3, v5, v10
	v_add_nc_u32_e32 v11, v0, v1
	v_cmp_gt_i32_e64 s5, v6, v1
	ds_load_u8 v4, v9
	ds_load_u8 v7, v11
	s_waitcnt lgkmcnt(1)
	v_bfe_i32 v4, v4, 0, 8
	s_waitcnt lgkmcnt(0)
	v_bfe_i32 v7, v7, 0, 8
	s_delay_alu instid0(VALU_DEP_1) | instskip(NEXT) | instid1(VALU_DEP_1)
	v_cmp_lt_i16_e64 s4, v7, v4
	s_or_b32 s3, s3, s4
	s_delay_alu instid0(SALU_CYCLE_1) | instskip(NEXT) | instid1(SALU_CYCLE_1)
	s_and_b32 s3, s5, s3
	s_xor_b32 s4, s3, -1
	s_delay_alu instid0(SALU_CYCLE_1) | instskip(NEXT) | instid1(SALU_CYCLE_1)
	s_and_saveexec_b32 s5, s4
	s_xor_b32 s4, exec_lo, s5
	s_cbranch_execz .LBB54_32
; %bb.31:
	ds_load_u8 v8, v9 offset:1
                                        ; implicit-def: $vgpr11
.LBB54_32:
	s_or_saveexec_b32 s4, s4
	v_mov_b32_e32 v9, v7
	s_xor_b32 exec_lo, exec_lo, s4
	s_cbranch_execz .LBB54_34
; %bb.33:
	ds_load_u8 v9, v11 offset:1
	s_waitcnt lgkmcnt(1)
	v_mov_b32_e32 v8, v4
.LBB54_34:
	s_or_b32 exec_lo, exec_lo, s4
	v_add_nc_u32_e32 v11, 1, v10
	v_add_nc_u32_e32 v13, 1, v1
	s_waitcnt lgkmcnt(0)
	v_bfe_i32 v14, v8, 0, 8
	s_delay_alu instid0(VALU_DEP_3) | instskip(SKIP_2) | instid1(VALU_DEP_3)
	v_cndmask_b32_e64 v12, v11, v10, s3
	v_bfe_i32 v10, v9, 0, 8
	v_cndmask_b32_e64 v1, v1, v13, s3
	v_cmp_ge_i32_e64 s4, v12, v5
	s_delay_alu instid0(VALU_DEP_3) | instskip(NEXT) | instid1(VALU_DEP_3)
	v_cmp_lt_i16_e64 s5, v10, v14
	v_cmp_lt_i32_e64 s6, v1, v6
                                        ; implicit-def: $vgpr10
	s_delay_alu instid0(VALU_DEP_2)
	s_or_b32 s4, s4, s5
	s_delay_alu instid0(VALU_DEP_1) | instid1(SALU_CYCLE_1)
	s_and_b32 s4, s6, s4
	s_delay_alu instid0(SALU_CYCLE_1) | instskip(NEXT) | instid1(SALU_CYCLE_1)
	s_xor_b32 s5, s4, -1
	s_and_saveexec_b32 s6, s5
	s_delay_alu instid0(SALU_CYCLE_1)
	s_xor_b32 s5, exec_lo, s6
	s_cbranch_execz .LBB54_36
; %bb.35:
	v_add_nc_u32_e32 v10, v0, v12
	ds_load_u8 v10, v10 offset:1
.LBB54_36:
	s_or_saveexec_b32 s5, s5
	v_mov_b32_e32 v11, v9
	s_xor_b32 exec_lo, exec_lo, s5
	s_cbranch_execz .LBB54_38
; %bb.37:
	s_waitcnt lgkmcnt(0)
	v_add_nc_u32_e32 v10, v0, v1
	ds_load_u8 v11, v10 offset:1
	v_mov_b32_e32 v10, v8
.LBB54_38:
	s_or_b32 exec_lo, exec_lo, s5
	v_add_nc_u32_e32 v13, 1, v12
	v_add_nc_u32_e32 v14, 1, v1
	s_waitcnt lgkmcnt(0)
	v_bfe_i32 v15, v10, 0, 8
	s_delay_alu instid0(VALU_DEP_3) | instskip(SKIP_2) | instid1(VALU_DEP_3)
	v_cndmask_b32_e64 v16, v13, v12, s4
	v_bfe_i32 v13, v11, 0, 8
	v_cndmask_b32_e64 v12, v1, v14, s4
                                        ; implicit-def: $vgpr14
	v_cmp_ge_i32_e64 s5, v16, v5
	s_delay_alu instid0(VALU_DEP_3) | instskip(NEXT) | instid1(VALU_DEP_3)
	v_cmp_lt_i16_e64 s6, v13, v15
	v_cmp_lt_i32_e64 s7, v12, v6
                                        ; implicit-def: $vgpr13
	s_delay_alu instid0(VALU_DEP_2)
	s_or_b32 s5, s5, s6
	s_delay_alu instid0(VALU_DEP_1) | instid1(SALU_CYCLE_1)
	s_and_b32 s5, s7, s5
	s_delay_alu instid0(SALU_CYCLE_1) | instskip(NEXT) | instid1(SALU_CYCLE_1)
	s_xor_b32 s6, s5, -1
	s_and_saveexec_b32 s7, s6
	s_delay_alu instid0(SALU_CYCLE_1)
	s_xor_b32 s6, exec_lo, s7
	s_cbranch_execz .LBB54_40
; %bb.39:
	v_add_nc_u32_e32 v0, v0, v16
	v_add_nc_u32_e32 v14, 1, v16
                                        ; implicit-def: $vgpr16
	ds_load_u8 v13, v0 offset:1
                                        ; implicit-def: $vgpr0
.LBB54_40:
	s_or_saveexec_b32 s6, s6
	v_mov_b32_e32 v15, v11
	s_xor_b32 exec_lo, exec_lo, s6
	s_cbranch_execz .LBB54_42
; %bb.41:
	s_waitcnt lgkmcnt(0)
	v_dual_mov_b32 v13, v10 :: v_dual_add_nc_u32 v0, v0, v12
	v_add_nc_u32_e32 v12, 1, v12
	v_mov_b32_e32 v14, v16
	ds_load_u8 v15, v0 offset:1
.LBB54_42:
	s_or_b32 exec_lo, exec_lo, s6
	v_add_co_u32 v0, s6, s10, v3
	s_delay_alu instid0(VALU_DEP_1) | instskip(NEXT) | instid1(VALU_DEP_2)
	v_add_co_ci_u32_e64 v1, null, s11, 0, s6
	v_add_co_u32 v0, s6, v0, v2
	s_delay_alu instid0(VALU_DEP_1)
	v_add_co_ci_u32_e64 v1, s6, 0, v1, s6
	s_and_saveexec_b32 s6, vcc_lo
	s_cbranch_execnz .LBB54_47
; %bb.43:
	s_or_b32 exec_lo, exec_lo, s6
	s_and_saveexec_b32 s3, s0
	s_cbranch_execnz .LBB54_48
.LBB54_44:
	s_or_b32 exec_lo, exec_lo, s3
	s_and_saveexec_b32 s0, s1
	s_cbranch_execnz .LBB54_49
.LBB54_45:
	s_or_b32 exec_lo, exec_lo, s0
	s_and_saveexec_b32 s0, s2
	s_cbranch_execnz .LBB54_50
.LBB54_46:
	s_nop 0
	s_sendmsg sendmsg(MSG_DEALLOC_VGPRS)
	s_endpgm
.LBB54_47:
	v_cndmask_b32_e64 v2, v4, v7, s3
	global_store_b8 v[0:1], v2, off
	s_or_b32 exec_lo, exec_lo, s6
	s_and_saveexec_b32 s3, s0
	s_cbranch_execz .LBB54_44
.LBB54_48:
	v_cndmask_b32_e64 v2, v8, v9, s4
	global_store_b8 v[0:1], v2, off offset:1
	s_or_b32 exec_lo, exec_lo, s3
	s_and_saveexec_b32 s0, s1
	s_cbranch_execz .LBB54_45
.LBB54_49:
	v_cndmask_b32_e64 v2, v10, v11, s5
	global_store_b8 v[0:1], v2, off offset:2
	s_or_b32 exec_lo, exec_lo, s0
	s_and_saveexec_b32 s0, s2
	s_cbranch_execz .LBB54_46
.LBB54_50:
	s_waitcnt lgkmcnt(0)
	v_bfe_i32 v2, v13, 0, 8
	v_bfe_i32 v3, v15, 0, 8
	v_cmp_ge_i32_e32 vcc_lo, v14, v5
	v_cmp_lt_i32_e64 s1, v12, v6
	s_delay_alu instid0(VALU_DEP_3) | instskip(NEXT) | instid1(VALU_DEP_1)
	v_cmp_lt_i16_e64 s0, v3, v2
	s_or_b32 s0, vcc_lo, s0
	s_delay_alu instid0(VALU_DEP_2) | instid1(SALU_CYCLE_1)
	s_and_b32 vcc_lo, s1, s0
	v_cndmask_b32_e32 v2, v13, v15, vcc_lo
	global_store_b8 v[0:1], v2, off offset:3
	s_nop 0
	s_sendmsg sendmsg(MSG_DEALLOC_VGPRS)
	s_endpgm
	.section	.rodata,"a",@progbits
	.p2align	6, 0x0
	.amdhsa_kernel _Z19sort_keys_segmentedILj256ELj4ELj4EaN10test_utils4lessEEvPKT2_PS2_PKjT3_
		.amdhsa_group_segment_fixed_size 1088
		.amdhsa_private_segment_fixed_size 0
		.amdhsa_kernarg_size 28
		.amdhsa_user_sgpr_count 15
		.amdhsa_user_sgpr_dispatch_ptr 0
		.amdhsa_user_sgpr_queue_ptr 0
		.amdhsa_user_sgpr_kernarg_segment_ptr 1
		.amdhsa_user_sgpr_dispatch_id 0
		.amdhsa_user_sgpr_private_segment_size 0
		.amdhsa_wavefront_size32 1
		.amdhsa_uses_dynamic_stack 0
		.amdhsa_enable_private_segment 0
		.amdhsa_system_sgpr_workgroup_id_x 1
		.amdhsa_system_sgpr_workgroup_id_y 0
		.amdhsa_system_sgpr_workgroup_id_z 0
		.amdhsa_system_sgpr_workgroup_info 0
		.amdhsa_system_vgpr_workitem_id 0
		.amdhsa_next_free_vgpr 22
		.amdhsa_next_free_sgpr 16
		.amdhsa_reserve_vcc 1
		.amdhsa_float_round_mode_32 0
		.amdhsa_float_round_mode_16_64 0
		.amdhsa_float_denorm_mode_32 3
		.amdhsa_float_denorm_mode_16_64 3
		.amdhsa_dx10_clamp 1
		.amdhsa_ieee_mode 1
		.amdhsa_fp16_overflow 0
		.amdhsa_workgroup_processor_mode 1
		.amdhsa_memory_ordered 1
		.amdhsa_forward_progress 0
		.amdhsa_shared_vgpr_count 0
		.amdhsa_exception_fp_ieee_invalid_op 0
		.amdhsa_exception_fp_denorm_src 0
		.amdhsa_exception_fp_ieee_div_zero 0
		.amdhsa_exception_fp_ieee_overflow 0
		.amdhsa_exception_fp_ieee_underflow 0
		.amdhsa_exception_fp_ieee_inexact 0
		.amdhsa_exception_int_div_zero 0
	.end_amdhsa_kernel
	.section	.text._Z19sort_keys_segmentedILj256ELj4ELj4EaN10test_utils4lessEEvPKT2_PS2_PKjT3_,"axG",@progbits,_Z19sort_keys_segmentedILj256ELj4ELj4EaN10test_utils4lessEEvPKT2_PS2_PKjT3_,comdat
.Lfunc_end54:
	.size	_Z19sort_keys_segmentedILj256ELj4ELj4EaN10test_utils4lessEEvPKT2_PS2_PKjT3_, .Lfunc_end54-_Z19sort_keys_segmentedILj256ELj4ELj4EaN10test_utils4lessEEvPKT2_PS2_PKjT3_
                                        ; -- End function
	.section	.AMDGPU.csdata,"",@progbits
; Kernel info:
; codeLenInByte = 2972
; NumSgprs: 18
; NumVgprs: 22
; ScratchSize: 0
; MemoryBound: 0
; FloatMode: 240
; IeeeMode: 1
; LDSByteSize: 1088 bytes/workgroup (compile time only)
; SGPRBlocks: 2
; VGPRBlocks: 2
; NumSGPRsForWavesPerEU: 18
; NumVGPRsForWavesPerEU: 22
; Occupancy: 16
; WaveLimiterHint : 0
; COMPUTE_PGM_RSRC2:SCRATCH_EN: 0
; COMPUTE_PGM_RSRC2:USER_SGPR: 15
; COMPUTE_PGM_RSRC2:TRAP_HANDLER: 0
; COMPUTE_PGM_RSRC2:TGID_X_EN: 1
; COMPUTE_PGM_RSRC2:TGID_Y_EN: 0
; COMPUTE_PGM_RSRC2:TGID_Z_EN: 0
; COMPUTE_PGM_RSRC2:TIDIG_COMP_CNT: 0
	.section	.text._Z20sort_pairs_segmentedILj256ELj4ELj4EaN10test_utils4lessEEvPKT2_PS2_PKjT3_,"axG",@progbits,_Z20sort_pairs_segmentedILj256ELj4ELj4EaN10test_utils4lessEEvPKT2_PS2_PKjT3_,comdat
	.protected	_Z20sort_pairs_segmentedILj256ELj4ELj4EaN10test_utils4lessEEvPKT2_PS2_PKjT3_ ; -- Begin function _Z20sort_pairs_segmentedILj256ELj4ELj4EaN10test_utils4lessEEvPKT2_PS2_PKjT3_
	.globl	_Z20sort_pairs_segmentedILj256ELj4ELj4EaN10test_utils4lessEEvPKT2_PS2_PKjT3_
	.p2align	8
	.type	_Z20sort_pairs_segmentedILj256ELj4ELj4EaN10test_utils4lessEEvPKT2_PS2_PKjT3_,@function
_Z20sort_pairs_segmentedILj256ELj4ELj4EaN10test_utils4lessEEvPKT2_PS2_PKjT3_: ; @_Z20sort_pairs_segmentedILj256ELj4ELj4EaN10test_utils4lessEEvPKT2_PS2_PKjT3_
; %bb.0:
	s_clause 0x1
	s_load_b64 s[2:3], s[0:1], 0x10
	s_load_b128 s[8:11], s[0:1], 0x0
	v_lshrrev_b32_e32 v5, 2, v0
	v_mov_b32_e32 v1, 0
                                        ; implicit-def: $vgpr10
	s_delay_alu instid0(VALU_DEP_2) | instskip(NEXT) | instid1(VALU_DEP_1)
	v_lshl_or_b32 v0, s15, 6, v5
	v_lshlrev_b64 v[1:2], 2, v[0:1]
	v_lshlrev_b32_e32 v3, 4, v0
	s_waitcnt lgkmcnt(0)
	s_delay_alu instid0(VALU_DEP_2) | instskip(NEXT) | instid1(VALU_DEP_3)
	v_add_co_u32 v1, vcc_lo, s2, v1
	v_add_co_ci_u32_e32 v2, vcc_lo, s3, v2, vcc_lo
	s_delay_alu instid0(VALU_DEP_3) | instskip(SKIP_2) | instid1(VALU_DEP_1)
	v_add_co_u32 v0, s0, s8, v3
	global_load_b32 v4, v[1:2], off
	v_mbcnt_lo_u32_b32 v1, -1, 0
	v_lshlrev_b32_e32 v6, 2, v1
	v_add_co_ci_u32_e64 v1, null, s9, 0, s0
	s_delay_alu instid0(VALU_DEP_2) | instskip(NEXT) | instid1(VALU_DEP_1)
	v_and_b32_e32 v2, 12, v6
	v_add_co_u32 v0, vcc_lo, v0, v2
	s_delay_alu instid0(VALU_DEP_3)
	v_add_co_ci_u32_e32 v1, vcc_lo, 0, v1, vcc_lo
	s_waitcnt vmcnt(0)
	v_cmp_lt_u32_e32 vcc_lo, v2, v4
	s_and_saveexec_b32 s0, vcc_lo
	s_cbranch_execz .LBB55_2
; %bb.1:
	global_load_u8 v10, v[0:1], off
.LBB55_2:
	s_or_b32 exec_lo, exec_lo, s0
	v_or_b32_e32 v7, 1, v2
                                        ; implicit-def: $vgpr12
	s_delay_alu instid0(VALU_DEP_1) | instskip(NEXT) | instid1(VALU_DEP_1)
	v_cmp_lt_u32_e64 s0, v7, v4
	s_and_saveexec_b32 s1, s0
	s_cbranch_execz .LBB55_4
; %bb.3:
	global_load_u8 v12, v[0:1], off offset:1
.LBB55_4:
	s_or_b32 exec_lo, exec_lo, s1
	v_or_b32_e32 v8, 2, v2
                                        ; implicit-def: $vgpr11
	s_delay_alu instid0(VALU_DEP_1) | instskip(NEXT) | instid1(VALU_DEP_1)
	v_cmp_lt_u32_e64 s1, v8, v4
	s_and_saveexec_b32 s2, s1
	s_cbranch_execz .LBB55_6
; %bb.5:
	global_load_u8 v11, v[0:1], off offset:2
.LBB55_6:
	s_or_b32 exec_lo, exec_lo, s2
	v_or_b32_e32 v9, 3, v2
                                        ; implicit-def: $vgpr13
	s_delay_alu instid0(VALU_DEP_1) | instskip(NEXT) | instid1(VALU_DEP_1)
	v_cmp_lt_u32_e64 s2, v9, v4
	s_and_saveexec_b32 s3, s2
	s_cbranch_execz .LBB55_8
; %bb.7:
	global_load_u8 v13, v[0:1], off offset:3
.LBB55_8:
	s_or_b32 exec_lo, exec_lo, s3
	s_waitcnt vmcnt(0)
	v_and_b32_e32 v0, 0xff, v10
	v_lshlrev_b16 v1, 8, v12
	v_and_b32_e32 v12, 0xff, v11
	v_lshlrev_b16 v13, 8, v13
	v_add_nc_u16 v10, v10, 1
	v_cmp_lt_i32_e64 s3, v7, v4
	v_or_b32_e32 v14, v0, v1
	v_or_b32_e32 v0, 0x7f00, v0
	;; [unrolled: 1-line block ×3, first 2 shown]
	v_and_b32_e32 v10, 0xff, v10
	v_add_nc_u16 v7, v11, 1
	v_and_b32_e32 v14, 0xffff, v14
	v_and_b32_e32 v0, 0xffff, v0
	v_lshlrev_b32_e32 v12, 16, v12
	v_or_b32_e32 v1, v1, v10
	v_and_b32_e32 v7, 0xff, v7
	v_and_b32_e32 v10, 0xffff, v10
	s_mov_b32 s4, exec_lo
	v_or_b32_e32 v14, v14, v12
	v_or_b32_e32 v0, v0, v12
	v_add_nc_u16 v1, v1, 0x100
	v_lshlrev_b32_e32 v7, 16, v7
	s_delay_alu instid0(VALU_DEP_3) | instskip(NEXT) | instid1(VALU_DEP_3)
	v_cndmask_b32_e64 v0, v0, v14, s3
	v_and_b32_e32 v1, 0xffff, v1
	v_cmp_lt_i32_e64 s3, v8, v4
	s_delay_alu instid0(VALU_DEP_3) | instskip(NEXT) | instid1(VALU_DEP_3)
	v_lshrrev_b32_e32 v11, 16, v0
	v_cndmask_b32_e64 v1, v10, v1, s0
	s_delay_alu instid0(VALU_DEP_2) | instskip(NEXT) | instid1(VALU_DEP_2)
	v_and_b32_e32 v11, 0xffffff00, v11
	v_or_b32_e32 v7, v1, v7
	s_delay_alu instid0(VALU_DEP_2) | instskip(NEXT) | instid1(VALU_DEP_2)
	v_or_b32_e32 v10, 0x7f, v11
	v_cndmask_b32_e64 v1, v1, v7, s1
	s_delay_alu instid0(VALU_DEP_2) | instskip(NEXT) | instid1(VALU_DEP_2)
	v_lshlrev_b32_e32 v10, 16, v10
	v_lshrrev_b32_e32 v7, 16, v1
	s_delay_alu instid0(VALU_DEP_2) | instskip(NEXT) | instid1(VALU_DEP_2)
	v_and_or_b32 v0, 0xffff, v0, v10
	v_and_b32_e32 v7, 0xff, v7
	s_delay_alu instid0(VALU_DEP_2) | instskip(NEXT) | instid1(VALU_DEP_2)
	v_cndmask_b32_e64 v0, v0, v14, s3
	v_or_b32_e32 v7, v13, v7
	v_cmp_lt_i32_e64 s3, v9, v4
	s_delay_alu instid0(VALU_DEP_3) | instskip(NEXT) | instid1(VALU_DEP_3)
	v_lshrrev_b32_e32 v8, 16, v0
	v_add_nc_u16 v7, v7, 0x100
	s_delay_alu instid0(VALU_DEP_2) | instskip(NEXT) | instid1(VALU_DEP_2)
	v_and_b32_e32 v8, 0xff, v8
	v_lshlrev_b32_e32 v7, 16, v7
	s_delay_alu instid0(VALU_DEP_2) | instskip(NEXT) | instid1(VALU_DEP_2)
	v_or_b32_e32 v8, 0x7f00, v8
	v_and_or_b32 v7, 0xffff, v1, v7
	s_delay_alu instid0(VALU_DEP_2) | instskip(NEXT) | instid1(VALU_DEP_2)
	v_lshlrev_b32_e32 v8, 16, v8
	v_cndmask_b32_e64 v1, v1, v7, s2
	s_delay_alu instid0(VALU_DEP_2) | instskip(NEXT) | instid1(VALU_DEP_1)
	v_and_or_b32 v0, 0xffff, v0, v8
	v_cndmask_b32_e64 v11, v0, v14, s3
	v_cmpx_lt_i32_e64 v2, v4
	s_cbranch_execz .LBB55_10
; %bb.9:
	s_delay_alu instid0(VALU_DEP_2) | instskip(SKIP_3) | instid1(VALU_DEP_4)
	v_lshrrev_b32_e32 v0, 8, v11
	v_bfe_i32 v7, v11, 0, 8
	v_perm_b32 v8, v1, v1, 0x7060405
	v_perm_b32 v9, v11, v11, 0x7060405
	v_bfe_i32 v0, v0, 0, 8
	s_delay_alu instid0(VALU_DEP_1) | instskip(NEXT) | instid1(VALU_DEP_1)
	v_cmp_lt_i16_e64 s3, v0, v7
	v_cndmask_b32_e64 v0, v1, v8, s3
	s_delay_alu instid0(VALU_DEP_4) | instskip(NEXT) | instid1(VALU_DEP_2)
	v_cndmask_b32_e64 v1, v11, v9, s3
	v_lshrrev_b32_e32 v7, 16, v0
	s_delay_alu instid0(VALU_DEP_2) | instskip(SKIP_1) | instid1(VALU_DEP_3)
	v_lshrrev_b32_e32 v8, 16, v1
	v_lshrrev_b32_e32 v9, 24, v1
	v_perm_b32 v7, 0, v7, 0xc0c0001
	s_delay_alu instid0(VALU_DEP_3) | instskip(NEXT) | instid1(VALU_DEP_3)
	v_perm_b32 v10, 0, v8, 0xc0c0001
	v_bfe_i32 v9, v9, 0, 8
	v_bfe_i32 v8, v8, 0, 8
	s_delay_alu instid0(VALU_DEP_4) | instskip(NEXT) | instid1(VALU_DEP_4)
	v_lshlrev_b32_e32 v7, 16, v7
	v_lshlrev_b32_e32 v10, 16, v10
	s_delay_alu instid0(VALU_DEP_3) | instskip(NEXT) | instid1(VALU_DEP_3)
	v_cmp_lt_i16_e64 s3, v9, v8
	v_and_or_b32 v7, 0xffff, v0, v7
	s_delay_alu instid0(VALU_DEP_3) | instskip(NEXT) | instid1(VALU_DEP_2)
	v_and_or_b32 v10, 0xffff, v1, v10
	v_cndmask_b32_e64 v0, v0, v7, s3
	s_delay_alu instid0(VALU_DEP_2) | instskip(SKIP_1) | instid1(VALU_DEP_2)
	v_cndmask_b32_e64 v1, v1, v10, s3
	v_min_i16 v7, v9, v8
	v_lshrrev_b32_e32 v8, 16, v1
	s_delay_alu instid0(VALU_DEP_2) | instskip(SKIP_2) | instid1(VALU_DEP_4)
	v_lshlrev_b16 v9, 8, v7
	v_lshrrev_b16 v10, 8, v1
	v_and_b32_e32 v11, 0xff, v1
	v_and_b32_e32 v8, 0xffffff00, v8
	s_delay_alu instid0(VALU_DEP_2) | instskip(SKIP_1) | instid1(VALU_DEP_3)
	v_or_b32_e32 v9, v11, v9
	v_perm_b32 v11, v0, v0, 0x7050604
	v_or_b32_e32 v8, v10, v8
	v_lshrrev_b32_e32 v10, 8, v1
	s_delay_alu instid0(VALU_DEP_4) | instskip(NEXT) | instid1(VALU_DEP_3)
	v_and_b32_e32 v9, 0xffff, v9
	v_lshlrev_b32_e32 v8, 16, v8
	s_delay_alu instid0(VALU_DEP_3) | instskip(NEXT) | instid1(VALU_DEP_2)
	v_bfe_i32 v10, v10, 0, 8
	v_or_b32_e32 v8, v9, v8
	s_delay_alu instid0(VALU_DEP_2) | instskip(SKIP_1) | instid1(VALU_DEP_2)
	v_cmp_lt_i16_e64 s3, v7, v10
	v_min_i16 v7, v7, v10
	v_cndmask_b32_e64 v1, v1, v8, s3
	s_delay_alu instid0(VALU_DEP_2) | instskip(SKIP_1) | instid1(VALU_DEP_3)
	v_and_b32_e32 v8, 0xff, v7
	v_cndmask_b32_e64 v0, v0, v11, s3
	v_lshlrev_b16 v9, 8, v1
	v_bfe_i32 v10, v1, 0, 8
	s_delay_alu instid0(VALU_DEP_2) | instskip(NEXT) | instid1(VALU_DEP_4)
	v_or_b32_e32 v8, v8, v9
	v_perm_b32 v9, 0, v0, 0xc0c0001
	s_delay_alu instid0(VALU_DEP_3) | instskip(NEXT) | instid1(VALU_DEP_3)
	v_cmp_lt_i16_e64 s3, v7, v10
	v_and_b32_e32 v8, 0xffff, v8
	s_delay_alu instid0(VALU_DEP_3) | instskip(NEXT) | instid1(VALU_DEP_2)
	v_and_or_b32 v9, 0xffff0000, v0, v9
	v_and_or_b32 v8, 0xffff0000, v1, v8
	s_delay_alu instid0(VALU_DEP_2) | instskip(NEXT) | instid1(VALU_DEP_2)
	v_cndmask_b32_e64 v0, v0, v9, s3
	v_cndmask_b32_e64 v1, v1, v8, s3
	s_delay_alu instid0(VALU_DEP_2) | instskip(NEXT) | instid1(VALU_DEP_2)
	v_lshrrev_b32_e32 v7, 16, v0
	v_lshrrev_b32_e32 v8, 16, v1
	s_delay_alu instid0(VALU_DEP_2) | instskip(SKIP_1) | instid1(VALU_DEP_3)
	v_perm_b32 v7, 0, v7, 0xc0c0001
	v_lshrrev_b32_e32 v9, 24, v1
	v_perm_b32 v10, 0, v8, 0xc0c0001
	s_delay_alu instid0(VALU_DEP_3) | instskip(NEXT) | instid1(VALU_DEP_3)
	v_lshlrev_b32_e32 v7, 16, v7
	v_bfe_i32 v9, v9, 0, 8
	v_bfe_i32 v8, v8, 0, 8
	s_delay_alu instid0(VALU_DEP_4) | instskip(NEXT) | instid1(VALU_DEP_4)
	v_lshlrev_b32_e32 v10, 16, v10
	v_and_or_b32 v7, 0xffff, v0, v7
	s_delay_alu instid0(VALU_DEP_3) | instskip(NEXT) | instid1(VALU_DEP_3)
	v_cmp_lt_i16_e64 s3, v9, v8
	v_and_or_b32 v10, 0xffff, v1, v10
	s_delay_alu instid0(VALU_DEP_2) | instskip(NEXT) | instid1(VALU_DEP_2)
	v_cndmask_b32_e64 v0, v0, v7, s3
	v_cndmask_b32_e64 v7, v1, v10, s3
	v_min_i16 v1, v9, v8
	s_delay_alu instid0(VALU_DEP_2) | instskip(NEXT) | instid1(VALU_DEP_2)
	v_lshrrev_b32_e32 v8, 16, v7
	v_lshlrev_b16 v9, 8, v1
	v_lshrrev_b16 v10, 8, v7
	v_and_b32_e32 v11, 0xff, v7
	s_delay_alu instid0(VALU_DEP_4) | instskip(NEXT) | instid1(VALU_DEP_2)
	v_and_b32_e32 v8, 0xffffff00, v8
	v_or_b32_e32 v9, v11, v9
	v_perm_b32 v11, v0, v0, 0x7050604
	s_delay_alu instid0(VALU_DEP_3) | instskip(SKIP_1) | instid1(VALU_DEP_4)
	v_or_b32_e32 v8, v10, v8
	v_lshrrev_b32_e32 v10, 8, v7
	v_and_b32_e32 v9, 0xffff, v9
	s_delay_alu instid0(VALU_DEP_3) | instskip(NEXT) | instid1(VALU_DEP_3)
	v_lshlrev_b32_e32 v8, 16, v8
	v_bfe_i32 v10, v10, 0, 8
	s_delay_alu instid0(VALU_DEP_2) | instskip(NEXT) | instid1(VALU_DEP_2)
	v_or_b32_e32 v8, v9, v8
	v_cmp_lt_i16_e64 s3, v1, v10
	s_delay_alu instid0(VALU_DEP_1) | instskip(NEXT) | instid1(VALU_DEP_3)
	v_cndmask_b32_e64 v1, v0, v11, s3
	v_cndmask_b32_e64 v11, v7, v8, s3
.LBB55_10:
	s_or_b32 exec_lo, exec_lo, s4
	v_and_b32_e32 v0, 8, v6
	v_and_b32_e32 v9, 4, v6
	v_mad_u32_u24 v13, v5, 17, v2
	s_mov_b32 s5, 0
	s_mov_b32 s4, exec_lo
	v_min_i32_e32 v8, v4, v0
	v_min_i32_e32 v9, v4, v9
	; wave barrier
	ds_store_b32 v13, v11
	v_add_nc_u32_e32 v0, 4, v8
	; wave barrier
	s_delay_alu instid0(VALU_DEP_1) | instskip(NEXT) | instid1(VALU_DEP_1)
	v_min_i32_e32 v7, v4, v0
	v_add_nc_u32_e32 v0, 4, v7
	v_sub_nc_u32_e32 v12, v7, v8
	s_delay_alu instid0(VALU_DEP_2) | instskip(NEXT) | instid1(VALU_DEP_2)
	v_min_i32_e32 v6, v4, v0
	v_min_i32_e32 v12, v9, v12
	s_delay_alu instid0(VALU_DEP_2) | instskip(NEXT) | instid1(VALU_DEP_1)
	v_sub_nc_u32_e32 v0, v6, v7
	v_sub_nc_u32_e32 v10, v9, v0
	v_cmp_ge_i32_e64 s3, v9, v0
	v_mul_u32_u24_e32 v0, 17, v5
	s_delay_alu instid0(VALU_DEP_2) | instskip(NEXT) | instid1(VALU_DEP_1)
	v_cndmask_b32_e64 v10, 0, v10, s3
	v_cmpx_lt_i32_e64 v10, v12
	s_cbranch_execz .LBB55_14
; %bb.11:
	s_delay_alu instid0(VALU_DEP_3)
	v_add_nc_u32_e32 v5, v0, v8
	v_add3_u32 v11, v0, v7, v9
	.p2align	6
.LBB55_12:                              ; =>This Inner Loop Header: Depth=1
	v_sub_nc_u32_e32 v13, v12, v10
	s_delay_alu instid0(VALU_DEP_1) | instskip(NEXT) | instid1(VALU_DEP_1)
	v_lshrrev_b32_e32 v14, 31, v13
	v_add_nc_u32_e32 v13, v13, v14
	s_delay_alu instid0(VALU_DEP_1) | instskip(NEXT) | instid1(VALU_DEP_1)
	v_ashrrev_i32_e32 v13, 1, v13
	v_add_nc_u32_e32 v13, v13, v10
	s_delay_alu instid0(VALU_DEP_1)
	v_add_nc_u32_e32 v14, v5, v13
	v_xad_u32 v15, v13, -1, v11
	v_add_nc_u32_e32 v16, 1, v13
	ds_load_i8 v14, v14
	ds_load_i8 v15, v15
	s_waitcnt lgkmcnt(0)
	v_cmp_lt_i16_e64 s3, v15, v14
	s_delay_alu instid0(VALU_DEP_1) | instskip(SKIP_1) | instid1(VALU_DEP_1)
	v_cndmask_b32_e64 v12, v12, v13, s3
	v_cndmask_b32_e64 v10, v16, v10, s3
	v_cmp_ge_i32_e64 s3, v10, v12
	s_delay_alu instid0(VALU_DEP_1) | instskip(NEXT) | instid1(SALU_CYCLE_1)
	s_or_b32 s5, s3, s5
	s_and_not1_b32 exec_lo, exec_lo, s5
	s_cbranch_execnz .LBB55_12
; %bb.13:
	s_or_b32 exec_lo, exec_lo, s5
.LBB55_14:
	s_delay_alu instid0(SALU_CYCLE_1) | instskip(SKIP_2) | instid1(VALU_DEP_2)
	s_or_b32 exec_lo, exec_lo, s4
	v_add_nc_u32_e32 v9, v7, v9
	v_add_nc_u32_e32 v5, v10, v8
                                        ; implicit-def: $vgpr12
	v_sub_nc_u32_e32 v8, v9, v10
	s_delay_alu instid0(VALU_DEP_2) | instskip(SKIP_1) | instid1(VALU_DEP_3)
	v_add_nc_u32_e32 v13, v0, v5
	v_cmp_le_i32_e64 s3, v7, v5
	v_add_nc_u32_e32 v9, v0, v8
	v_cmp_gt_i32_e64 s5, v6, v8
	ds_load_u8 v10, v13
	ds_load_u8 v11, v9
	s_waitcnt lgkmcnt(1)
	v_bfe_i32 v10, v10, 0, 8
	s_waitcnt lgkmcnt(0)
	v_bfe_i32 v11, v11, 0, 8
	s_delay_alu instid0(VALU_DEP_1) | instskip(NEXT) | instid1(VALU_DEP_1)
	v_cmp_lt_i16_e64 s4, v11, v10
	s_or_b32 s3, s3, s4
	s_delay_alu instid0(SALU_CYCLE_1) | instskip(NEXT) | instid1(SALU_CYCLE_1)
	s_and_b32 s3, s5, s3
	s_xor_b32 s4, s3, -1
	s_delay_alu instid0(SALU_CYCLE_1) | instskip(NEXT) | instid1(SALU_CYCLE_1)
	s_and_saveexec_b32 s5, s4
	s_xor_b32 s4, exec_lo, s5
	s_cbranch_execz .LBB55_16
; %bb.15:
	ds_load_u8 v12, v13 offset:1
                                        ; implicit-def: $vgpr9
.LBB55_16:
	s_or_saveexec_b32 s4, s4
	v_mov_b32_e32 v13, v11
	s_xor_b32 exec_lo, exec_lo, s4
	s_cbranch_execz .LBB55_18
; %bb.17:
	ds_load_u8 v13, v9 offset:1
	s_waitcnt lgkmcnt(1)
	v_mov_b32_e32 v12, v10
.LBB55_18:
	s_or_b32 exec_lo, exec_lo, s4
	v_add_nc_u32_e32 v9, 1, v5
	v_add_nc_u32_e32 v14, 1, v8
	s_waitcnt lgkmcnt(0)
	v_bfe_i32 v15, v12, 0, 8
	v_bfe_i32 v17, v13, 0, 8
	v_cndmask_b32_e64 v9, v9, v5, s3
	v_cndmask_b32_e64 v16, v8, v14, s3
                                        ; implicit-def: $vgpr14
	s_delay_alu instid0(VALU_DEP_3) | instskip(NEXT) | instid1(VALU_DEP_3)
	v_cmp_lt_i16_e64 s5, v17, v15
	v_cmp_ge_i32_e64 s4, v9, v7
	s_delay_alu instid0(VALU_DEP_3) | instskip(NEXT) | instid1(VALU_DEP_2)
	v_cmp_lt_i32_e64 s6, v16, v6
	s_or_b32 s4, s4, s5
	s_delay_alu instid0(VALU_DEP_1) | instid1(SALU_CYCLE_1)
	s_and_b32 s4, s6, s4
	s_delay_alu instid0(SALU_CYCLE_1) | instskip(NEXT) | instid1(SALU_CYCLE_1)
	s_xor_b32 s5, s4, -1
	s_and_saveexec_b32 s6, s5
	s_delay_alu instid0(SALU_CYCLE_1)
	s_xor_b32 s5, exec_lo, s6
	s_cbranch_execz .LBB55_20
; %bb.19:
	v_add_nc_u32_e32 v14, v0, v9
	ds_load_u8 v14, v14 offset:1
.LBB55_20:
	s_or_saveexec_b32 s5, s5
	v_mov_b32_e32 v15, v13
	s_xor_b32 exec_lo, exec_lo, s5
	s_cbranch_execz .LBB55_22
; %bb.21:
	s_waitcnt lgkmcnt(0)
	v_add_nc_u32_e32 v14, v0, v16
	ds_load_u8 v15, v14 offset:1
	v_mov_b32_e32 v14, v12
.LBB55_22:
	s_or_b32 exec_lo, exec_lo, s5
	v_add_nc_u32_e32 v17, 1, v9
	v_add_nc_u32_e32 v18, 1, v16
	s_waitcnt lgkmcnt(0)
	v_bfe_i32 v19, v14, 0, 8
	v_bfe_i32 v20, v15, 0, 8
	v_cndmask_b32_e64 v17, v17, v9, s4
	v_cndmask_b32_e64 v18, v16, v18, s4
	s_delay_alu instid0(VALU_DEP_3) | instskip(NEXT) | instid1(VALU_DEP_3)
	v_cmp_lt_i16_e64 s6, v20, v19
                                        ; implicit-def: $vgpr19
	v_cmp_ge_i32_e64 s5, v17, v7
	s_delay_alu instid0(VALU_DEP_3) | instskip(NEXT) | instid1(VALU_DEP_2)
	v_cmp_lt_i32_e64 s7, v18, v6
	s_or_b32 s5, s5, s6
	s_delay_alu instid0(VALU_DEP_1) | instid1(SALU_CYCLE_1)
	s_and_b32 s5, s7, s5
	s_delay_alu instid0(SALU_CYCLE_1) | instskip(NEXT) | instid1(SALU_CYCLE_1)
	s_xor_b32 s6, s5, -1
	s_and_saveexec_b32 s7, s6
	s_delay_alu instid0(SALU_CYCLE_1)
	s_xor_b32 s6, exec_lo, s7
	s_cbranch_execz .LBB55_24
; %bb.23:
	v_add_nc_u32_e32 v19, v0, v17
	ds_load_u8 v19, v19 offset:1
.LBB55_24:
	s_or_saveexec_b32 s6, s6
	v_mov_b32_e32 v20, v15
	s_xor_b32 exec_lo, exec_lo, s6
	s_cbranch_execz .LBB55_26
; %bb.25:
	s_waitcnt lgkmcnt(0)
	v_add_nc_u32_e32 v19, v0, v18
	ds_load_u8 v20, v19 offset:1
	v_mov_b32_e32 v19, v14
.LBB55_26:
	s_or_b32 exec_lo, exec_lo, s6
	v_add_nc_u32_e32 v21, 1, v17
	v_add_nc_u32_e32 v22, 1, v18
	v_cndmask_b32_e64 v23, v17, v18, s5
	s_waitcnt lgkmcnt(0)
	v_bfe_i32 v24, v19, 0, 8
	v_bfe_i32 v25, v20, 0, 8
	v_cndmask_b32_e64 v21, v21, v17, s5
	v_min_i32_e32 v17, 0, v4
	v_cndmask_b32_e64 v18, v18, v22, s5
	v_cndmask_b32_e64 v16, v9, v16, s4
	v_cmp_lt_i16_e64 s6, v25, v24
	v_cmp_ge_i32_e64 s7, v21, v7
	v_add_nc_u32_e32 v7, 8, v17
	v_cmp_lt_i32_e64 s8, v18, v6
	v_cndmask_b32_e64 v6, v5, v8, s3
	v_add_nc_u32_e32 v5, v0, v2
	s_or_b32 s6, s7, s6
	v_min_i32_e32 v9, v4, v7
	s_and_b32 s6, s8, s6
	v_add_nc_u32_e32 v6, v0, v6
	v_cndmask_b32_e64 v7, v21, v18, s6
	s_delay_alu instid0(VALU_DEP_3)
	v_add_nc_u32_e32 v8, 8, v9
	; wave barrier
	ds_store_b32 v5, v1
	v_add_nc_u32_e32 v18, v0, v23
	v_cndmask_b32_e64 v19, v19, v20, s6
	v_min_i32_e32 v1, v4, v8
	v_add_nc_u32_e32 v8, v0, v16
	v_add_nc_u32_e32 v20, v0, v7
	; wave barrier
	v_min_i32_e32 v16, v4, v2
	ds_load_u8 v4, v6
	ds_load_u8 v6, v8
	ds_load_u8 v7, v18
	ds_load_u8 v8, v20
	v_sub_nc_u32_e32 v21, v1, v9
	v_sub_nc_u32_e32 v20, v9, v17
	v_cndmask_b32_e64 v22, v14, v15, s5
	v_cndmask_b32_e64 v10, v10, v11, s3
	;; [unrolled: 1-line block ×3, first 2 shown]
	v_sub_nc_u32_e32 v18, v16, v21
	v_cmp_ge_i32_e64 s5, v16, v21
	v_min_i32_e32 v14, v16, v20
	s_mov_b32 s4, exec_lo
	; wave barrier
	s_delay_alu instid0(VALU_DEP_2)
	v_cndmask_b32_e64 v15, 0, v18, s5
	s_mov_b32 s5, 0
	ds_store_b8 v5, v10
	ds_store_b8 v5, v11 offset:1
	ds_store_b8 v5, v22 offset:2
	;; [unrolled: 1-line block ×3, first 2 shown]
	; wave barrier
	v_cmpx_lt_i32_e64 v15, v14
	s_cbranch_execz .LBB55_30
; %bb.27:
	v_add_nc_u32_e32 v10, v0, v17
	v_add3_u32 v11, v0, v9, v16
	.p2align	6
.LBB55_28:                              ; =>This Inner Loop Header: Depth=1
	v_sub_nc_u32_e32 v12, v14, v15
	s_delay_alu instid0(VALU_DEP_1) | instskip(NEXT) | instid1(VALU_DEP_1)
	v_lshrrev_b32_e32 v13, 31, v12
	v_add_nc_u32_e32 v12, v12, v13
	s_delay_alu instid0(VALU_DEP_1) | instskip(NEXT) | instid1(VALU_DEP_1)
	v_ashrrev_i32_e32 v12, 1, v12
	v_add_nc_u32_e32 v12, v12, v15
	s_delay_alu instid0(VALU_DEP_1)
	v_add_nc_u32_e32 v13, v10, v12
	v_xad_u32 v18, v12, -1, v11
	v_add_nc_u32_e32 v19, 1, v12
	ds_load_i8 v13, v13
	ds_load_i8 v18, v18
	s_waitcnt lgkmcnt(0)
	v_cmp_lt_i16_e64 s3, v18, v13
	s_delay_alu instid0(VALU_DEP_1) | instskip(SKIP_1) | instid1(VALU_DEP_1)
	v_cndmask_b32_e64 v14, v14, v12, s3
	v_cndmask_b32_e64 v15, v19, v15, s3
	v_cmp_ge_i32_e64 s3, v15, v14
	s_delay_alu instid0(VALU_DEP_1) | instskip(NEXT) | instid1(SALU_CYCLE_1)
	s_or_b32 s5, s3, s5
	s_and_not1_b32 exec_lo, exec_lo, s5
	s_cbranch_execnz .LBB55_28
; %bb.29:
	s_or_b32 exec_lo, exec_lo, s5
.LBB55_30:
	s_delay_alu instid0(SALU_CYCLE_1) | instskip(SKIP_2) | instid1(VALU_DEP_2)
	s_or_b32 exec_lo, exec_lo, s4
	v_add_nc_u32_e32 v10, v9, v16
	v_add_nc_u32_e32 v14, v15, v17
                                        ; implicit-def: $vgpr12
	v_sub_nc_u32_e32 v15, v10, v15
	s_delay_alu instid0(VALU_DEP_2) | instskip(SKIP_1) | instid1(VALU_DEP_3)
	v_add_nc_u32_e32 v13, v0, v14
	v_cmp_le_i32_e64 s3, v9, v14
	v_add_nc_u32_e32 v16, v0, v15
	v_cmp_gt_i32_e64 s5, v1, v15
	ds_load_u8 v10, v13
	ds_load_u8 v11, v16
	s_waitcnt lgkmcnt(1)
	v_bfe_i32 v10, v10, 0, 8
	s_waitcnt lgkmcnt(0)
	v_bfe_i32 v11, v11, 0, 8
	s_delay_alu instid0(VALU_DEP_1) | instskip(NEXT) | instid1(VALU_DEP_1)
	v_cmp_lt_i16_e64 s4, v11, v10
	s_or_b32 s3, s3, s4
	s_delay_alu instid0(SALU_CYCLE_1) | instskip(NEXT) | instid1(SALU_CYCLE_1)
	s_and_b32 s3, s5, s3
	s_xor_b32 s4, s3, -1
	s_delay_alu instid0(SALU_CYCLE_1) | instskip(NEXT) | instid1(SALU_CYCLE_1)
	s_and_saveexec_b32 s5, s4
	s_xor_b32 s4, exec_lo, s5
	s_cbranch_execz .LBB55_32
; %bb.31:
	ds_load_u8 v12, v13 offset:1
                                        ; implicit-def: $vgpr16
.LBB55_32:
	s_or_saveexec_b32 s4, s4
	v_mov_b32_e32 v13, v11
	s_xor_b32 exec_lo, exec_lo, s4
	s_cbranch_execz .LBB55_34
; %bb.33:
	ds_load_u8 v13, v16 offset:1
	s_waitcnt lgkmcnt(1)
	v_mov_b32_e32 v12, v10
.LBB55_34:
	s_or_b32 exec_lo, exec_lo, s4
	v_add_nc_u32_e32 v16, 1, v14
	v_add_nc_u32_e32 v18, 1, v15
	s_waitcnt lgkmcnt(0)
	v_bfe_i32 v19, v12, 0, 8
	s_delay_alu instid0(VALU_DEP_3) | instskip(SKIP_2) | instid1(VALU_DEP_3)
	v_cndmask_b32_e64 v17, v16, v14, s3
	v_bfe_i32 v16, v13, 0, 8
	v_cndmask_b32_e64 v18, v15, v18, s3
	v_cmp_ge_i32_e64 s4, v17, v9
	s_delay_alu instid0(VALU_DEP_3) | instskip(NEXT) | instid1(VALU_DEP_3)
	v_cmp_lt_i16_e64 s5, v16, v19
	v_cmp_lt_i32_e64 s6, v18, v1
                                        ; implicit-def: $vgpr16
	s_delay_alu instid0(VALU_DEP_2)
	s_or_b32 s4, s4, s5
	s_delay_alu instid0(VALU_DEP_1) | instid1(SALU_CYCLE_1)
	s_and_b32 s4, s6, s4
	s_delay_alu instid0(SALU_CYCLE_1) | instskip(NEXT) | instid1(SALU_CYCLE_1)
	s_xor_b32 s5, s4, -1
	s_and_saveexec_b32 s6, s5
	s_delay_alu instid0(SALU_CYCLE_1)
	s_xor_b32 s5, exec_lo, s6
	s_cbranch_execz .LBB55_36
; %bb.35:
	v_add_nc_u32_e32 v16, v0, v17
	ds_load_u8 v16, v16 offset:1
.LBB55_36:
	s_or_saveexec_b32 s5, s5
	v_mov_b32_e32 v19, v13
	s_xor_b32 exec_lo, exec_lo, s5
	s_cbranch_execz .LBB55_38
; %bb.37:
	s_waitcnt lgkmcnt(0)
	v_add_nc_u32_e32 v16, v0, v18
	ds_load_u8 v19, v16 offset:1
	v_mov_b32_e32 v16, v12
.LBB55_38:
	s_or_b32 exec_lo, exec_lo, s5
	v_add_nc_u32_e32 v20, 1, v17
	v_add_nc_u32_e32 v21, 1, v18
	s_waitcnt lgkmcnt(0)
	v_bfe_i32 v22, v16, 0, 8
	v_bfe_i32 v23, v19, 0, 8
	v_cndmask_b32_e64 v25, v20, v17, s4
	v_cndmask_b32_e64 v20, v18, v21, s4
                                        ; implicit-def: $vgpr21
	s_delay_alu instid0(VALU_DEP_3) | instskip(NEXT) | instid1(VALU_DEP_3)
	v_cmp_lt_i16_e64 s6, v23, v22
                                        ; implicit-def: $vgpr22
	v_cmp_ge_i32_e64 s5, v25, v9
	s_delay_alu instid0(VALU_DEP_3) | instskip(NEXT) | instid1(VALU_DEP_2)
	v_cmp_lt_i32_e64 s7, v20, v1
	s_or_b32 s5, s5, s6
	s_delay_alu instid0(VALU_DEP_1) | instid1(SALU_CYCLE_1)
	s_and_b32 s5, s7, s5
	s_delay_alu instid0(SALU_CYCLE_1) | instskip(NEXT) | instid1(SALU_CYCLE_1)
	s_xor_b32 s6, s5, -1
	s_and_saveexec_b32 s7, s6
	s_delay_alu instid0(SALU_CYCLE_1)
	s_xor_b32 s6, exec_lo, s7
	s_cbranch_execz .LBB55_40
; %bb.39:
	v_add_nc_u32_e32 v21, v0, v25
	ds_load_u8 v22, v21 offset:1
	v_add_nc_u32_e32 v21, 1, v25
.LBB55_40:
	s_or_saveexec_b32 s6, s6
	v_dual_mov_b32 v23, v25 :: v_dual_mov_b32 v24, v19
	s_xor_b32 exec_lo, exec_lo, s6
	s_cbranch_execz .LBB55_42
; %bb.41:
	s_waitcnt lgkmcnt(0)
	v_dual_mov_b32 v23, v20 :: v_dual_add_nc_u32 v22, 1, v20
	s_delay_alu instid0(VALU_DEP_1)
	v_dual_mov_b32 v20, v22 :: v_dual_add_nc_u32 v21, v0, v20
	v_mov_b32_e32 v22, v16
	ds_load_u8 v24, v21 offset:1
	v_mov_b32_e32 v21, v25
.LBB55_42:
	s_or_b32 exec_lo, exec_lo, s6
	v_cndmask_b32_e64 v14, v14, v15, s3
	s_delay_alu instid0(VALU_DEP_2)
	v_cmp_ge_i32_e64 s6, v21, v9
	; wave barrier
	ds_store_b8 v5, v4
	ds_store_b8 v5, v6 offset:1
	ds_store_b8 v5, v7 offset:2
	;; [unrolled: 1-line block ×3, first 2 shown]
	v_add_nc_u32_e32 v9, v0, v14
	; wave barrier
	s_waitcnt lgkmcnt(4)
	v_bfe_i32 v25, v22, 0, 8
	v_bfe_i32 v26, v24, 0, 8
	ds_load_u8 v4, v9
	v_cmp_lt_i32_e64 s8, v20, v1
	v_cndmask_b32_e64 v1, v17, v18, s4
	v_cndmask_b32_e64 v7, v10, v11, s3
	v_cmp_lt_i16_e64 s7, v26, v25
	v_add_nc_u32_e32 v8, v0, v23
	v_cndmask_b32_e64 v9, v16, v19, s5
	v_add_nc_u32_e32 v1, v0, v1
	s_delay_alu instid0(VALU_DEP_4) | instskip(NEXT) | instid1(SALU_CYCLE_1)
	s_or_b32 s6, s6, s7
	s_and_b32 s6, s8, s6
	s_delay_alu instid0(VALU_DEP_2) | instskip(SKIP_2) | instid1(VALU_DEP_2)
	v_and_b32_e32 v9, 0xff, v9
	v_cndmask_b32_e64 v6, v21, v20, s6
	v_cndmask_b32_e64 v5, v22, v24, s6
	v_add_nc_u32_e32 v0, v0, v6
	v_cndmask_b32_e64 v6, v12, v13, s4
	s_waitcnt lgkmcnt(0)
	v_add_nc_u16 v4, v4, v7
	v_and_b32_e32 v7, 0xff, v7
	v_lshlrev_b16 v5, 8, v5
	ds_load_u8 v1, v1
	ds_load_u8 v8, v8
	;; [unrolled: 1-line block ×3, first 2 shown]
	v_lshlrev_b16 v6, 8, v6
	v_and_b32_e32 v4, 0xff, v4
	v_or_b32_e32 v5, v9, v5
	s_delay_alu instid0(VALU_DEP_3) | instskip(NEXT) | instid1(VALU_DEP_3)
	v_or_b32_e32 v7, v7, v6
	v_or_b32_e32 v4, v4, v6
	s_delay_alu instid0(VALU_DEP_3) | instskip(NEXT) | instid1(VALU_DEP_3)
	v_lshlrev_b32_e32 v5, 16, v5
	v_and_b32_e32 v6, 0xffff, v7
	s_delay_alu instid0(VALU_DEP_3) | instskip(NEXT) | instid1(VALU_DEP_2)
	v_and_b32_e32 v4, 0xffff, v4
	v_or_b32_e32 v6, v6, v5
	s_delay_alu instid0(VALU_DEP_2) | instskip(NEXT) | instid1(VALU_DEP_1)
	v_or_b32_e32 v4, v4, v5
	v_cndmask_b32_e32 v4, v6, v4, vcc_lo
	s_delay_alu instid0(VALU_DEP_1) | instskip(SKIP_1) | instid1(VALU_DEP_1)
	v_lshrrev_b32_e32 v5, 8, v4
	s_waitcnt lgkmcnt(2)
	v_add_nc_u16 v1, v5, v1
	v_and_b32_e32 v5, 0xff, v4
	s_delay_alu instid0(VALU_DEP_2) | instskip(NEXT) | instid1(VALU_DEP_1)
	v_lshlrev_b16 v1, 8, v1
	v_or_b32_e32 v1, v5, v1
	s_delay_alu instid0(VALU_DEP_1) | instskip(NEXT) | instid1(VALU_DEP_1)
	v_and_b32_e32 v1, 0xffff, v1
	v_and_or_b32 v1, 0xffff0000, v4, v1
	s_delay_alu instid0(VALU_DEP_1) | instskip(NEXT) | instid1(VALU_DEP_1)
	v_cndmask_b32_e64 v1, v4, v1, s0
	v_lshrrev_b32_e32 v4, 16, v1
	s_waitcnt lgkmcnt(1)
	s_delay_alu instid0(VALU_DEP_1) | instskip(SKIP_1) | instid1(VALU_DEP_2)
	v_add_nc_u16 v5, v4, v8
	v_and_b32_e32 v4, 0xffffff00, v4
	v_and_b32_e32 v5, 0xff, v5
	s_delay_alu instid0(VALU_DEP_1) | instskip(NEXT) | instid1(VALU_DEP_1)
	v_or_b32_e32 v4, v5, v4
	v_lshlrev_b32_e32 v4, 16, v4
	s_delay_alu instid0(VALU_DEP_1) | instskip(NEXT) | instid1(VALU_DEP_1)
	v_and_or_b32 v4, 0xffff, v1, v4
	v_cndmask_b32_e64 v1, v1, v4, s1
	s_delay_alu instid0(VALU_DEP_1) | instskip(SKIP_2) | instid1(VALU_DEP_2)
	v_lshrrev_b32_e32 v4, 24, v1
	v_lshrrev_b32_e32 v5, 16, v1
	s_waitcnt lgkmcnt(0)
	v_add_nc_u16 v0, v4, v0
	s_delay_alu instid0(VALU_DEP_2) | instskip(NEXT) | instid1(VALU_DEP_2)
	v_and_b32_e32 v4, 0xff, v5
	v_lshlrev_b16 v0, 8, v0
	s_delay_alu instid0(VALU_DEP_1) | instskip(SKIP_1) | instid1(VALU_DEP_1)
	v_or_b32_e32 v0, v4, v0
	v_add_co_u32 v4, s3, s10, v3
	v_add_co_ci_u32_e64 v5, null, s11, 0, s3
	s_delay_alu instid0(VALU_DEP_3) | instskip(NEXT) | instid1(VALU_DEP_1)
	v_lshlrev_b32_e32 v0, 16, v0
	v_and_or_b32 v0, 0xffff, v1, v0
	s_delay_alu instid0(VALU_DEP_1) | instskip(SKIP_1) | instid1(VALU_DEP_1)
	v_cndmask_b32_e64 v3, v1, v0, s2
	v_add_co_u32 v0, s3, v4, v2
	v_add_co_ci_u32_e64 v1, s3, 0, v5, s3
	s_and_saveexec_b32 s3, vcc_lo
	s_cbranch_execnz .LBB55_47
; %bb.43:
	s_or_b32 exec_lo, exec_lo, s3
	s_and_saveexec_b32 s3, s0
	s_cbranch_execnz .LBB55_48
.LBB55_44:
	s_or_b32 exec_lo, exec_lo, s3
	s_and_saveexec_b32 s0, s1
	s_cbranch_execnz .LBB55_49
.LBB55_45:
	s_or_b32 exec_lo, exec_lo, s0
	s_and_saveexec_b32 s0, s2
	s_cbranch_execnz .LBB55_50
.LBB55_46:
	s_nop 0
	s_sendmsg sendmsg(MSG_DEALLOC_VGPRS)
	s_endpgm
.LBB55_47:
	global_store_b8 v[0:1], v3, off
	s_or_b32 exec_lo, exec_lo, s3
	s_and_saveexec_b32 s3, s0
	s_cbranch_execz .LBB55_44
.LBB55_48:
	v_lshrrev_b32_e32 v2, 8, v3
	global_store_b8 v[0:1], v2, off offset:1
	s_or_b32 exec_lo, exec_lo, s3
	s_and_saveexec_b32 s0, s1
	s_cbranch_execz .LBB55_45
.LBB55_49:
	global_store_d16_hi_b8 v[0:1], v3, off offset:2
	s_or_b32 exec_lo, exec_lo, s0
	s_and_saveexec_b32 s0, s2
	s_cbranch_execz .LBB55_46
.LBB55_50:
	v_lshrrev_b32_e32 v2, 24, v3
	global_store_b8 v[0:1], v2, off offset:3
	s_nop 0
	s_sendmsg sendmsg(MSG_DEALLOC_VGPRS)
	s_endpgm
	.section	.rodata,"a",@progbits
	.p2align	6, 0x0
	.amdhsa_kernel _Z20sort_pairs_segmentedILj256ELj4ELj4EaN10test_utils4lessEEvPKT2_PS2_PKjT3_
		.amdhsa_group_segment_fixed_size 1088
		.amdhsa_private_segment_fixed_size 0
		.amdhsa_kernarg_size 28
		.amdhsa_user_sgpr_count 15
		.amdhsa_user_sgpr_dispatch_ptr 0
		.amdhsa_user_sgpr_queue_ptr 0
		.amdhsa_user_sgpr_kernarg_segment_ptr 1
		.amdhsa_user_sgpr_dispatch_id 0
		.amdhsa_user_sgpr_private_segment_size 0
		.amdhsa_wavefront_size32 1
		.amdhsa_uses_dynamic_stack 0
		.amdhsa_enable_private_segment 0
		.amdhsa_system_sgpr_workgroup_id_x 1
		.amdhsa_system_sgpr_workgroup_id_y 0
		.amdhsa_system_sgpr_workgroup_id_z 0
		.amdhsa_system_sgpr_workgroup_info 0
		.amdhsa_system_vgpr_workitem_id 0
		.amdhsa_next_free_vgpr 27
		.amdhsa_next_free_sgpr 16
		.amdhsa_reserve_vcc 1
		.amdhsa_float_round_mode_32 0
		.amdhsa_float_round_mode_16_64 0
		.amdhsa_float_denorm_mode_32 3
		.amdhsa_float_denorm_mode_16_64 3
		.amdhsa_dx10_clamp 1
		.amdhsa_ieee_mode 1
		.amdhsa_fp16_overflow 0
		.amdhsa_workgroup_processor_mode 1
		.amdhsa_memory_ordered 1
		.amdhsa_forward_progress 0
		.amdhsa_shared_vgpr_count 0
		.amdhsa_exception_fp_ieee_invalid_op 0
		.amdhsa_exception_fp_denorm_src 0
		.amdhsa_exception_fp_ieee_div_zero 0
		.amdhsa_exception_fp_ieee_overflow 0
		.amdhsa_exception_fp_ieee_underflow 0
		.amdhsa_exception_fp_ieee_inexact 0
		.amdhsa_exception_int_div_zero 0
	.end_amdhsa_kernel
	.section	.text._Z20sort_pairs_segmentedILj256ELj4ELj4EaN10test_utils4lessEEvPKT2_PS2_PKjT3_,"axG",@progbits,_Z20sort_pairs_segmentedILj256ELj4ELj4EaN10test_utils4lessEEvPKT2_PS2_PKjT3_,comdat
.Lfunc_end55:
	.size	_Z20sort_pairs_segmentedILj256ELj4ELj4EaN10test_utils4lessEEvPKT2_PS2_PKjT3_, .Lfunc_end55-_Z20sort_pairs_segmentedILj256ELj4ELj4EaN10test_utils4lessEEvPKT2_PS2_PKjT3_
                                        ; -- End function
	.section	.AMDGPU.csdata,"",@progbits
; Kernel info:
; codeLenInByte = 3900
; NumSgprs: 18
; NumVgprs: 27
; ScratchSize: 0
; MemoryBound: 0
; FloatMode: 240
; IeeeMode: 1
; LDSByteSize: 1088 bytes/workgroup (compile time only)
; SGPRBlocks: 2
; VGPRBlocks: 3
; NumSGPRsForWavesPerEU: 18
; NumVGPRsForWavesPerEU: 27
; Occupancy: 16
; WaveLimiterHint : 0
; COMPUTE_PGM_RSRC2:SCRATCH_EN: 0
; COMPUTE_PGM_RSRC2:USER_SGPR: 15
; COMPUTE_PGM_RSRC2:TRAP_HANDLER: 0
; COMPUTE_PGM_RSRC2:TGID_X_EN: 1
; COMPUTE_PGM_RSRC2:TGID_Y_EN: 0
; COMPUTE_PGM_RSRC2:TGID_Z_EN: 0
; COMPUTE_PGM_RSRC2:TIDIG_COMP_CNT: 0
	.section	.text._Z9sort_keysILj256ELj4ELj8EaN10test_utils4lessEEvPKT2_PS2_T3_,"axG",@progbits,_Z9sort_keysILj256ELj4ELj8EaN10test_utils4lessEEvPKT2_PS2_T3_,comdat
	.protected	_Z9sort_keysILj256ELj4ELj8EaN10test_utils4lessEEvPKT2_PS2_T3_ ; -- Begin function _Z9sort_keysILj256ELj4ELj8EaN10test_utils4lessEEvPKT2_PS2_T3_
	.globl	_Z9sort_keysILj256ELj4ELj8EaN10test_utils4lessEEvPKT2_PS2_T3_
	.p2align	8
	.type	_Z9sort_keysILj256ELj4ELj8EaN10test_utils4lessEEvPKT2_PS2_T3_,@function
_Z9sort_keysILj256ELj4ELj8EaN10test_utils4lessEEvPKT2_PS2_T3_: ; @_Z9sort_keysILj256ELj4ELj8EaN10test_utils4lessEEvPKT2_PS2_T3_
; %bb.0:
	s_load_b128 s[8:11], s[0:1], 0x0
	s_lshl_b32 s12, s15, 11
	v_lshlrev_b32_e32 v1, 3, v0
	v_lshrrev_b32_e32 v0, 2, v0
	s_waitcnt lgkmcnt(0)
	s_add_u32 s0, s8, s12
	s_addc_u32 s1, s9, 0
	global_load_b64 v[2:3], v1, s[0:1]
	; wave barrier
	s_waitcnt vmcnt(0)
	v_lshrrev_b32_e32 v4, 8, v2
	v_bfe_i32 v5, v2, 0, 8
	v_perm_b32 v6, v2, v2, 0x3020405
	s_delay_alu instid0(VALU_DEP_3) | instskip(NEXT) | instid1(VALU_DEP_1)
	v_bfe_i32 v4, v4, 0, 8
	v_cmp_lt_i16_e32 vcc_lo, v4, v5
	s_delay_alu instid0(VALU_DEP_3) | instskip(NEXT) | instid1(VALU_DEP_1)
	v_cndmask_b32_e32 v2, v2, v6, vcc_lo
	v_lshrrev_b32_e32 v6, 16, v2
	v_lshrrev_b32_e32 v8, 24, v2
	s_delay_alu instid0(VALU_DEP_2) | instskip(NEXT) | instid1(VALU_DEP_2)
	v_perm_b32 v7, 0, v6, 0xc0c0001
	v_bfe_i32 v8, v8, 0, 8
	v_bfe_i32 v6, v6, 0, 8
	s_delay_alu instid0(VALU_DEP_3) | instskip(NEXT) | instid1(VALU_DEP_2)
	v_lshlrev_b32_e32 v7, 16, v7
	v_cmp_lt_i16_e32 vcc_lo, v8, v6
	v_min_i16 v9, v8, v6
	v_max_i16 v6, v8, v6
	s_delay_alu instid0(VALU_DEP_4) | instskip(NEXT) | instid1(VALU_DEP_3)
	v_and_or_b32 v7, 0xffff, v2, v7
	v_lshlrev_b16 v12, 8, v9
	s_delay_alu instid0(VALU_DEP_2) | instskip(SKIP_2) | instid1(VALU_DEP_3)
	v_cndmask_b32_e32 v2, v2, v7, vcc_lo
	v_max_i16 v7, v4, v5
	v_min_i16 v4, v4, v5
	v_lshrrev_b32_e32 v10, 16, v2
	s_delay_alu instid0(VALU_DEP_3)
	v_and_b32_e32 v11, 0xff, v7
	v_and_b32_e32 v13, 0xff, v2
	v_cmp_lt_i16_e32 vcc_lo, v9, v7
	v_min_i16 v5, v9, v7
	v_and_b32_e32 v10, 0xffffff00, v10
	v_lshlrev_b16 v8, 8, v4
	v_or_b32_e32 v12, v13, v12
	v_max_i16 v7, v9, v7
	s_delay_alu instid0(VALU_DEP_4) | instskip(NEXT) | instid1(VALU_DEP_3)
	v_or_b32_e32 v10, v11, v10
	v_and_b32_e32 v11, 0xffff, v12
	v_lshrrev_b32_e32 v12, 8, v3
	s_delay_alu instid0(VALU_DEP_4) | instskip(NEXT) | instid1(VALU_DEP_4)
	v_lshlrev_b16 v17, 8, v7
	v_lshlrev_b32_e32 v10, 16, v10
	s_delay_alu instid0(VALU_DEP_3) | instskip(NEXT) | instid1(VALU_DEP_2)
	v_bfe_i32 v12, v12, 0, 8
	v_or_b32_e32 v10, v11, v10
	v_bfe_i32 v11, v3, 0, 8
	s_delay_alu instid0(VALU_DEP_2) | instskip(NEXT) | instid1(VALU_DEP_2)
	v_cndmask_b32_e32 v2, v2, v10, vcc_lo
	v_min_i16 v10, v12, v11
	v_cmp_lt_i16_e64 s0, v12, v11
	v_max_i16 v11, v12, v11
	s_delay_alu instid0(VALU_DEP_4) | instskip(NEXT) | instid1(VALU_DEP_4)
	v_lshrrev_b32_e32 v13, 16, v2
	v_lshlrev_b16 v14, 8, v10
	v_cmp_lt_i16_e32 vcc_lo, v10, v6
	v_min_i16 v15, v10, v6
	s_delay_alu instid0(VALU_DEP_4) | instskip(NEXT) | instid1(VALU_DEP_2)
	v_and_b32_e32 v13, 0xff, v13
	v_and_b32_e32 v16, 0xff, v15
	s_delay_alu instid0(VALU_DEP_2) | instskip(SKIP_1) | instid1(VALU_DEP_2)
	v_or_b32_e32 v13, v13, v14
	v_and_b32_e32 v14, 0xff, v5
	v_lshlrev_b32_e32 v13, 16, v13
	s_delay_alu instid0(VALU_DEP_2) | instskip(SKIP_1) | instid1(VALU_DEP_3)
	v_or_b32_e32 v8, v14, v8
	v_perm_b32 v14, v3, v3, 0x7060405
	v_and_or_b32 v13, 0xffff, v2, v13
	s_delay_alu instid0(VALU_DEP_3) | instskip(NEXT) | instid1(VALU_DEP_3)
	v_and_b32_e32 v8, 0xffff, v8
	v_cndmask_b32_e64 v3, v3, v14, s0
	v_cmp_lt_i16_e64 s0, v9, v4
	s_delay_alu instid0(VALU_DEP_4) | instskip(SKIP_1) | instid1(VALU_DEP_4)
	v_cndmask_b32_e32 v2, v2, v13, vcc_lo
	v_or_b32_e32 v13, v16, v17
	v_lshrrev_b32_e32 v12, 24, v3
	v_lshrrev_b32_e32 v14, 16, v3
	v_cndmask_b32_e64 v16, v5, v4, s0
	v_and_or_b32 v8, 0xffff0000, v2, v8
	v_lshlrev_b32_e32 v13, 16, v13
	v_cndmask_b32_e64 v4, v4, v5, s0
	v_bfe_i32 v9, v14, 0, 8
	v_and_b32_e32 v19, 0xff, v16
	v_cndmask_b32_e64 v2, v2, v8, s0
	v_bfe_i32 v8, v12, 0, 8
	v_perm_b32 v12, v3, v3, 0x6070504
	v_and_b32_e32 v14, 0xff, v11
	s_delay_alu instid0(VALU_DEP_4) | instskip(NEXT) | instid1(VALU_DEP_4)
	v_and_or_b32 v13, 0xffff, v2, v13
	v_cmp_lt_i16_e64 s1, v8, v9
	s_delay_alu instid0(VALU_DEP_1) | instskip(SKIP_3) | instid1(VALU_DEP_4)
	v_cndmask_b32_e64 v3, v3, v12, s1
	v_cmp_lt_i16_e64 s1, v15, v7
	v_max_i16 v12, v8, v9
	v_min_i16 v8, v8, v9
	v_perm_b32 v17, v6, v3, 0x3020104
	s_delay_alu instid0(VALU_DEP_4)
	v_cndmask_b32_e64 v2, v2, v13, s1
	v_min_i16 v13, v15, v7
	v_max_i16 v6, v10, v6
	v_min_i16 v21, v8, v11
	v_cndmask_b32_e32 v3, v3, v17, vcc_lo
	v_lshrrev_b32_e32 v9, 16, v2
	v_lshlrev_b16 v18, 8, v13
	v_and_b32_e32 v20, 0xff, v2
	v_cmp_lt_i16_e64 s1, v13, v16
	v_lshrrev_b32_e32 v27, 16, v3
	v_and_b32_e32 v9, 0xffffff00, v9
	v_lshlrev_b16 v10, 8, v8
	v_or_b32_e32 v18, v20, v18
	v_min_i16 v5, v13, v16
	v_and_b32_e32 v28, 0xff, v3
	v_or_b32_e32 v9, v19, v9
	v_and_b32_e32 v22, 0xff, v21
	v_and_b32_e32 v18, 0xffff, v18
	v_lshlrev_b16 v23, 8, v6
	v_max_i16 v7, v15, v7
	v_lshlrev_b32_e32 v9, 16, v9
	v_and_b32_e32 v29, 0xff, v5
	v_or_b32_e32 v10, v28, v10
	v_or_b32_e32 v22, v22, v23
	v_max_i16 v13, v13, v16
	v_or_b32_e32 v9, v18, v9
	v_min_i16 v18, v21, v6
	v_and_b32_e32 v10, 0xffff, v10
	v_max_i16 v19, v8, v11
	v_and_b32_e32 v17, 0xffff, v22
	v_cndmask_b32_e64 v2, v2, v9, s1
	v_lshlrev_b16 v9, 8, v18
	v_min_i16 v25, v18, v7
	v_cmp_lt_i16_e32 vcc_lo, v18, v7
	v_cmp_lt_i16_e64 s0, v8, v11
	v_lshrrev_b32_e32 v26, 16, v2
	v_and_b32_e32 v20, 0xff, v12
	v_and_b32_e32 v22, 0xff, v25
	v_lshlrev_b16 v15, 8, v19
	v_max_i16 v23, v18, v7
	v_and_b32_e32 v26, 0xff, v26
	v_min_i16 v18, v5, v4
	v_max_i16 v24, v21, v6
	v_or_b32_e32 v15, v20, v15
	s_mov_b32 s1, exec_lo
	v_or_b32_e32 v9, v26, v9
	v_and_b32_e32 v26, 0xffffff00, v27
	v_lshlrev_b16 v27, 8, v4
	v_lshlrev_b32_e32 v15, 16, v15
	v_and_b32_e32 v20, 0xff, v24
	v_lshlrev_b32_e32 v9, 16, v9
	v_or_b32_e32 v14, v14, v26
	v_or_b32_e32 v16, v29, v27
	v_lshlrev_b16 v26, 8, v13
	s_delay_alu instid0(VALU_DEP_4) | instskip(NEXT) | instid1(VALU_DEP_4)
	v_and_or_b32 v9, 0xffff, v2, v9
	v_lshlrev_b32_e32 v14, 16, v14
	s_delay_alu instid0(VALU_DEP_4) | instskip(NEXT) | instid1(VALU_DEP_3)
	v_and_b32_e32 v16, 0xffff, v16
	v_cndmask_b32_e32 v2, v2, v9, vcc_lo
	s_delay_alu instid0(VALU_DEP_3) | instskip(SKIP_2) | instid1(VALU_DEP_4)
	v_or_b32_e32 v10, v10, v14
	v_or_b32_e32 v14, v22, v26
	v_lshlrev_b16 v9, 8, v23
	v_and_or_b32 v16, 0xffff0000, v2, v16
	s_delay_alu instid0(VALU_DEP_4)
	v_cndmask_b32_e64 v3, v3, v10, s0
	v_cmp_lt_i16_e64 s0, v5, v4
	v_lshlrev_b32_e32 v8, 16, v14
	v_max_i16 v4, v5, v4
	v_min_i16 v14, v25, v13
	v_and_or_b32 v5, 0xffff0000, v3, v17
	v_cndmask_b32_e64 v2, v2, v16, s0
	v_cmp_lt_i16_e64 s0, v21, v6
	v_max_i16 v10, v25, v13
	v_lshlrev_b16 v6, 8, v14
	s_delay_alu instid0(VALU_DEP_4) | instskip(NEXT) | instid1(VALU_DEP_4)
	v_and_or_b32 v8, 0xffff, v2, v8
	v_cndmask_b32_e64 v3, v3, v5, s0
	v_cmp_lt_i16_e64 s0, v25, v13
	v_and_b32_e32 v5, 0xff, v4
	v_max_i16 v13, v14, v4
	s_delay_alu instid0(VALU_DEP_3)
	v_cndmask_b32_e64 v2, v2, v8, s0
	v_and_or_b32 v8, 0xffff, v3, v15
	v_cmp_gt_i16_e64 s0, v11, v12
	v_min_i16 v15, v14, v4
	v_lshlrev_b16 v21, 8, v13
	v_lshrrev_b32_e32 v16, 16, v2
	v_and_b32_e32 v11, 0xff, v2
	v_cndmask_b32_e64 v3, v3, v8, s0
	v_lshlrev_b16 v8, 8, v18
	v_and_b32_e32 v17, 0xff, v15
	v_and_b32_e32 v16, 0xffffff00, v16
	v_or_b32_e32 v6, v11, v6
	v_perm_b32 v7, v7, v3, 0x3020104
	v_cndmask_b32_e64 v11, v12, v19, s0
	v_or_b32_e32 v8, v17, v8
	v_or_b32_e32 v5, v5, v16
	s_delay_alu instid0(VALU_DEP_4) | instskip(SKIP_2) | instid1(VALU_DEP_4)
	v_dual_cndmask_b32 v3, v3, v7 :: v_dual_and_b32 v6, 0xffff, v6
	v_cndmask_b32_e64 v7, v19, v12, s0
	v_cmp_lt_i16_e32 vcc_lo, v14, v4
	v_lshlrev_b32_e32 v5, 16, v5
	s_delay_alu instid0(VALU_DEP_4) | instskip(NEXT) | instid1(VALU_DEP_4)
	v_lshrrev_b32_e32 v12, 16, v3
	v_lshlrev_b16 v16, 8, v7
	v_min_i16 v19, v7, v24
	s_delay_alu instid0(VALU_DEP_4) | instskip(SKIP_3) | instid1(VALU_DEP_4)
	v_or_b32_e32 v5, v6, v5
	v_and_b32_e32 v6, 0xff, v3
	v_and_b32_e32 v12, 0xffffff00, v12
	v_max_i16 v17, v7, v24
	v_cndmask_b32_e32 v2, v2, v5, vcc_lo
	s_delay_alu instid0(VALU_DEP_4) | instskip(NEXT) | instid1(VALU_DEP_4)
	v_or_b32_e32 v4, v6, v16
	v_or_b32_e32 v5, v20, v12
	v_and_b32_e32 v6, 0xff, v19
	v_min_i16 v12, v19, v23
	v_lshrrev_b32_e32 v16, 16, v2
	v_and_b32_e32 v4, 0xffff, v4
	v_lshlrev_b32_e32 v5, 16, v5
	v_or_b32_e32 v6, v6, v9
	v_lshlrev_b16 v9, 8, v12
	v_and_b32_e32 v16, 0xff, v16
	v_cmp_lt_i16_e32 vcc_lo, v7, v24
	v_or_b32_e32 v4, v4, v5
	v_and_b32_e32 v20, 0xff, v11
	v_lshlrev_b16 v5, 8, v17
	v_and_b32_e32 v6, 0xffff, v6
	v_or_b32_e32 v9, v16, v9
	v_cndmask_b32_e32 v3, v3, v4, vcc_lo
	v_cmp_lt_i16_e32 vcc_lo, v19, v23
	v_or_b32_e32 v5, v20, v5
	v_and_b32_e32 v4, 0xffff, v8
	v_lshlrev_b32_e32 v7, 16, v9
	v_and_or_b32 v6, 0xffff0000, v3, v6
	v_min_i16 v9, v12, v10
	v_lshlrev_b32_e32 v5, 16, v5
	v_cmp_lt_i16_e64 s0, v11, v17
	v_and_or_b32 v7, 0xffff, v2, v7
	v_cndmask_b32_e32 v3, v3, v6, vcc_lo
	v_cmp_lt_i16_e32 vcc_lo, v12, v10
	v_and_b32_e32 v6, 0xff, v9
	v_max_i16 v8, v19, v23
	v_min_i16 v16, v11, v17
	v_and_or_b32 v5, 0xffff, v3, v5
	v_cndmask_b32_e32 v2, v2, v7, vcc_lo
	v_or_b32_e32 v6, v6, v21
	v_max_i16 v7, v11, v17
	v_max_i16 v11, v12, v10
	v_cndmask_b32_e64 v3, v3, v5, s0
	v_and_or_b32 v4, 0xffff0000, v2, v4
	v_cmp_lt_i16_e64 s0, v14, v18
	v_lshlrev_b32_e32 v5, 16, v6
	v_max_i16 v12, v16, v8
	v_perm_b32 v6, v10, v3, 0x3020104
	v_lshlrev_b16 v10, 8, v16
	v_cndmask_b32_e64 v2, v2, v4, s0
	v_and_b32_e32 v4, 0xff, v8
	v_cndmask_b32_e64 v15, v15, v18, s0
	v_cndmask_b32_e32 v3, v3, v6, vcc_lo
	v_cmp_lt_i16_e32 vcc_lo, v9, v13
	v_and_or_b32 v5, 0xffff, v2, v5
	v_min_i16 v6, v9, v13
	v_and_b32_e32 v20, 0xff, v15
	v_lshrrev_b32_e32 v14, 16, v3
	s_delay_alu instid0(VALU_DEP_4) | instskip(SKIP_2) | instid1(VALU_DEP_4)
	v_dual_cndmask_b32 v2, v2, v5 :: v_dual_and_b32 v19, 0xff, v3
	v_min_i16 v5, v16, v8
	v_lshlrev_b16 v17, 8, v6
	v_and_b32_e32 v14, 0xffffff00, v14
	s_delay_alu instid0(VALU_DEP_4)
	v_or_b32_e32 v10, v19, v10
	v_lshrrev_b32_e32 v18, 16, v2
	v_and_b32_e32 v21, 0xff, v2
	v_and_b32_e32 v22, 0xff, v5
	v_or_b32_e32 v4, v4, v14
	v_and_b32_e32 v10, 0xffff, v10
	v_and_b32_e32 v18, 0xffffff00, v18
	v_or_b32_e32 v14, v21, v17
	v_cmp_lt_i16_e32 vcc_lo, v16, v8
	v_lshlrev_b32_e32 v4, 16, v4
	v_and_b32_e32 v19, 0xff, v7
	v_or_b32_e32 v17, v20, v18
	v_lshlrev_b16 v18, 8, v11
	v_and_b32_e32 v14, 0xffff, v14
	v_or_b32_e32 v4, v10, v4
	v_lshlrev_b16 v10, 8, v12
	v_lshlrev_b32_e32 v17, 16, v17
	v_or_b32_e32 v18, v22, v18
	v_max_i16 v9, v9, v13
	v_cndmask_b32_e32 v3, v3, v4, vcc_lo
	v_cmp_lt_i16_e32 vcc_lo, v6, v15
	v_or_b32_e32 v14, v14, v17
	v_and_b32_e32 v17, 0xffff, v18
	v_or_b32_e32 v6, v19, v10
	v_min_i16 v4, v5, v11
	s_delay_alu instid0(VALU_DEP_4) | instskip(NEXT) | instid1(VALU_DEP_4)
	v_cndmask_b32_e32 v2, v2, v14, vcc_lo
	v_and_or_b32 v10, 0xffff0000, v3, v17
	v_cmp_lt_i16_e32 vcc_lo, v5, v11
	v_lshlrev_b32_e32 v6, 16, v6
	v_lshlrev_b16 v15, 8, v4
	v_lshrrev_b32_e32 v14, 16, v2
	v_cmp_lt_i16_e64 s0, v4, v9
	v_cndmask_b32_e32 v3, v3, v10, vcc_lo
	v_cmp_gt_i16_e32 vcc_lo, v8, v7
	v_mbcnt_lo_u32_b32 v4, -1, 0
	v_and_b32_e32 v10, 0xff, v14
	v_max_i16 v11, v5, v11
	v_and_or_b32 v6, 0xffff, v3, v6
	v_cndmask_b32_e32 v12, v12, v7, vcc_lo
	s_delay_alu instid0(VALU_DEP_4) | instskip(NEXT) | instid1(VALU_DEP_4)
	v_or_b32_e32 v10, v10, v15
	v_and_b32_e32 v7, 0xff, v11
	s_delay_alu instid0(VALU_DEP_4) | instskip(NEXT) | instid1(VALU_DEP_3)
	v_cndmask_b32_e32 v3, v3, v6, vcc_lo
	v_lshlrev_b32_e32 v6, 16, v10
	s_delay_alu instid0(VALU_DEP_2) | instskip(NEXT) | instid1(VALU_DEP_2)
	v_perm_b32 v8, v9, v3, 0x3020104
	v_and_or_b32 v6, 0xffff, v2, v6
	s_delay_alu instid0(VALU_DEP_2) | instskip(SKIP_2) | instid1(VALU_DEP_4)
	v_cndmask_b32_e64 v13, v3, v8, s0
	v_lshlrev_b32_e32 v3, 3, v4
	v_lshlrev_b16 v8, 8, v12
	v_cndmask_b32_e64 v10, v2, v6, s0
	s_mov_b32 s0, 0
	v_lshrrev_b32_e32 v2, 16, v13
	v_and_b32_e32 v6, 16, v3
	v_and_b32_e32 v9, 0xff, v13
	s_delay_alu instid0(VALU_DEP_3) | instskip(NEXT) | instid1(VALU_DEP_3)
	v_and_b32_e32 v2, 0xffffff00, v2
	v_or_b32_e32 v5, 8, v6
	v_add_nc_u32_e32 v4, 16, v6
	s_delay_alu instid0(VALU_DEP_4) | instskip(NEXT) | instid1(VALU_DEP_4)
	v_or_b32_e32 v8, v9, v8
	v_or_b32_e32 v9, v7, v2
	v_and_b32_e32 v7, 8, v3
	s_delay_alu instid0(VALU_DEP_4) | instskip(NEXT) | instid1(VALU_DEP_4)
	v_sub_nc_u32_e32 v14, v4, v5
	v_and_b32_e32 v8, 0xffff, v8
	v_and_b32_e32 v2, 24, v3
	v_lshlrev_b32_e32 v9, 16, v9
	v_sub_nc_u32_e32 v15, v5, v6
	v_sub_nc_u32_e32 v16, v7, v14
	v_cmp_ge_i32_e32 vcc_lo, v7, v14
	v_mad_u32_u24 v3, v0, 33, v2
	v_or_b32_e32 v17, v8, v9
	v_min_i32_e32 v9, v7, v15
	v_mul_u32_u24_e32 v0, 33, v0
	v_cndmask_b32_e32 v8, 0, v16, vcc_lo
	v_cmp_lt_i16_e32 vcc_lo, v12, v11
	v_cndmask_b32_e32 v11, v13, v17, vcc_lo
	ds_store_b64 v3, v[10:11]
	; wave barrier
	v_cmpx_lt_i32_e64 v8, v9
	s_cbranch_execz .LBB56_4
; %bb.1:
	v_add_nc_u32_e32 v10, v0, v6
	s_delay_alu instid0(VALU_DEP_1)
	v_add3_u32 v11, v10, v7, 8
	.p2align	6
.LBB56_2:                               ; =>This Inner Loop Header: Depth=1
	v_sub_nc_u32_e32 v12, v9, v8
	s_delay_alu instid0(VALU_DEP_1) | instskip(NEXT) | instid1(VALU_DEP_1)
	v_lshrrev_b32_e32 v13, 31, v12
	v_add_nc_u32_e32 v12, v12, v13
	s_delay_alu instid0(VALU_DEP_1) | instskip(NEXT) | instid1(VALU_DEP_1)
	v_ashrrev_i32_e32 v12, 1, v12
	v_add_nc_u32_e32 v12, v12, v8
	s_delay_alu instid0(VALU_DEP_1)
	v_add_nc_u32_e32 v13, v10, v12
	v_xad_u32 v14, v12, -1, v11
	v_add_nc_u32_e32 v15, 1, v12
	ds_load_i8 v13, v13
	ds_load_i8 v14, v14
	s_waitcnt lgkmcnt(0)
	v_cmp_lt_i16_e32 vcc_lo, v14, v13
	v_cndmask_b32_e32 v9, v9, v12, vcc_lo
	v_cndmask_b32_e32 v8, v15, v8, vcc_lo
	s_delay_alu instid0(VALU_DEP_1) | instskip(SKIP_1) | instid1(SALU_CYCLE_1)
	v_cmp_ge_i32_e32 vcc_lo, v8, v9
	s_or_b32 s0, vcc_lo, s0
	s_and_not1_b32 exec_lo, exec_lo, s0
	s_cbranch_execnz .LBB56_2
; %bb.3:
	s_or_b32 exec_lo, exec_lo, s0
.LBB56_4:
	s_delay_alu instid0(SALU_CYCLE_1) | instskip(SKIP_4) | instid1(VALU_DEP_4)
	s_or_b32 exec_lo, exec_lo, s1
	v_add_nc_u32_e32 v9, v6, v7
	v_add_nc_u32_e32 v10, v8, v6
	;; [unrolled: 1-line block ×3, first 2 shown]
	v_cmp_lt_i32_e32 vcc_lo, 7, v8
	v_sub_nc_u32_e32 v6, v9, v8
	s_delay_alu instid0(VALU_DEP_4) | instskip(NEXT) | instid1(VALU_DEP_2)
	v_add_nc_u32_e32 v9, v0, v10
	v_add_nc_u32_e32 v12, v0, v6
	ds_load_u8 v6, v9
	ds_load_u8 v11, v12 offset:8
	s_waitcnt lgkmcnt(1)
	v_bfe_i32 v6, v6, 0, 8
	s_waitcnt lgkmcnt(0)
	v_bfe_i32 v7, v11, 0, 8
	v_sub_nc_u32_e32 v11, v13, v8
                                        ; implicit-def: $vgpr8
	s_delay_alu instid0(VALU_DEP_2) | instskip(NEXT) | instid1(VALU_DEP_2)
	v_cmp_lt_i16_e64 s0, v7, v6
	v_cmp_gt_i32_e64 s1, v4, v11
	s_delay_alu instid0(VALU_DEP_2)
	s_or_b32 s0, vcc_lo, s0
	s_delay_alu instid0(VALU_DEP_1) | instid1(SALU_CYCLE_1)
	s_and_b32 vcc_lo, s1, s0
	s_delay_alu instid0(SALU_CYCLE_1) | instskip(NEXT) | instid1(SALU_CYCLE_1)
	s_xor_b32 s0, vcc_lo, -1
	s_and_saveexec_b32 s1, s0
	s_delay_alu instid0(SALU_CYCLE_1)
	s_xor_b32 s0, exec_lo, s1
	s_cbranch_execz .LBB56_6
; %bb.5:
	ds_load_u8 v8, v9 offset:1
                                        ; implicit-def: $vgpr12
.LBB56_6:
	s_or_saveexec_b32 s0, s0
	v_mov_b32_e32 v9, v7
	s_xor_b32 exec_lo, exec_lo, s0
	s_cbranch_execz .LBB56_8
; %bb.7:
	ds_load_u8 v9, v12 offset:9
	s_waitcnt lgkmcnt(1)
	v_mov_b32_e32 v8, v6
.LBB56_8:
	s_or_b32 exec_lo, exec_lo, s0
	v_add_nc_u32_e32 v12, 1, v10
	v_add_nc_u32_e32 v14, 1, v11
	s_waitcnt lgkmcnt(0)
	v_bfe_i32 v15, v8, 0, 8
	s_delay_alu instid0(VALU_DEP_3) | instskip(SKIP_2) | instid1(VALU_DEP_3)
	v_cndmask_b32_e32 v13, v12, v10, vcc_lo
	v_bfe_i32 v10, v9, 0, 8
	v_cndmask_b32_e32 v12, v11, v14, vcc_lo
	v_cmp_ge_i32_e64 s0, v13, v5
	s_delay_alu instid0(VALU_DEP_3) | instskip(NEXT) | instid1(VALU_DEP_3)
	v_cmp_lt_i16_e64 s1, v10, v15
	v_cmp_lt_i32_e64 s2, v12, v4
                                        ; implicit-def: $vgpr10
	s_delay_alu instid0(VALU_DEP_2)
	s_or_b32 s0, s0, s1
	s_delay_alu instid0(VALU_DEP_1) | instid1(SALU_CYCLE_1)
	s_and_b32 s0, s2, s0
	s_delay_alu instid0(SALU_CYCLE_1) | instskip(NEXT) | instid1(SALU_CYCLE_1)
	s_xor_b32 s1, s0, -1
	s_and_saveexec_b32 s2, s1
	s_delay_alu instid0(SALU_CYCLE_1)
	s_xor_b32 s1, exec_lo, s2
	s_cbranch_execz .LBB56_10
; %bb.9:
	v_add_nc_u32_e32 v10, v0, v13
	ds_load_u8 v10, v10 offset:1
.LBB56_10:
	s_or_saveexec_b32 s1, s1
	v_mov_b32_e32 v11, v9
	s_xor_b32 exec_lo, exec_lo, s1
	s_cbranch_execz .LBB56_12
; %bb.11:
	s_waitcnt lgkmcnt(0)
	v_add_nc_u32_e32 v10, v0, v12
	ds_load_u8 v11, v10 offset:1
	v_mov_b32_e32 v10, v8
.LBB56_12:
	s_or_b32 exec_lo, exec_lo, s1
	v_add_nc_u32_e32 v14, 1, v13
	v_add_nc_u32_e32 v16, 1, v12
	s_waitcnt lgkmcnt(0)
	v_bfe_i32 v17, v10, 0, 8
	s_delay_alu instid0(VALU_DEP_3) | instskip(SKIP_2) | instid1(VALU_DEP_3)
	v_cndmask_b32_e64 v15, v14, v13, s0
	v_bfe_i32 v13, v11, 0, 8
	v_cndmask_b32_e64 v14, v12, v16, s0
                                        ; implicit-def: $vgpr12
	v_cmp_ge_i32_e64 s1, v15, v5
	s_delay_alu instid0(VALU_DEP_3) | instskip(NEXT) | instid1(VALU_DEP_3)
	v_cmp_lt_i16_e64 s2, v13, v17
	v_cmp_lt_i32_e64 s3, v14, v4
	s_delay_alu instid0(VALU_DEP_2)
	s_or_b32 s1, s1, s2
	s_delay_alu instid0(VALU_DEP_1) | instid1(SALU_CYCLE_1)
	s_and_b32 s1, s3, s1
	s_delay_alu instid0(SALU_CYCLE_1) | instskip(NEXT) | instid1(SALU_CYCLE_1)
	s_xor_b32 s2, s1, -1
	s_and_saveexec_b32 s3, s2
	s_delay_alu instid0(SALU_CYCLE_1)
	s_xor_b32 s2, exec_lo, s3
	s_cbranch_execz .LBB56_14
; %bb.13:
	v_add_nc_u32_e32 v12, v0, v15
	ds_load_u8 v12, v12 offset:1
.LBB56_14:
	s_or_saveexec_b32 s2, s2
	v_mov_b32_e32 v13, v11
	s_xor_b32 exec_lo, exec_lo, s2
	s_cbranch_execz .LBB56_16
; %bb.15:
	s_waitcnt lgkmcnt(0)
	v_add_nc_u32_e32 v12, v0, v14
	ds_load_u8 v13, v12 offset:1
	v_mov_b32_e32 v12, v10
.LBB56_16:
	s_or_b32 exec_lo, exec_lo, s2
	v_add_nc_u32_e32 v16, 1, v15
	v_add_nc_u32_e32 v18, 1, v14
	s_waitcnt lgkmcnt(0)
	v_bfe_i32 v19, v12, 0, 8
	s_delay_alu instid0(VALU_DEP_3) | instskip(SKIP_2) | instid1(VALU_DEP_3)
	v_cndmask_b32_e64 v17, v16, v15, s1
	v_bfe_i32 v15, v13, 0, 8
	v_cndmask_b32_e64 v16, v14, v18, s1
                                        ; implicit-def: $vgpr14
	v_cmp_ge_i32_e64 s2, v17, v5
	s_delay_alu instid0(VALU_DEP_3) | instskip(NEXT) | instid1(VALU_DEP_3)
	v_cmp_lt_i16_e64 s3, v15, v19
	v_cmp_lt_i32_e64 s4, v16, v4
	s_delay_alu instid0(VALU_DEP_2)
	s_or_b32 s2, s2, s3
	s_delay_alu instid0(VALU_DEP_1) | instid1(SALU_CYCLE_1)
	s_and_b32 s2, s4, s2
	s_delay_alu instid0(SALU_CYCLE_1) | instskip(NEXT) | instid1(SALU_CYCLE_1)
	s_xor_b32 s3, s2, -1
	s_and_saveexec_b32 s4, s3
	s_delay_alu instid0(SALU_CYCLE_1)
	s_xor_b32 s3, exec_lo, s4
	s_cbranch_execz .LBB56_18
; %bb.17:
	v_add_nc_u32_e32 v14, v0, v17
	ds_load_u8 v14, v14 offset:1
.LBB56_18:
	s_or_saveexec_b32 s3, s3
	v_mov_b32_e32 v15, v13
	s_xor_b32 exec_lo, exec_lo, s3
	s_cbranch_execz .LBB56_20
; %bb.19:
	s_waitcnt lgkmcnt(0)
	v_add_nc_u32_e32 v14, v0, v16
	ds_load_u8 v15, v14 offset:1
	v_mov_b32_e32 v14, v12
.LBB56_20:
	s_or_b32 exec_lo, exec_lo, s3
	v_add_nc_u32_e32 v18, 1, v17
	v_add_nc_u32_e32 v20, 1, v16
	s_waitcnt lgkmcnt(0)
	v_bfe_i32 v21, v14, 0, 8
	s_delay_alu instid0(VALU_DEP_3) | instskip(SKIP_2) | instid1(VALU_DEP_3)
	v_cndmask_b32_e64 v19, v18, v17, s2
	v_bfe_i32 v17, v15, 0, 8
	v_cndmask_b32_e64 v18, v16, v20, s2
                                        ; implicit-def: $vgpr16
	v_cmp_ge_i32_e64 s3, v19, v5
	s_delay_alu instid0(VALU_DEP_3) | instskip(NEXT) | instid1(VALU_DEP_3)
	v_cmp_lt_i16_e64 s4, v17, v21
	v_cmp_lt_i32_e64 s5, v18, v4
	s_delay_alu instid0(VALU_DEP_2)
	s_or_b32 s3, s3, s4
	s_delay_alu instid0(VALU_DEP_1) | instid1(SALU_CYCLE_1)
	s_and_b32 s3, s5, s3
	s_delay_alu instid0(SALU_CYCLE_1) | instskip(NEXT) | instid1(SALU_CYCLE_1)
	s_xor_b32 s4, s3, -1
	s_and_saveexec_b32 s5, s4
	s_delay_alu instid0(SALU_CYCLE_1)
	s_xor_b32 s4, exec_lo, s5
	s_cbranch_execz .LBB56_22
; %bb.21:
	v_add_nc_u32_e32 v16, v0, v19
	ds_load_u8 v16, v16 offset:1
.LBB56_22:
	s_or_saveexec_b32 s4, s4
	v_mov_b32_e32 v17, v15
	s_xor_b32 exec_lo, exec_lo, s4
	s_cbranch_execz .LBB56_24
; %bb.23:
	s_waitcnt lgkmcnt(0)
	v_add_nc_u32_e32 v16, v0, v18
	ds_load_u8 v17, v16 offset:1
	v_mov_b32_e32 v16, v14
.LBB56_24:
	s_or_b32 exec_lo, exec_lo, s4
	v_add_nc_u32_e32 v20, 1, v19
	v_add_nc_u32_e32 v22, 1, v18
	s_waitcnt lgkmcnt(0)
	v_bfe_i32 v23, v16, 0, 8
	s_delay_alu instid0(VALU_DEP_3) | instskip(SKIP_2) | instid1(VALU_DEP_3)
	v_cndmask_b32_e64 v21, v20, v19, s3
	v_bfe_i32 v19, v17, 0, 8
	v_cndmask_b32_e64 v20, v18, v22, s3
                                        ; implicit-def: $vgpr18
	v_cmp_ge_i32_e64 s4, v21, v5
	s_delay_alu instid0(VALU_DEP_3) | instskip(NEXT) | instid1(VALU_DEP_3)
	v_cmp_lt_i16_e64 s5, v19, v23
	v_cmp_lt_i32_e64 s6, v20, v4
	s_delay_alu instid0(VALU_DEP_2)
	s_or_b32 s4, s4, s5
	s_delay_alu instid0(VALU_DEP_1) | instid1(SALU_CYCLE_1)
	s_and_b32 s4, s6, s4
	s_delay_alu instid0(SALU_CYCLE_1) | instskip(NEXT) | instid1(SALU_CYCLE_1)
	s_xor_b32 s5, s4, -1
	s_and_saveexec_b32 s6, s5
	s_delay_alu instid0(SALU_CYCLE_1)
	s_xor_b32 s5, exec_lo, s6
	s_cbranch_execz .LBB56_26
; %bb.25:
	v_add_nc_u32_e32 v18, v0, v21
	ds_load_u8 v18, v18 offset:1
.LBB56_26:
	s_or_saveexec_b32 s5, s5
	v_mov_b32_e32 v19, v17
	s_xor_b32 exec_lo, exec_lo, s5
	s_cbranch_execz .LBB56_28
; %bb.27:
	s_waitcnt lgkmcnt(0)
	v_add_nc_u32_e32 v18, v0, v20
	ds_load_u8 v19, v18 offset:1
	v_mov_b32_e32 v18, v16
.LBB56_28:
	s_or_b32 exec_lo, exec_lo, s5
	v_add_nc_u32_e32 v22, 1, v21
	v_add_nc_u32_e32 v23, 1, v20
	s_waitcnt lgkmcnt(0)
	v_bfe_i32 v24, v18, 0, 8
	s_delay_alu instid0(VALU_DEP_3) | instskip(SKIP_2) | instid1(VALU_DEP_3)
	v_cndmask_b32_e64 v21, v22, v21, s4
	v_bfe_i32 v22, v19, 0, 8
	v_cndmask_b32_e64 v20, v20, v23, s4
	v_cmp_ge_i32_e64 s5, v21, v5
	s_delay_alu instid0(VALU_DEP_3) | instskip(NEXT) | instid1(VALU_DEP_3)
	v_cmp_lt_i16_e64 s6, v22, v24
	v_cmp_lt_i32_e64 s7, v20, v4
                                        ; implicit-def: $vgpr22
	s_delay_alu instid0(VALU_DEP_2)
	s_or_b32 s5, s5, s6
	s_delay_alu instid0(VALU_DEP_1) | instid1(SALU_CYCLE_1)
	s_and_b32 s5, s7, s5
	s_delay_alu instid0(SALU_CYCLE_1) | instskip(NEXT) | instid1(SALU_CYCLE_1)
	s_xor_b32 s6, s5, -1
	s_and_saveexec_b32 s7, s6
	s_delay_alu instid0(SALU_CYCLE_1)
	s_xor_b32 s6, exec_lo, s7
	s_cbranch_execz .LBB56_30
; %bb.29:
	v_add_nc_u32_e32 v22, v0, v21
	ds_load_u8 v22, v22 offset:1
.LBB56_30:
	s_or_saveexec_b32 s6, s6
	v_mov_b32_e32 v23, v19
	s_xor_b32 exec_lo, exec_lo, s6
	s_cbranch_execz .LBB56_32
; %bb.31:
	s_waitcnt lgkmcnt(0)
	v_add_nc_u32_e32 v22, v0, v20
	ds_load_u8 v23, v22 offset:1
	v_mov_b32_e32 v22, v18
.LBB56_32:
	s_or_b32 exec_lo, exec_lo, s6
	v_add_nc_u32_e32 v24, 1, v21
	v_cndmask_b32_e64 v18, v18, v19, s5
	v_dual_cndmask_b32 v6, v6, v7 :: v_dual_add_nc_u32 v19, 1, v20
	s_waitcnt lgkmcnt(0)
	v_bfe_i32 v25, v22, 0, 8
	v_bfe_i32 v26, v23, 0, 8
	v_cndmask_b32_e64 v21, v24, v21, s5
	v_cndmask_b32_e64 v16, v16, v17, s4
	;; [unrolled: 1-line block ×4, first 2 shown]
	v_cmp_lt_i16_e64 s3, v26, v25
	v_cmp_ge_i32_e64 s4, v21, v5
	v_cndmask_b32_e64 v5, v12, v13, s2
	v_cmp_lt_i32_e64 s2, v17, v4
	v_cndmask_b32_e64 v4, v8, v9, s0
	v_cndmask_b32_e64 v7, v10, v11, s1
	s_or_b32 s0, s4, s3
	v_and_b32_e32 v6, 0xff, v6
	s_and_b32 vcc_lo, s2, s0
	v_lshlrev_b16 v4, 8, v4
	v_dual_cndmask_b32 v8, v22, v23 :: v_dual_and_b32 v11, 0xff, v18
	v_lshlrev_b16 v5, 8, v5
	v_and_b32_e32 v7, 0xff, v7
	v_lshlrev_b16 v9, 8, v16
	v_and_b32_e32 v10, 0xff, v14
	v_lshlrev_b16 v8, 8, v8
	v_or_b32_e32 v4, v6, v4
	v_or_b32_e32 v5, v7, v5
	s_mov_b32 s0, exec_lo
	v_or_b32_e32 v6, v10, v9
	v_or_b32_e32 v7, v11, v8
	v_and_b32_e32 v8, 0xffff, v4
	v_lshlrev_b32_e32 v5, 16, v5
	v_min_i32_e32 v4, 16, v2
	v_and_b32_e32 v9, 0xffff, v6
	v_lshlrev_b32_e32 v10, 16, v7
	v_sub_nc_u32_e64 v6, v2, 16 clamp
	v_or_b32_e32 v7, v8, v5
	; wave barrier
	s_delay_alu instid0(VALU_DEP_3)
	v_or_b32_e32 v8, v9, v10
	ds_store_b64 v3, v[7:8]
	; wave barrier
	v_cmpx_lt_u32_e64 v6, v4
	s_cbranch_execz .LBB56_36
; %bb.33:
	s_mov_b32 s1, 0
	.p2align	6
.LBB56_34:                              ; =>This Inner Loop Header: Depth=1
	v_sub_nc_u32_e32 v5, v4, v6
	s_delay_alu instid0(VALU_DEP_1) | instskip(NEXT) | instid1(VALU_DEP_1)
	v_lshrrev_b32_e32 v7, 31, v5
	v_add_nc_u32_e32 v5, v5, v7
	s_delay_alu instid0(VALU_DEP_1) | instskip(NEXT) | instid1(VALU_DEP_1)
	v_ashrrev_i32_e32 v5, 1, v5
	v_add_nc_u32_e32 v5, v5, v6
	s_delay_alu instid0(VALU_DEP_1)
	v_add_nc_u32_e32 v9, 1, v5
	v_add_nc_u32_e32 v7, v0, v5
	v_xad_u32 v8, v5, -1, v3
	ds_load_i8 v7, v7
	ds_load_i8 v8, v8 offset:16
	s_waitcnt lgkmcnt(0)
	v_cmp_lt_i16_e32 vcc_lo, v8, v7
	v_cndmask_b32_e32 v6, v9, v6, vcc_lo
	v_cndmask_b32_e32 v4, v4, v5, vcc_lo
	s_delay_alu instid0(VALU_DEP_1) | instskip(SKIP_1) | instid1(SALU_CYCLE_1)
	v_cmp_ge_i32_e32 vcc_lo, v6, v4
	s_or_b32 s1, vcc_lo, s1
	s_and_not1_b32 exec_lo, exec_lo, s1
	s_cbranch_execnz .LBB56_34
; %bb.35:
	s_or_b32 exec_lo, exec_lo, s1
.LBB56_36:
	s_delay_alu instid0(SALU_CYCLE_1) | instskip(SKIP_3) | instid1(VALU_DEP_3)
	s_or_b32 exec_lo, exec_lo, s0
	v_sub_nc_u32_e32 v4, v2, v6
	v_add_nc_u32_e32 v5, v0, v6
	v_cmp_lt_i32_e32 vcc_lo, 15, v6
	v_add_nc_u32_e32 v8, v0, v4
	v_add_nc_u32_e32 v7, 16, v4
                                        ; implicit-def: $vgpr4
	ds_load_u8 v2, v5
	ds_load_u8 v3, v8 offset:16
	v_cmp_gt_i32_e64 s1, 32, v7
	s_waitcnt lgkmcnt(1)
	v_bfe_i32 v2, v2, 0, 8
	s_waitcnt lgkmcnt(0)
	v_bfe_i32 v3, v3, 0, 8
	s_delay_alu instid0(VALU_DEP_1) | instskip(NEXT) | instid1(VALU_DEP_1)
	v_cmp_lt_i16_e64 s0, v3, v2
	s_or_b32 s0, vcc_lo, s0
	s_delay_alu instid0(SALU_CYCLE_1) | instskip(NEXT) | instid1(SALU_CYCLE_1)
	s_and_b32 vcc_lo, s1, s0
	s_xor_b32 s0, vcc_lo, -1
	s_delay_alu instid0(SALU_CYCLE_1) | instskip(NEXT) | instid1(SALU_CYCLE_1)
	s_and_saveexec_b32 s1, s0
	s_xor_b32 s0, exec_lo, s1
	s_cbranch_execz .LBB56_38
; %bb.37:
	ds_load_u8 v4, v5 offset:1
                                        ; implicit-def: $vgpr8
.LBB56_38:
	s_or_saveexec_b32 s0, s0
	v_mov_b32_e32 v5, v3
	s_xor_b32 exec_lo, exec_lo, s0
	s_cbranch_execz .LBB56_40
; %bb.39:
	ds_load_u8 v5, v8 offset:17
	s_waitcnt lgkmcnt(1)
	v_mov_b32_e32 v4, v2
.LBB56_40:
	s_or_b32 exec_lo, exec_lo, s0
	v_add_nc_u32_e32 v8, 1, v6
	v_add_nc_u32_e32 v10, 1, v7
	s_waitcnt lgkmcnt(0)
	v_bfe_i32 v11, v4, 0, 8
	s_delay_alu instid0(VALU_DEP_3) | instskip(SKIP_2) | instid1(VALU_DEP_3)
	v_cndmask_b32_e32 v9, v8, v6, vcc_lo
	v_bfe_i32 v6, v5, 0, 8
	v_cndmask_b32_e32 v8, v7, v10, vcc_lo
	v_cmp_lt_i32_e64 s0, 15, v9
	s_delay_alu instid0(VALU_DEP_3) | instskip(NEXT) | instid1(VALU_DEP_3)
	v_cmp_lt_i16_e64 s1, v6, v11
	v_cmp_gt_i32_e64 s2, 32, v8
                                        ; implicit-def: $vgpr6
	s_delay_alu instid0(VALU_DEP_2)
	s_or_b32 s0, s0, s1
	s_delay_alu instid0(VALU_DEP_1) | instid1(SALU_CYCLE_1)
	s_and_b32 s0, s2, s0
	s_delay_alu instid0(SALU_CYCLE_1) | instskip(NEXT) | instid1(SALU_CYCLE_1)
	s_xor_b32 s1, s0, -1
	s_and_saveexec_b32 s2, s1
	s_delay_alu instid0(SALU_CYCLE_1)
	s_xor_b32 s1, exec_lo, s2
	s_cbranch_execz .LBB56_42
; %bb.41:
	v_add_nc_u32_e32 v6, v0, v9
	ds_load_u8 v6, v6 offset:1
.LBB56_42:
	s_or_saveexec_b32 s1, s1
	v_mov_b32_e32 v7, v5
	s_xor_b32 exec_lo, exec_lo, s1
	s_cbranch_execz .LBB56_44
; %bb.43:
	s_waitcnt lgkmcnt(0)
	v_add_nc_u32_e32 v6, v0, v8
	ds_load_u8 v7, v6 offset:1
	v_mov_b32_e32 v6, v4
.LBB56_44:
	s_or_b32 exec_lo, exec_lo, s1
	v_add_nc_u32_e32 v10, 1, v9
	v_add_nc_u32_e32 v12, 1, v8
	s_waitcnt lgkmcnt(0)
	v_bfe_i32 v13, v6, 0, 8
	s_delay_alu instid0(VALU_DEP_3) | instskip(SKIP_2) | instid1(VALU_DEP_3)
	v_cndmask_b32_e64 v11, v10, v9, s0
	v_bfe_i32 v9, v7, 0, 8
	v_cndmask_b32_e64 v10, v8, v12, s0
                                        ; implicit-def: $vgpr8
	v_cmp_lt_i32_e64 s1, 15, v11
	s_delay_alu instid0(VALU_DEP_3) | instskip(NEXT) | instid1(VALU_DEP_3)
	v_cmp_lt_i16_e64 s2, v9, v13
	v_cmp_gt_i32_e64 s3, 32, v10
	s_delay_alu instid0(VALU_DEP_2)
	s_or_b32 s1, s1, s2
	s_delay_alu instid0(VALU_DEP_1) | instid1(SALU_CYCLE_1)
	s_and_b32 s1, s3, s1
	s_delay_alu instid0(SALU_CYCLE_1) | instskip(NEXT) | instid1(SALU_CYCLE_1)
	s_xor_b32 s2, s1, -1
	s_and_saveexec_b32 s3, s2
	s_delay_alu instid0(SALU_CYCLE_1)
	s_xor_b32 s2, exec_lo, s3
	s_cbranch_execz .LBB56_46
; %bb.45:
	v_add_nc_u32_e32 v8, v0, v11
	ds_load_u8 v8, v8 offset:1
.LBB56_46:
	s_or_saveexec_b32 s2, s2
	v_mov_b32_e32 v9, v7
	s_xor_b32 exec_lo, exec_lo, s2
	s_cbranch_execz .LBB56_48
; %bb.47:
	s_waitcnt lgkmcnt(0)
	v_add_nc_u32_e32 v8, v0, v10
	ds_load_u8 v9, v8 offset:1
	v_mov_b32_e32 v8, v6
.LBB56_48:
	s_or_b32 exec_lo, exec_lo, s2
	v_add_nc_u32_e32 v12, 1, v11
	v_add_nc_u32_e32 v14, 1, v10
	s_waitcnt lgkmcnt(0)
	v_bfe_i32 v15, v8, 0, 8
	s_delay_alu instid0(VALU_DEP_3) | instskip(SKIP_2) | instid1(VALU_DEP_3)
	v_cndmask_b32_e64 v13, v12, v11, s1
	v_bfe_i32 v11, v9, 0, 8
	v_cndmask_b32_e64 v12, v10, v14, s1
                                        ; implicit-def: $vgpr10
	v_cmp_lt_i32_e64 s2, 15, v13
	s_delay_alu instid0(VALU_DEP_3) | instskip(NEXT) | instid1(VALU_DEP_3)
	v_cmp_lt_i16_e64 s3, v11, v15
	v_cmp_gt_i32_e64 s4, 32, v12
	s_delay_alu instid0(VALU_DEP_2)
	s_or_b32 s2, s2, s3
	s_delay_alu instid0(VALU_DEP_1) | instid1(SALU_CYCLE_1)
	s_and_b32 s2, s4, s2
	s_delay_alu instid0(SALU_CYCLE_1) | instskip(NEXT) | instid1(SALU_CYCLE_1)
	s_xor_b32 s3, s2, -1
	s_and_saveexec_b32 s4, s3
	s_delay_alu instid0(SALU_CYCLE_1)
	s_xor_b32 s3, exec_lo, s4
	s_cbranch_execz .LBB56_50
; %bb.49:
	v_add_nc_u32_e32 v10, v0, v13
	ds_load_u8 v10, v10 offset:1
.LBB56_50:
	s_or_saveexec_b32 s3, s3
	v_mov_b32_e32 v11, v9
	s_xor_b32 exec_lo, exec_lo, s3
	s_cbranch_execz .LBB56_52
; %bb.51:
	s_waitcnt lgkmcnt(0)
	v_add_nc_u32_e32 v10, v0, v12
	ds_load_u8 v11, v10 offset:1
	v_mov_b32_e32 v10, v8
.LBB56_52:
	s_or_b32 exec_lo, exec_lo, s3
	v_add_nc_u32_e32 v14, 1, v13
	v_add_nc_u32_e32 v16, 1, v12
	s_waitcnt lgkmcnt(0)
	v_bfe_i32 v17, v10, 0, 8
	s_delay_alu instid0(VALU_DEP_3) | instskip(SKIP_2) | instid1(VALU_DEP_3)
	v_cndmask_b32_e64 v15, v14, v13, s2
	v_bfe_i32 v13, v11, 0, 8
	v_cndmask_b32_e64 v14, v12, v16, s2
                                        ; implicit-def: $vgpr12
	v_cmp_lt_i32_e64 s3, 15, v15
	s_delay_alu instid0(VALU_DEP_3) | instskip(NEXT) | instid1(VALU_DEP_3)
	v_cmp_lt_i16_e64 s4, v13, v17
	v_cmp_gt_i32_e64 s5, 32, v14
	s_delay_alu instid0(VALU_DEP_2)
	s_or_b32 s3, s3, s4
	s_delay_alu instid0(VALU_DEP_1) | instid1(SALU_CYCLE_1)
	s_and_b32 s3, s5, s3
	s_delay_alu instid0(SALU_CYCLE_1) | instskip(NEXT) | instid1(SALU_CYCLE_1)
	s_xor_b32 s4, s3, -1
	s_and_saveexec_b32 s5, s4
	s_delay_alu instid0(SALU_CYCLE_1)
	s_xor_b32 s4, exec_lo, s5
	s_cbranch_execz .LBB56_54
; %bb.53:
	v_add_nc_u32_e32 v12, v0, v15
	ds_load_u8 v12, v12 offset:1
.LBB56_54:
	s_or_saveexec_b32 s4, s4
	v_mov_b32_e32 v13, v11
	s_xor_b32 exec_lo, exec_lo, s4
	s_cbranch_execz .LBB56_56
; %bb.55:
	s_waitcnt lgkmcnt(0)
	v_add_nc_u32_e32 v12, v0, v14
	ds_load_u8 v13, v12 offset:1
	v_mov_b32_e32 v12, v10
.LBB56_56:
	s_or_b32 exec_lo, exec_lo, s4
	v_add_nc_u32_e32 v16, 1, v15
	v_add_nc_u32_e32 v18, 1, v14
	s_waitcnt lgkmcnt(0)
	v_bfe_i32 v19, v12, 0, 8
	s_delay_alu instid0(VALU_DEP_3) | instskip(SKIP_2) | instid1(VALU_DEP_3)
	v_cndmask_b32_e64 v17, v16, v15, s3
	v_bfe_i32 v15, v13, 0, 8
	v_cndmask_b32_e64 v16, v14, v18, s3
	v_cmp_lt_i32_e64 s4, 15, v17
	s_delay_alu instid0(VALU_DEP_3) | instskip(NEXT) | instid1(VALU_DEP_3)
	v_cmp_lt_i16_e64 s5, v15, v19
	v_cmp_gt_i32_e64 s6, 32, v16
                                        ; implicit-def: $vgpr15
	s_delay_alu instid0(VALU_DEP_2)
	s_or_b32 s4, s4, s5
	s_delay_alu instid0(VALU_DEP_1) | instid1(SALU_CYCLE_1)
	s_and_b32 s4, s6, s4
	s_delay_alu instid0(SALU_CYCLE_1) | instskip(NEXT) | instid1(SALU_CYCLE_1)
	s_xor_b32 s5, s4, -1
	s_and_saveexec_b32 s6, s5
	s_delay_alu instid0(SALU_CYCLE_1)
	s_xor_b32 s5, exec_lo, s6
	s_cbranch_execz .LBB56_58
; %bb.57:
	v_add_nc_u32_e32 v14, v0, v17
	ds_load_u8 v15, v14 offset:1
.LBB56_58:
	s_or_saveexec_b32 s5, s5
	v_mov_b32_e32 v14, v13
	s_xor_b32 exec_lo, exec_lo, s5
	s_cbranch_execz .LBB56_60
; %bb.59:
	v_add_nc_u32_e32 v14, v0, v16
	s_waitcnt lgkmcnt(0)
	v_mov_b32_e32 v15, v12
	ds_load_u8 v14, v14 offset:1
.LBB56_60:
	s_or_b32 exec_lo, exec_lo, s5
	v_add_nc_u32_e32 v18, 1, v17
	v_add_nc_u32_e32 v19, 1, v16
	s_waitcnt lgkmcnt(0)
	v_bfe_i32 v21, v15, 0, 8
	s_delay_alu instid0(VALU_DEP_3) | instskip(SKIP_2) | instid1(VALU_DEP_3)
	v_cndmask_b32_e64 v20, v18, v17, s4
	v_bfe_i32 v17, v14, 0, 8
	v_cndmask_b32_e64 v16, v16, v19, s4
                                        ; implicit-def: $vgpr19
	v_cmp_gt_i32_e64 s5, 16, v20
	s_delay_alu instid0(VALU_DEP_3) | instskip(NEXT) | instid1(VALU_DEP_3)
	v_cmp_ge_i16_e64 s6, v17, v21
	v_cmp_lt_i32_e64 s7, 31, v16
                                        ; implicit-def: $vgpr17
	s_delay_alu instid0(VALU_DEP_2)
	s_and_b32 s5, s5, s6
	s_delay_alu instid0(VALU_DEP_1) | instid1(SALU_CYCLE_1)
	s_or_b32 s5, s7, s5
	s_delay_alu instid0(SALU_CYCLE_1) | instskip(NEXT) | instid1(SALU_CYCLE_1)
	s_and_saveexec_b32 s6, s5
	s_xor_b32 s5, exec_lo, s6
	s_cbranch_execz .LBB56_62
; %bb.61:
	v_add_nc_u32_e32 v0, v0, v20
	v_add_nc_u32_e32 v19, 1, v20
                                        ; implicit-def: $vgpr20
	ds_load_u8 v17, v0 offset:1
                                        ; implicit-def: $vgpr0
.LBB56_62:
	s_or_saveexec_b32 s5, s5
	v_mov_b32_e32 v18, v15
	s_xor_b32 exec_lo, exec_lo, s5
	s_cbranch_execz .LBB56_64
; %bb.63:
	s_waitcnt lgkmcnt(0)
	v_dual_mov_b32 v17, v15 :: v_dual_add_nc_u32 v0, v0, v16
	v_dual_mov_b32 v19, v20 :: v_dual_add_nc_u32 v16, 1, v16
	v_mov_b32_e32 v18, v14
	ds_load_u8 v0, v0 offset:1
	s_waitcnt lgkmcnt(0)
	v_mov_b32_e32 v14, v0
.LBB56_64:
	s_or_b32 exec_lo, exec_lo, s5
	s_waitcnt lgkmcnt(0)
	v_bfe_i32 v0, v17, 0, 8
	s_delay_alu instid0(VALU_DEP_2)
	v_bfe_i32 v15, v14, 0, 8
	v_cndmask_b32_e64 v12, v12, v13, s4
	v_cndmask_b32_e64 v10, v10, v11, s3
	v_cmp_lt_i32_e64 s3, 15, v19
	v_cndmask_b32_e64 v4, v4, v5, s0
	v_cmp_lt_i16_e64 s4, v15, v0
	v_cndmask_b32_e64 v0, v8, v9, s2
	v_cmp_gt_i32_e64 s2, 32, v16
	v_cndmask_b32_e32 v2, v2, v3, vcc_lo
	v_cndmask_b32_e64 v3, v6, v7, s1
	s_or_b32 s0, s3, s4
	v_lshlrev_b16 v4, 8, v4
	s_and_b32 vcc_lo, s2, s0
	v_lshlrev_b16 v0, 8, v0
	v_cndmask_b32_e32 v5, v17, v14, vcc_lo
	v_and_b32_e32 v2, 0xff, v2
	v_and_b32_e32 v3, 0xff, v3
	v_lshlrev_b16 v6, 8, v12
	v_and_b32_e32 v7, 0xff, v10
	v_lshlrev_b16 v5, 8, v5
	v_and_b32_e32 v8, 0xff, v18
	v_or_b32_e32 v2, v2, v4
	v_or_b32_e32 v0, v3, v0
	v_or_b32_e32 v3, v7, v6
	s_add_u32 s0, s10, s12
	v_or_b32_e32 v4, v8, v5
	v_and_b32_e32 v2, 0xffff, v2
	v_lshlrev_b32_e32 v5, 16, v0
	v_and_b32_e32 v3, 0xffff, v3
	s_addc_u32 s1, s11, 0
	v_lshlrev_b32_e32 v4, 16, v4
	v_add_co_u32 v0, s0, s0, v1
	s_delay_alu instid0(VALU_DEP_1) | instskip(SKIP_1) | instid1(VALU_DEP_4)
	v_add_co_ci_u32_e64 v1, null, s1, 0, s0
	v_or_b32_e32 v2, v2, v5
	v_or_b32_e32 v3, v3, v4
	global_store_b64 v[0:1], v[2:3], off
	s_nop 0
	s_sendmsg sendmsg(MSG_DEALLOC_VGPRS)
	s_endpgm
	.section	.rodata,"a",@progbits
	.p2align	6, 0x0
	.amdhsa_kernel _Z9sort_keysILj256ELj4ELj8EaN10test_utils4lessEEvPKT2_PS2_T3_
		.amdhsa_group_segment_fixed_size 2112
		.amdhsa_private_segment_fixed_size 0
		.amdhsa_kernarg_size 20
		.amdhsa_user_sgpr_count 15
		.amdhsa_user_sgpr_dispatch_ptr 0
		.amdhsa_user_sgpr_queue_ptr 0
		.amdhsa_user_sgpr_kernarg_segment_ptr 1
		.amdhsa_user_sgpr_dispatch_id 0
		.amdhsa_user_sgpr_private_segment_size 0
		.amdhsa_wavefront_size32 1
		.amdhsa_uses_dynamic_stack 0
		.amdhsa_enable_private_segment 0
		.amdhsa_system_sgpr_workgroup_id_x 1
		.amdhsa_system_sgpr_workgroup_id_y 0
		.amdhsa_system_sgpr_workgroup_id_z 0
		.amdhsa_system_sgpr_workgroup_info 0
		.amdhsa_system_vgpr_workitem_id 0
		.amdhsa_next_free_vgpr 30
		.amdhsa_next_free_sgpr 16
		.amdhsa_reserve_vcc 1
		.amdhsa_float_round_mode_32 0
		.amdhsa_float_round_mode_16_64 0
		.amdhsa_float_denorm_mode_32 3
		.amdhsa_float_denorm_mode_16_64 3
		.amdhsa_dx10_clamp 1
		.amdhsa_ieee_mode 1
		.amdhsa_fp16_overflow 0
		.amdhsa_workgroup_processor_mode 1
		.amdhsa_memory_ordered 1
		.amdhsa_forward_progress 0
		.amdhsa_shared_vgpr_count 0
		.amdhsa_exception_fp_ieee_invalid_op 0
		.amdhsa_exception_fp_denorm_src 0
		.amdhsa_exception_fp_ieee_div_zero 0
		.amdhsa_exception_fp_ieee_overflow 0
		.amdhsa_exception_fp_ieee_underflow 0
		.amdhsa_exception_fp_ieee_inexact 0
		.amdhsa_exception_int_div_zero 0
	.end_amdhsa_kernel
	.section	.text._Z9sort_keysILj256ELj4ELj8EaN10test_utils4lessEEvPKT2_PS2_T3_,"axG",@progbits,_Z9sort_keysILj256ELj4ELj8EaN10test_utils4lessEEvPKT2_PS2_T3_,comdat
.Lfunc_end56:
	.size	_Z9sort_keysILj256ELj4ELj8EaN10test_utils4lessEEvPKT2_PS2_T3_, .Lfunc_end56-_Z9sort_keysILj256ELj4ELj8EaN10test_utils4lessEEvPKT2_PS2_T3_
                                        ; -- End function
	.section	.AMDGPU.csdata,"",@progbits
; Kernel info:
; codeLenInByte = 5468
; NumSgprs: 18
; NumVgprs: 30
; ScratchSize: 0
; MemoryBound: 0
; FloatMode: 240
; IeeeMode: 1
; LDSByteSize: 2112 bytes/workgroup (compile time only)
; SGPRBlocks: 2
; VGPRBlocks: 3
; NumSGPRsForWavesPerEU: 18
; NumVGPRsForWavesPerEU: 30
; Occupancy: 16
; WaveLimiterHint : 0
; COMPUTE_PGM_RSRC2:SCRATCH_EN: 0
; COMPUTE_PGM_RSRC2:USER_SGPR: 15
; COMPUTE_PGM_RSRC2:TRAP_HANDLER: 0
; COMPUTE_PGM_RSRC2:TGID_X_EN: 1
; COMPUTE_PGM_RSRC2:TGID_Y_EN: 0
; COMPUTE_PGM_RSRC2:TGID_Z_EN: 0
; COMPUTE_PGM_RSRC2:TIDIG_COMP_CNT: 0
	.section	.text._Z10sort_pairsILj256ELj4ELj8EaN10test_utils4lessEEvPKT2_PS2_T3_,"axG",@progbits,_Z10sort_pairsILj256ELj4ELj8EaN10test_utils4lessEEvPKT2_PS2_T3_,comdat
	.protected	_Z10sort_pairsILj256ELj4ELj8EaN10test_utils4lessEEvPKT2_PS2_T3_ ; -- Begin function _Z10sort_pairsILj256ELj4ELj8EaN10test_utils4lessEEvPKT2_PS2_T3_
	.globl	_Z10sort_pairsILj256ELj4ELj8EaN10test_utils4lessEEvPKT2_PS2_T3_
	.p2align	8
	.type	_Z10sort_pairsILj256ELj4ELj8EaN10test_utils4lessEEvPKT2_PS2_T3_,@function
_Z10sort_pairsILj256ELj4ELj8EaN10test_utils4lessEEvPKT2_PS2_T3_: ; @_Z10sort_pairsILj256ELj4ELj8EaN10test_utils4lessEEvPKT2_PS2_T3_
; %bb.0:
	s_load_b128 s[36:39], s[0:1], 0x0
	s_lshl_b32 s40, s15, 11
	v_lshlrev_b32_e32 v3, 3, v0
	v_lshrrev_b32_e32 v0, 2, v0
	s_mov_b32 s28, 0
	s_mov_b32 s29, exec_lo
	s_waitcnt lgkmcnt(0)
	s_add_u32 s0, s36, s40
	s_addc_u32 s1, s37, 0
	global_load_b64 v[1:2], v3, s[0:1]
	; wave barrier
	s_waitcnt vmcnt(0)
	v_lshrrev_b32_e32 v4, 8, v1
	v_bfe_i32 v5, v1, 0, 8
	v_bfe_i32 v11, v2, 0, 8
	v_perm_b32 v13, v2, v2, 0x7060405
	s_delay_alu instid0(VALU_DEP_4) | instskip(SKIP_1) | instid1(VALU_DEP_2)
	v_bfe_i32 v6, v4, 0, 8
	v_perm_b32 v4, v1, v1, 0x3020405
	v_cmp_lt_i16_e32 vcc_lo, v6, v5
	s_delay_alu instid0(VALU_DEP_2) | instskip(NEXT) | instid1(VALU_DEP_1)
	v_cndmask_b32_e32 v4, v1, v4, vcc_lo
	v_lshrrev_b32_e32 v8, 16, v4
	v_lshrrev_b32_e32 v9, 24, v4
	s_delay_alu instid0(VALU_DEP_2) | instskip(NEXT) | instid1(VALU_DEP_2)
	v_perm_b32 v7, 0, v8, 0xc0c0001
	v_bfe_i32 v9, v9, 0, 8
	v_bfe_i32 v8, v8, 0, 8
	s_delay_alu instid0(VALU_DEP_3) | instskip(SKIP_1) | instid1(VALU_DEP_3)
	v_lshlrev_b32_e32 v10, 16, v7
	v_lshrrev_b32_e32 v7, 8, v2
	v_cmp_lt_i16_e64 s0, v9, v8
	s_delay_alu instid0(VALU_DEP_3) | instskip(NEXT) | instid1(VALU_DEP_3)
	v_and_or_b32 v10, 0xffff, v4, v10
	v_bfe_i32 v12, v7, 0, 8
	s_delay_alu instid0(VALU_DEP_2) | instskip(NEXT) | instid1(VALU_DEP_2)
	v_cndmask_b32_e64 v4, v4, v10, s0
	v_cmp_lt_i16_e64 s1, v12, v11
	s_delay_alu instid0(VALU_DEP_2) | instskip(NEXT) | instid1(VALU_DEP_2)
	v_lshrrev_b32_e32 v9, 16, v4
	v_cndmask_b32_e64 v8, v2, v13, s1
	v_lshrrev_b32_e32 v10, 8, v4
	v_perm_b32 v13, v4, v4, 0x7050604
	s_delay_alu instid0(VALU_DEP_4) | instskip(NEXT) | instid1(VALU_DEP_4)
	v_bfe_i32 v9, v9, 0, 8
	v_lshrrev_b32_e32 v11, 24, v8
	v_lshrrev_b32_e32 v12, 16, v8
	v_bfe_i32 v10, v10, 0, 8
	v_perm_b32 v14, v8, v8, 0x6070504
	s_delay_alu instid0(VALU_DEP_4) | instskip(NEXT) | instid1(VALU_DEP_4)
	v_bfe_i32 v11, v11, 0, 8
	v_bfe_i32 v12, v12, 0, 8
	s_delay_alu instid0(VALU_DEP_4) | instskip(NEXT) | instid1(VALU_DEP_2)
	v_cmp_lt_i16_e64 s3, v9, v10
	v_cmp_lt_i16_e64 s4, v11, v12
	s_delay_alu instid0(VALU_DEP_2) | instskip(NEXT) | instid1(VALU_DEP_2)
	v_cndmask_b32_e64 v4, v4, v13, s3
	v_cndmask_b32_e64 v8, v8, v14, s4
	s_delay_alu instid0(VALU_DEP_2) | instskip(NEXT) | instid1(VALU_DEP_2)
	v_lshrrev_b32_e32 v9, 16, v4
	v_lshlrev_b16 v10, 8, v8
	s_delay_alu instid0(VALU_DEP_2) | instskip(SKIP_1) | instid1(VALU_DEP_2)
	v_and_b32_e32 v9, 0xff, v9
	v_bfe_i32 v11, v8, 0, 8
	v_or_b32_e32 v9, v9, v10
	v_lshrrev_b32_e32 v10, 24, v4
	s_delay_alu instid0(VALU_DEP_2) | instskip(NEXT) | instid1(VALU_DEP_2)
	v_lshlrev_b32_e32 v9, 16, v9
	v_bfe_i32 v10, v10, 0, 8
	s_delay_alu instid0(VALU_DEP_2) | instskip(NEXT) | instid1(VALU_DEP_2)
	v_and_or_b32 v9, 0xffff, v4, v9
	v_cmp_lt_i16_e64 s2, v11, v10
	s_delay_alu instid0(VALU_DEP_1) | instskip(SKIP_1) | instid1(VALU_DEP_2)
	v_cndmask_b32_e64 v9, v4, v9, s2
	v_perm_b32 v4, v4, v8, 0x3020107
	v_lshrrev_b32_e32 v10, 8, v9
	v_perm_b32 v11, 0, v9, 0xc0c0001
	s_delay_alu instid0(VALU_DEP_3) | instskip(SKIP_1) | instid1(VALU_DEP_4)
	v_cndmask_b32_e64 v4, v8, v4, s2
	v_bfe_i32 v8, v9, 0, 8
	v_bfe_i32 v10, v10, 0, 8
	s_delay_alu instid0(VALU_DEP_4) | instskip(NEXT) | instid1(VALU_DEP_4)
	v_and_or_b32 v11, 0xffff0000, v9, v11
	v_lshrrev_b32_e32 v12, 16, v4
	s_delay_alu instid0(VALU_DEP_3) | instskip(NEXT) | instid1(VALU_DEP_2)
	v_cmp_lt_i16_e64 s5, v10, v8
	v_bfe_i32 v10, v12, 0, 8
	v_perm_b32 v12, v4, v4, 0x7050604
	s_delay_alu instid0(VALU_DEP_3) | instskip(SKIP_1) | instid1(VALU_DEP_2)
	v_cndmask_b32_e64 v8, v9, v11, s5
	v_lshrrev_b32_e32 v9, 8, v4
	v_lshrrev_b32_e32 v11, 16, v8
	s_delay_alu instid0(VALU_DEP_2) | instskip(NEXT) | instid1(VALU_DEP_2)
	v_bfe_i32 v9, v9, 0, 8
	v_perm_b32 v13, 0, v11, 0xc0c0001
	s_delay_alu instid0(VALU_DEP_2) | instskip(SKIP_2) | instid1(VALU_DEP_4)
	v_cmp_lt_i16_e64 s6, v10, v9
	v_lshrrev_b32_e32 v9, 24, v8
	v_bfe_i32 v11, v11, 0, 8
	v_lshlrev_b32_e32 v10, 16, v13
	s_delay_alu instid0(VALU_DEP_4) | instskip(NEXT) | instid1(VALU_DEP_4)
	v_cndmask_b32_e64 v4, v4, v12, s6
	v_bfe_i32 v9, v9, 0, 8
	s_delay_alu instid0(VALU_DEP_3) | instskip(NEXT) | instid1(VALU_DEP_3)
	v_and_or_b32 v10, 0xffff, v8, v10
	v_lshrrev_b32_e32 v12, 8, v4
	v_bfe_i32 v13, v4, 0, 8
	s_delay_alu instid0(VALU_DEP_4) | instskip(SKIP_1) | instid1(VALU_DEP_4)
	v_cmp_lt_i16_e64 s7, v9, v11
	v_perm_b32 v14, v4, v4, 0x7060405
	v_bfe_i32 v12, v12, 0, 8
	s_delay_alu instid0(VALU_DEP_3) | instskip(NEXT) | instid1(VALU_DEP_2)
	v_cndmask_b32_e64 v8, v8, v10, s7
	v_cmp_lt_i16_e64 s8, v12, v13
	s_delay_alu instid0(VALU_DEP_2) | instskip(SKIP_2) | instid1(VALU_DEP_4)
	v_lshrrev_b32_e32 v9, 16, v8
	v_lshrrev_b32_e32 v10, 8, v8
	v_perm_b32 v13, v8, v8, 0x7050604
	v_cndmask_b32_e64 v4, v4, v14, s8
	s_delay_alu instid0(VALU_DEP_4) | instskip(NEXT) | instid1(VALU_DEP_4)
	v_bfe_i32 v9, v9, 0, 8
	v_bfe_i32 v10, v10, 0, 8
	s_delay_alu instid0(VALU_DEP_3) | instskip(SKIP_2) | instid1(VALU_DEP_4)
	v_lshrrev_b32_e32 v11, 24, v4
	v_lshrrev_b32_e32 v12, 16, v4
	v_perm_b32 v14, v4, v4, 0x6070504
	v_cmp_lt_i16_e64 s10, v9, v10
	s_delay_alu instid0(VALU_DEP_4) | instskip(NEXT) | instid1(VALU_DEP_4)
	v_bfe_i32 v11, v11, 0, 8
	v_bfe_i32 v12, v12, 0, 8
	s_delay_alu instid0(VALU_DEP_3) | instskip(NEXT) | instid1(VALU_DEP_2)
	v_cndmask_b32_e64 v8, v8, v13, s10
	v_cmp_lt_i16_e64 s11, v11, v12
	s_delay_alu instid0(VALU_DEP_2) | instskip(NEXT) | instid1(VALU_DEP_2)
	v_lshrrev_b32_e32 v9, 16, v8
	v_cndmask_b32_e64 v4, v4, v14, s11
	s_delay_alu instid0(VALU_DEP_2) | instskip(NEXT) | instid1(VALU_DEP_2)
	v_and_b32_e32 v9, 0xff, v9
	v_lshlrev_b16 v10, 8, v4
	v_bfe_i32 v11, v4, 0, 8
	s_delay_alu instid0(VALU_DEP_2) | instskip(SKIP_1) | instid1(VALU_DEP_2)
	v_or_b32_e32 v9, v9, v10
	v_lshrrev_b32_e32 v10, 24, v8
	v_lshlrev_b32_e32 v9, 16, v9
	s_delay_alu instid0(VALU_DEP_2) | instskip(NEXT) | instid1(VALU_DEP_2)
	v_bfe_i32 v10, v10, 0, 8
	v_and_or_b32 v9, 0xffff, v8, v9
	s_delay_alu instid0(VALU_DEP_2) | instskip(NEXT) | instid1(VALU_DEP_1)
	v_cmp_lt_i16_e64 s9, v11, v10
	v_cndmask_b32_e64 v9, v8, v9, s9
	v_perm_b32 v8, v8, v4, 0x3020107
	s_delay_alu instid0(VALU_DEP_2) | instskip(SKIP_1) | instid1(VALU_DEP_3)
	v_lshrrev_b32_e32 v10, 8, v9
	v_perm_b32 v11, 0, v9, 0xc0c0001
	v_cndmask_b32_e64 v4, v4, v8, s9
	v_bfe_i32 v8, v9, 0, 8
	s_delay_alu instid0(VALU_DEP_4) | instskip(NEXT) | instid1(VALU_DEP_4)
	v_bfe_i32 v10, v10, 0, 8
	v_and_or_b32 v11, 0xffff0000, v9, v11
	s_delay_alu instid0(VALU_DEP_4) | instskip(NEXT) | instid1(VALU_DEP_3)
	v_lshrrev_b32_e32 v12, 16, v4
	v_cmp_lt_i16_e64 s12, v10, v8
	s_delay_alu instid0(VALU_DEP_2) | instskip(SKIP_1) | instid1(VALU_DEP_3)
	v_bfe_i32 v10, v12, 0, 8
	v_perm_b32 v12, v4, v4, 0x7050604
	v_cndmask_b32_e64 v8, v9, v11, s12
	v_lshrrev_b32_e32 v9, 8, v4
	s_delay_alu instid0(VALU_DEP_2) | instskip(NEXT) | instid1(VALU_DEP_2)
	v_lshrrev_b32_e32 v11, 16, v8
	v_bfe_i32 v9, v9, 0, 8
	s_delay_alu instid0(VALU_DEP_2) | instskip(NEXT) | instid1(VALU_DEP_2)
	v_perm_b32 v13, 0, v11, 0xc0c0001
	v_cmp_lt_i16_e64 s13, v10, v9
	v_lshrrev_b32_e32 v9, 24, v8
	v_bfe_i32 v11, v11, 0, 8
	s_delay_alu instid0(VALU_DEP_4) | instskip(NEXT) | instid1(VALU_DEP_4)
	v_lshlrev_b32_e32 v10, 16, v13
	v_cndmask_b32_e64 v4, v4, v12, s13
	s_delay_alu instid0(VALU_DEP_4) | instskip(NEXT) | instid1(VALU_DEP_3)
	v_bfe_i32 v9, v9, 0, 8
	v_and_or_b32 v10, 0xffff, v8, v10
	s_delay_alu instid0(VALU_DEP_3) | instskip(SKIP_1) | instid1(VALU_DEP_4)
	v_lshrrev_b32_e32 v12, 8, v4
	v_bfe_i32 v13, v4, 0, 8
	v_cmp_lt_i16_e64 s14, v9, v11
	v_perm_b32 v14, v4, v4, 0x7060405
	s_delay_alu instid0(VALU_DEP_4) | instskip(NEXT) | instid1(VALU_DEP_3)
	v_bfe_i32 v12, v12, 0, 8
	v_cndmask_b32_e64 v8, v8, v10, s14
	s_delay_alu instid0(VALU_DEP_2) | instskip(NEXT) | instid1(VALU_DEP_2)
	v_cmp_lt_i16_e64 s15, v12, v13
	v_lshrrev_b32_e32 v9, 16, v8
	v_lshrrev_b32_e32 v10, 8, v8
	v_perm_b32 v13, v8, v8, 0x7050604
	s_delay_alu instid0(VALU_DEP_4) | instskip(NEXT) | instid1(VALU_DEP_4)
	v_cndmask_b32_e64 v4, v4, v14, s15
	v_bfe_i32 v9, v9, 0, 8
	s_delay_alu instid0(VALU_DEP_4) | instskip(NEXT) | instid1(VALU_DEP_3)
	v_bfe_i32 v10, v10, 0, 8
	v_lshrrev_b32_e32 v11, 24, v4
	v_lshrrev_b32_e32 v12, 16, v4
	v_perm_b32 v14, v4, v4, 0x6070504
	s_delay_alu instid0(VALU_DEP_4) | instskip(NEXT) | instid1(VALU_DEP_4)
	v_cmp_lt_i16_e64 s21, v9, v10
	v_bfe_i32 v11, v11, 0, 8
	s_delay_alu instid0(VALU_DEP_4) | instskip(NEXT) | instid1(VALU_DEP_3)
	v_bfe_i32 v12, v12, 0, 8
	v_cndmask_b32_e64 v8, v8, v13, s21
	s_delay_alu instid0(VALU_DEP_2) | instskip(NEXT) | instid1(VALU_DEP_2)
	v_cmp_lt_i16_e64 s22, v11, v12
	v_lshrrev_b32_e32 v9, 16, v8
	s_delay_alu instid0(VALU_DEP_2) | instskip(NEXT) | instid1(VALU_DEP_2)
	v_cndmask_b32_e64 v4, v4, v14, s22
	v_and_b32_e32 v9, 0xff, v9
	s_delay_alu instid0(VALU_DEP_2) | instskip(SKIP_1) | instid1(VALU_DEP_2)
	v_lshlrev_b16 v10, 8, v4
	v_bfe_i32 v11, v4, 0, 8
	v_or_b32_e32 v9, v9, v10
	v_lshrrev_b32_e32 v10, 24, v8
	s_delay_alu instid0(VALU_DEP_2) | instskip(NEXT) | instid1(VALU_DEP_2)
	v_lshlrev_b32_e32 v9, 16, v9
	v_bfe_i32 v10, v10, 0, 8
	s_delay_alu instid0(VALU_DEP_2) | instskip(NEXT) | instid1(VALU_DEP_2)
	v_and_or_b32 v9, 0xffff, v8, v9
	v_cmp_lt_i16_e64 s16, v11, v10
	s_delay_alu instid0(VALU_DEP_1) | instskip(SKIP_1) | instid1(VALU_DEP_2)
	v_cndmask_b32_e64 v9, v8, v9, s16
	v_perm_b32 v8, v8, v4, 0x3020107
	v_lshrrev_b32_e32 v10, 8, v9
	v_perm_b32 v11, 0, v9, 0xc0c0001
	s_delay_alu instid0(VALU_DEP_3) | instskip(SKIP_1) | instid1(VALU_DEP_4)
	v_cndmask_b32_e64 v4, v4, v8, s16
	v_bfe_i32 v8, v9, 0, 8
	v_bfe_i32 v10, v10, 0, 8
	s_delay_alu instid0(VALU_DEP_4) | instskip(NEXT) | instid1(VALU_DEP_4)
	v_and_or_b32 v11, 0xffff0000, v9, v11
	v_lshrrev_b32_e32 v12, 16, v4
	s_delay_alu instid0(VALU_DEP_3) | instskip(NEXT) | instid1(VALU_DEP_2)
	v_cmp_lt_i16_e64 s25, v10, v8
	v_bfe_i32 v10, v12, 0, 8
	v_perm_b32 v12, v4, v4, 0x7050604
	s_delay_alu instid0(VALU_DEP_3) | instskip(SKIP_1) | instid1(VALU_DEP_2)
	v_cndmask_b32_e64 v8, v9, v11, s25
	v_lshrrev_b32_e32 v9, 8, v4
	v_lshrrev_b32_e32 v11, 16, v8
	s_delay_alu instid0(VALU_DEP_2) | instskip(NEXT) | instid1(VALU_DEP_2)
	v_bfe_i32 v9, v9, 0, 8
	v_perm_b32 v13, 0, v11, 0xc0c0001
	s_delay_alu instid0(VALU_DEP_2) | instskip(SKIP_2) | instid1(VALU_DEP_4)
	v_cmp_lt_i16_e64 s24, v10, v9
	v_lshrrev_b32_e32 v9, 24, v8
	v_bfe_i32 v11, v11, 0, 8
	v_lshlrev_b32_e32 v10, 16, v13
	s_delay_alu instid0(VALU_DEP_4) | instskip(NEXT) | instid1(VALU_DEP_4)
	v_cndmask_b32_e64 v4, v4, v12, s24
	v_bfe_i32 v9, v9, 0, 8
	s_delay_alu instid0(VALU_DEP_3) | instskip(NEXT) | instid1(VALU_DEP_3)
	v_and_or_b32 v10, 0xffff, v8, v10
	v_lshrrev_b32_e32 v12, 8, v4
	v_bfe_i32 v13, v4, 0, 8
	s_delay_alu instid0(VALU_DEP_4) | instskip(SKIP_1) | instid1(VALU_DEP_4)
	v_cmp_lt_i16_e64 s18, v9, v11
	v_perm_b32 v14, v4, v4, 0x7060405
	v_bfe_i32 v12, v12, 0, 8
	s_delay_alu instid0(VALU_DEP_3) | instskip(NEXT) | instid1(VALU_DEP_2)
	v_cndmask_b32_e64 v8, v8, v10, s18
	v_cmp_lt_i16_e64 s17, v12, v13
	s_delay_alu instid0(VALU_DEP_2) | instskip(SKIP_2) | instid1(VALU_DEP_4)
	v_lshrrev_b32_e32 v9, 16, v8
	v_lshrrev_b32_e32 v10, 8, v8
	v_perm_b32 v13, v8, v8, 0x7050604
	v_cndmask_b32_e64 v4, v4, v14, s17
	s_delay_alu instid0(VALU_DEP_4) | instskip(NEXT) | instid1(VALU_DEP_4)
	v_bfe_i32 v9, v9, 0, 8
	v_bfe_i32 v10, v10, 0, 8
	s_delay_alu instid0(VALU_DEP_3) | instskip(SKIP_2) | instid1(VALU_DEP_4)
	v_lshrrev_b32_e32 v11, 24, v4
	v_lshrrev_b32_e32 v12, 16, v4
	v_perm_b32 v14, v4, v4, 0x6070504
	v_cmp_lt_i16_e64 s23, v9, v10
	s_delay_alu instid0(VALU_DEP_4) | instskip(NEXT) | instid1(VALU_DEP_4)
	v_bfe_i32 v11, v11, 0, 8
	v_bfe_i32 v12, v12, 0, 8
	s_delay_alu instid0(VALU_DEP_3) | instskip(NEXT) | instid1(VALU_DEP_2)
	v_cndmask_b32_e64 v8, v8, v13, s23
	v_cmp_lt_i16_e64 s19, v11, v12
	v_mbcnt_lo_u32_b32 v11, -1, 0
	s_delay_alu instid0(VALU_DEP_3) | instskip(NEXT) | instid1(VALU_DEP_3)
	v_lshrrev_b32_e32 v9, 16, v8
	v_cndmask_b32_e64 v4, v4, v14, s19
	s_delay_alu instid0(VALU_DEP_3) | instskip(NEXT) | instid1(VALU_DEP_3)
	v_lshlrev_b32_e32 v12, 3, v11
	v_and_b32_e32 v9, 0xff, v9
	s_delay_alu instid0(VALU_DEP_3) | instskip(SKIP_1) | instid1(VALU_DEP_4)
	v_lshlrev_b16 v10, 8, v4
	v_bfe_i32 v13, v4, 0, 8
	v_and_b32_e32 v11, 16, v12
	v_perm_b32 v14, v8, v4, 0x3020107
	s_delay_alu instid0(VALU_DEP_4) | instskip(SKIP_1) | instid1(VALU_DEP_2)
	v_or_b32_e32 v9, v9, v10
	v_lshrrev_b32_e32 v10, 24, v8
	v_lshlrev_b32_e32 v9, 16, v9
	s_delay_alu instid0(VALU_DEP_2) | instskip(NEXT) | instid1(VALU_DEP_2)
	v_bfe_i32 v10, v10, 0, 8
	v_and_or_b32 v15, 0xffff, v8, v9
	s_delay_alu instid0(VALU_DEP_2) | instskip(SKIP_2) | instid1(VALU_DEP_3)
	v_cmp_lt_i16_e64 s20, v13, v10
	v_or_b32_e32 v10, 8, v11
	v_add_nc_u32_e32 v9, 16, v11
	v_cndmask_b32_e64 v16, v4, v14, s20
	v_cndmask_b32_e64 v15, v8, v15, s20
	v_and_b32_e32 v8, 24, v12
	v_and_b32_e32 v12, 8, v12
	v_sub_nc_u32_e32 v14, v9, v10
	v_lshrrev_b32_e32 v13, 16, v16
	v_lshrrev_b32_e32 v17, 8, v16
	v_sub_nc_u32_e32 v18, v10, v11
	v_perm_b32 v21, v16, v16, 0x7050604
	v_sub_nc_u32_e32 v19, v12, v14
	v_bfe_i32 v20, v13, 0, 8
	v_bfe_i32 v17, v17, 0, 8
	v_cmp_ge_i32_e64 s26, v12, v14
	v_mad_u32_u24 v4, v0, 33, v8
	v_min_i32_e32 v13, v12, v18
	v_mul_u32_u24_e32 v0, 33, v0
	s_delay_alu instid0(VALU_DEP_4) | instskip(SKIP_1) | instid1(VALU_DEP_1)
	v_cndmask_b32_e64 v14, 0, v19, s26
	v_cmp_lt_i16_e64 s26, v20, v17
	v_cndmask_b32_e64 v16, v16, v21, s26
	ds_store_b64 v4, v[15:16]
	; wave barrier
	v_cmpx_lt_i32_e64 v14, v13
	s_cbranch_execz .LBB57_4
; %bb.1:
	v_add_nc_u32_e32 v15, v0, v11
	s_delay_alu instid0(VALU_DEP_1)
	v_add3_u32 v16, v15, v12, 8
	.p2align	6
.LBB57_2:                               ; =>This Inner Loop Header: Depth=1
	v_sub_nc_u32_e32 v17, v13, v14
	s_delay_alu instid0(VALU_DEP_1) | instskip(NEXT) | instid1(VALU_DEP_1)
	v_lshrrev_b32_e32 v18, 31, v17
	v_add_nc_u32_e32 v17, v17, v18
	s_delay_alu instid0(VALU_DEP_1) | instskip(NEXT) | instid1(VALU_DEP_1)
	v_ashrrev_i32_e32 v17, 1, v17
	v_add_nc_u32_e32 v17, v17, v14
	s_delay_alu instid0(VALU_DEP_1)
	v_add_nc_u32_e32 v18, v15, v17
	v_xad_u32 v19, v17, -1, v16
	v_add_nc_u32_e32 v20, 1, v17
	ds_load_i8 v18, v18
	ds_load_i8 v19, v19
	s_waitcnt lgkmcnt(0)
	v_cmp_lt_i16_e64 s27, v19, v18
	s_delay_alu instid0(VALU_DEP_1) | instskip(SKIP_1) | instid1(VALU_DEP_1)
	v_cndmask_b32_e64 v13, v13, v17, s27
	v_cndmask_b32_e64 v14, v20, v14, s27
	v_cmp_ge_i32_e64 s27, v14, v13
	s_delay_alu instid0(VALU_DEP_1) | instskip(NEXT) | instid1(SALU_CYCLE_1)
	s_or_b32 s28, s27, s28
	s_and_not1_b32 exec_lo, exec_lo, s28
	s_cbranch_execnz .LBB57_2
; %bb.3:
	s_or_b32 exec_lo, exec_lo, s28
.LBB57_4:
	s_delay_alu instid0(SALU_CYCLE_1)
	s_or_b32 exec_lo, exec_lo, s29
	v_add_nc_u32_e32 v13, v11, v12
	v_lshrrev_b32_e32 v25, 16, v1
	v_lshrrev_b32_e32 v26, 24, v1
	v_add_nc_u32_e32 v1, v14, v11
	v_add_nc_u32_e32 v12, v10, v12
	v_sub_nc_u32_e32 v11, v13, v14
	v_cmp_lt_i32_e64 s27, 7, v14
	v_lshrrev_b32_e32 v23, 16, v2
	v_add_nc_u32_e32 v15, v0, v1
	v_sub_nc_u32_e32 v12, v12, v14
	v_add_nc_u32_e32 v16, v0, v11
	v_lshrrev_b32_e32 v24, 24, v2
                                        ; implicit-def: $vgpr14
	ds_load_u8 v11, v15
	ds_load_u8 v13, v16 offset:8
	v_cmp_gt_i32_e64 s29, v9, v12
	s_waitcnt lgkmcnt(1)
	v_bfe_i32 v11, v11, 0, 8
	s_waitcnt lgkmcnt(0)
	v_bfe_i32 v13, v13, 0, 8
	s_delay_alu instid0(VALU_DEP_1) | instskip(NEXT) | instid1(VALU_DEP_1)
	v_cmp_lt_i16_e64 s28, v13, v11
	s_or_b32 s27, s27, s28
	s_delay_alu instid0(SALU_CYCLE_1) | instskip(NEXT) | instid1(SALU_CYCLE_1)
	s_and_b32 s27, s29, s27
	s_xor_b32 s28, s27, -1
	s_delay_alu instid0(SALU_CYCLE_1) | instskip(NEXT) | instid1(SALU_CYCLE_1)
	s_and_saveexec_b32 s29, s28
	s_xor_b32 s28, exec_lo, s29
	s_cbranch_execz .LBB57_6
; %bb.5:
	ds_load_u8 v14, v15 offset:1
                                        ; implicit-def: $vgpr16
.LBB57_6:
	s_or_saveexec_b32 s28, s28
	v_mov_b32_e32 v15, v13
	s_xor_b32 exec_lo, exec_lo, s28
	s_cbranch_execz .LBB57_8
; %bb.7:
	ds_load_u8 v15, v16 offset:9
	s_waitcnt lgkmcnt(1)
	v_mov_b32_e32 v14, v11
.LBB57_8:
	s_or_b32 exec_lo, exec_lo, s28
	v_add_nc_u32_e32 v16, 1, v1
	v_add_nc_u32_e32 v17, 1, v12
	s_waitcnt lgkmcnt(0)
	v_bfe_i32 v18, v14, 0, 8
	v_bfe_i32 v19, v15, 0, 8
	v_cndmask_b32_e64 v16, v16, v1, s27
	v_cndmask_b32_e64 v17, v12, v17, s27
	s_delay_alu instid0(VALU_DEP_3) | instskip(NEXT) | instid1(VALU_DEP_3)
	v_cmp_lt_i16_e64 s29, v19, v18
                                        ; implicit-def: $vgpr18
	v_cmp_ge_i32_e64 s28, v16, v10
	s_delay_alu instid0(VALU_DEP_3) | instskip(NEXT) | instid1(VALU_DEP_2)
	v_cmp_lt_i32_e64 s30, v17, v9
	s_or_b32 s28, s28, s29
	s_delay_alu instid0(VALU_DEP_1) | instid1(SALU_CYCLE_1)
	s_and_b32 s28, s30, s28
	s_delay_alu instid0(SALU_CYCLE_1) | instskip(NEXT) | instid1(SALU_CYCLE_1)
	s_xor_b32 s29, s28, -1
	s_and_saveexec_b32 s30, s29
	s_delay_alu instid0(SALU_CYCLE_1)
	s_xor_b32 s29, exec_lo, s30
	s_cbranch_execz .LBB57_10
; %bb.9:
	v_add_nc_u32_e32 v18, v0, v16
	ds_load_u8 v18, v18 offset:1
.LBB57_10:
	s_or_saveexec_b32 s29, s29
	v_mov_b32_e32 v19, v15
	s_xor_b32 exec_lo, exec_lo, s29
	s_cbranch_execz .LBB57_12
; %bb.11:
	s_waitcnt lgkmcnt(0)
	v_add_nc_u32_e32 v18, v0, v17
	ds_load_u8 v19, v18 offset:1
	v_mov_b32_e32 v18, v14
.LBB57_12:
	s_or_b32 exec_lo, exec_lo, s29
	v_add_nc_u32_e32 v20, 1, v16
	v_add_nc_u32_e32 v21, 1, v17
	s_waitcnt lgkmcnt(0)
	v_bfe_i32 v22, v18, 0, 8
	v_bfe_i32 v27, v19, 0, 8
	v_cndmask_b32_e64 v20, v20, v16, s28
	v_cndmask_b32_e64 v21, v17, v21, s28
	s_delay_alu instid0(VALU_DEP_3) | instskip(NEXT) | instid1(VALU_DEP_3)
	v_cmp_lt_i16_e64 s30, v27, v22
                                        ; implicit-def: $vgpr22
	v_cmp_ge_i32_e64 s29, v20, v10
	s_delay_alu instid0(VALU_DEP_3) | instskip(NEXT) | instid1(VALU_DEP_2)
	v_cmp_lt_i32_e64 s31, v21, v9
	s_or_b32 s29, s29, s30
	s_delay_alu instid0(VALU_DEP_1) | instid1(SALU_CYCLE_1)
	s_and_b32 s29, s31, s29
	s_delay_alu instid0(SALU_CYCLE_1) | instskip(NEXT) | instid1(SALU_CYCLE_1)
	s_xor_b32 s30, s29, -1
	s_and_saveexec_b32 s31, s30
	s_delay_alu instid0(SALU_CYCLE_1)
	s_xor_b32 s30, exec_lo, s31
	s_cbranch_execz .LBB57_14
; %bb.13:
	v_add_nc_u32_e32 v22, v0, v20
	ds_load_u8 v22, v22 offset:1
.LBB57_14:
	s_or_saveexec_b32 s30, s30
	v_mov_b32_e32 v27, v19
	s_xor_b32 exec_lo, exec_lo, s30
	s_cbranch_execz .LBB57_16
; %bb.15:
	s_waitcnt lgkmcnt(0)
	v_add_nc_u32_e32 v22, v0, v21
	ds_load_u8 v27, v22 offset:1
	v_mov_b32_e32 v22, v18
.LBB57_16:
	s_or_b32 exec_lo, exec_lo, s30
	v_add_nc_u32_e32 v28, 1, v20
	v_add_nc_u32_e32 v29, 1, v21
	s_waitcnt lgkmcnt(0)
	v_bfe_i32 v30, v22, 0, 8
	v_bfe_i32 v31, v27, 0, 8
	v_cndmask_b32_e64 v28, v28, v20, s29
	v_cndmask_b32_e64 v29, v21, v29, s29
	s_delay_alu instid0(VALU_DEP_3) | instskip(NEXT) | instid1(VALU_DEP_3)
	v_cmp_lt_i16_e64 s31, v31, v30
                                        ; implicit-def: $vgpr30
	v_cmp_ge_i32_e64 s30, v28, v10
	s_delay_alu instid0(VALU_DEP_3) | instskip(NEXT) | instid1(VALU_DEP_2)
	v_cmp_lt_i32_e64 s33, v29, v9
	s_or_b32 s30, s30, s31
	s_delay_alu instid0(VALU_DEP_1) | instid1(SALU_CYCLE_1)
	s_and_b32 s30, s33, s30
	s_delay_alu instid0(SALU_CYCLE_1) | instskip(NEXT) | instid1(SALU_CYCLE_1)
	s_xor_b32 s31, s30, -1
	s_and_saveexec_b32 s33, s31
	s_delay_alu instid0(SALU_CYCLE_1)
	s_xor_b32 s31, exec_lo, s33
	s_cbranch_execz .LBB57_18
; %bb.17:
	v_add_nc_u32_e32 v30, v0, v28
	ds_load_u8 v30, v30 offset:1
.LBB57_18:
	s_or_saveexec_b32 s31, s31
	v_mov_b32_e32 v31, v27
	s_xor_b32 exec_lo, exec_lo, s31
	s_cbranch_execz .LBB57_20
; %bb.19:
	s_waitcnt lgkmcnt(0)
	v_add_nc_u32_e32 v30, v0, v29
	ds_load_u8 v31, v30 offset:1
	v_mov_b32_e32 v30, v22
.LBB57_20:
	s_or_b32 exec_lo, exec_lo, s31
	v_add_nc_u32_e32 v32, 1, v28
	v_add_nc_u32_e32 v33, 1, v29
	s_waitcnt lgkmcnt(0)
	v_bfe_i32 v34, v30, 0, 8
	v_bfe_i32 v35, v31, 0, 8
	v_cndmask_b32_e64 v32, v32, v28, s30
	v_cndmask_b32_e64 v33, v29, v33, s30
	s_delay_alu instid0(VALU_DEP_3) | instskip(NEXT) | instid1(VALU_DEP_3)
	v_cmp_lt_i16_e64 s33, v35, v34
                                        ; implicit-def: $vgpr35
	v_cmp_ge_i32_e64 s31, v32, v10
	s_delay_alu instid0(VALU_DEP_3) | instskip(NEXT) | instid1(VALU_DEP_2)
	v_cmp_lt_i32_e64 s34, v33, v9
	s_or_b32 s31, s31, s33
	s_delay_alu instid0(VALU_DEP_1) | instid1(SALU_CYCLE_1)
	s_and_b32 s31, s34, s31
	s_delay_alu instid0(SALU_CYCLE_1) | instskip(NEXT) | instid1(SALU_CYCLE_1)
	s_xor_b32 s33, s31, -1
	s_and_saveexec_b32 s34, s33
	s_delay_alu instid0(SALU_CYCLE_1)
	s_xor_b32 s33, exec_lo, s34
	s_cbranch_execz .LBB57_22
; %bb.21:
	v_add_nc_u32_e32 v34, v0, v32
	ds_load_u8 v35, v34 offset:1
.LBB57_22:
	s_or_saveexec_b32 s33, s33
	v_mov_b32_e32 v37, v31
	s_xor_b32 exec_lo, exec_lo, s33
	s_cbranch_execz .LBB57_24
; %bb.23:
	s_waitcnt lgkmcnt(0)
	v_dual_mov_b32 v35, v30 :: v_dual_add_nc_u32 v34, v0, v33
	ds_load_u8 v37, v34 offset:1
.LBB57_24:
	s_or_b32 exec_lo, exec_lo, s33
	v_add_nc_u32_e32 v34, 1, v32
	v_add_nc_u32_e32 v36, 1, v33
	s_waitcnt lgkmcnt(0)
	v_bfe_i32 v38, v35, 0, 8
                                        ; implicit-def: $vgpr42
	s_delay_alu instid0(VALU_DEP_3) | instskip(SKIP_2) | instid1(VALU_DEP_3)
	v_cndmask_b32_e64 v40, v34, v32, s31
	v_bfe_i32 v34, v37, 0, 8
	v_cndmask_b32_e64 v41, v33, v36, s31
	v_cmp_ge_i32_e64 s33, v40, v10
	s_delay_alu instid0(VALU_DEP_3) | instskip(NEXT) | instid1(VALU_DEP_3)
	v_cmp_lt_i16_e64 s34, v34, v38
	v_cmp_lt_i32_e64 s35, v41, v9
	s_delay_alu instid0(VALU_DEP_2)
	s_or_b32 s33, s33, s34
	s_delay_alu instid0(VALU_DEP_1) | instid1(SALU_CYCLE_1)
	s_and_b32 s34, s35, s33
	s_delay_alu instid0(SALU_CYCLE_1) | instskip(NEXT) | instid1(SALU_CYCLE_1)
	s_xor_b32 s33, s34, -1
	s_and_saveexec_b32 s35, s33
	s_delay_alu instid0(SALU_CYCLE_1)
	s_xor_b32 s33, exec_lo, s35
	s_cbranch_execz .LBB57_26
; %bb.25:
	v_add_nc_u32_e32 v34, v0, v40
	ds_load_u8 v42, v34 offset:1
.LBB57_26:
	s_or_saveexec_b32 s33, s33
	v_mov_b32_e32 v43, v37
	s_xor_b32 exec_lo, exec_lo, s33
	s_cbranch_execz .LBB57_28
; %bb.27:
	v_add_nc_u32_e32 v34, v0, v41
	s_waitcnt lgkmcnt(0)
	v_mov_b32_e32 v42, v35
	ds_load_u8 v43, v34 offset:1
.LBB57_28:
	s_or_b32 exec_lo, exec_lo, s33
	v_add_nc_u32_e32 v34, 1, v40
	v_add_nc_u32_e32 v36, 1, v41
	s_waitcnt lgkmcnt(0)
	v_bfe_i32 v44, v42, 0, 8
	s_delay_alu instid0(VALU_DEP_3) | instskip(SKIP_2) | instid1(VALU_DEP_3)
	v_cndmask_b32_e64 v38, v34, v40, s34
	v_bfe_i32 v34, v43, 0, 8
	v_cndmask_b32_e64 v39, v41, v36, s34
	v_cmp_ge_i32_e64 s33, v38, v10
	s_delay_alu instid0(VALU_DEP_3) | instskip(NEXT) | instid1(VALU_DEP_3)
	v_cmp_lt_i16_e64 s35, v34, v44
	v_cmp_lt_i32_e64 s36, v39, v9
                                        ; implicit-def: $vgpr34
	s_delay_alu instid0(VALU_DEP_2)
	s_or_b32 s33, s33, s35
	s_delay_alu instid0(VALU_DEP_1) | instid1(SALU_CYCLE_1)
	s_and_b32 s33, s36, s33
	s_delay_alu instid0(SALU_CYCLE_1) | instskip(NEXT) | instid1(SALU_CYCLE_1)
	s_xor_b32 s35, s33, -1
	s_and_saveexec_b32 s36, s35
	s_delay_alu instid0(SALU_CYCLE_1)
	s_xor_b32 s35, exec_lo, s36
	s_cbranch_execz .LBB57_30
; %bb.29:
	v_add_nc_u32_e32 v34, v0, v38
	ds_load_u8 v34, v34 offset:1
.LBB57_30:
	s_or_saveexec_b32 s35, s35
	v_mov_b32_e32 v36, v43
	s_xor_b32 exec_lo, exec_lo, s35
	s_cbranch_execz .LBB57_32
; %bb.31:
	s_waitcnt lgkmcnt(0)
	v_add_nc_u32_e32 v34, v0, v39
	ds_load_u8 v36, v34 offset:1
	v_mov_b32_e32 v34, v42
.LBB57_32:
	s_or_b32 exec_lo, exec_lo, s35
	v_add_nc_u16 v5, v5, 1
	v_add_nc_u16 v6, v6, 1
	v_add_nc_u16 v2, v2, 1
	v_add_nc_u16 v25, v25, 1
	v_lshlrev_b16 v7, 8, v7
	v_and_b32_e32 v45, 0xff, v5
	v_lshlrev_b16 v44, 8, v6
	v_and_b32_e32 v2, 0xff, v2
	v_lshlrev_b16 v26, 8, v26
	v_add_nc_u16 v23, v23, 1
	v_and_b32_e32 v25, 0xff, v25
	v_or_b32_e32 v44, v45, v44
	v_lshlrev_b16 v5, 8, v5
	v_or_b32_e32 v2, v7, v2
	v_lshlrev_b16 v24, 8, v24
	v_and_b32_e32 v23, 0xff, v23
	v_and_b32_e32 v7, 0xffff, v44
	;; [unrolled: 1-line block ×3, first 2 shown]
	v_or_b32_e32 v25, v26, v25
	v_add_nc_u16 v2, v2, 0x100
	v_cndmask_b32_e64 v30, v30, v31, s31
	v_cndmask_b32_e64 v14, v14, v15, s28
	v_or_b32_e32 v5, v6, v5
	v_or_b32_e32 v6, v24, v23
	v_add_nc_u16 v23, v25, 0x100
	v_and_b32_e32 v2, 0xffff, v2
	v_cndmask_b32_e64 v11, v11, v13, s27
	v_and_b32_e32 v5, 0xffff, v5
	v_add_nc_u16 v6, v6, 0x100
	v_lshlrev_b32_e32 v24, 16, v23
	v_cndmask_b32_e64 v1, v1, v12, s27
	s_waitcnt lgkmcnt(0)
	v_bfe_i32 v12, v34, 0, 8
	v_cndmask_b32_e32 v5, v7, v5, vcc_lo
	v_perm_b32 v7, 0, v23, 0xc0c0001
	v_lshlrev_b32_e32 v6, 16, v6
	v_bfe_i32 v13, v36, 0, 8
	v_add_nc_u32_e32 v25, 1, v38
	v_or_b32_e32 v5, v5, v24
	v_lshlrev_b32_e32 v7, 16, v7
	v_or_b32_e32 v2, v2, v6
	v_cmp_lt_i16_e32 vcc_lo, v13, v12
	v_add_nc_u32_e32 v12, v0, v1
	v_add_nc_u32_e32 v24, 1, v39
	v_and_or_b32 v6, 0xffff, v5, v7
	v_perm_b32 v7, v2, v2, 0x7060405
	v_cndmask_b32_e64 v26, v38, v39, s33
	v_cndmask_b32_e64 v18, v18, v19, s29
	;; [unrolled: 1-line block ×8, first 2 shown]
	v_perm_b32 v6, v5, v5, 0x7050604
	v_perm_b32 v7, v2, v2, 0x6070504
	v_cmp_ge_i32_e64 s0, v20, v10
	v_cndmask_b32_e64 v27, v28, v29, s30
	v_cndmask_b32_e64 v32, v32, v33, s31
	;; [unrolled: 1-line block ×4, first 2 shown]
	s_or_b32 s0, s0, vcc_lo
	v_lshlrev_b16 v14, 8, v14
	v_and_b32_e32 v11, 0xff, v11
	v_lshrrev_b32_e32 v6, 16, v5
	v_lshlrev_b16 v7, 8, v2
	v_add_nc_u32_e32 v17, v0, v8
	v_add_nc_u32_e32 v13, v0, v16
	;; [unrolled: 1-line block ×3, first 2 shown]
	v_and_b32_e32 v6, 0xff, v6
	v_or_b32_e32 v14, v11, v14
	; wave barrier
	v_cndmask_b32_e64 v23, v42, v43, s33
	s_delay_alu instid0(VALU_DEP_3) | instskip(SKIP_3) | instid1(VALU_DEP_4)
	v_or_b32_e32 v6, v6, v7
	v_lshlrev_b16 v22, 8, v22
	v_and_b32_e32 v18, 0xff, v18
	v_and_b32_e32 v14, 0xffff, v14
	v_lshlrev_b32_e32 v6, 16, v6
	s_delay_alu instid0(VALU_DEP_1) | instskip(NEXT) | instid1(VALU_DEP_1)
	v_and_or_b32 v6, 0xffff, v5, v6
	v_cndmask_b32_e64 v6, v5, v6, s2
	v_perm_b32 v5, v5, v2, 0x3020107
	s_delay_alu instid0(VALU_DEP_2) | instskip(NEXT) | instid1(VALU_DEP_2)
	v_perm_b32 v7, 0, v6, 0xc0c0001
	v_cndmask_b32_e64 v2, v2, v5, s2
	s_delay_alu instid0(VALU_DEP_2) | instskip(NEXT) | instid1(VALU_DEP_1)
	v_and_or_b32 v7, 0xffff0000, v6, v7
	v_cndmask_b32_e64 v6, v6, v7, s5
	s_delay_alu instid0(VALU_DEP_1) | instskip(NEXT) | instid1(VALU_DEP_1)
	v_lshrrev_b32_e32 v7, 16, v6
	v_perm_b32 v5, 0, v7, 0xc0c0001
	v_perm_b32 v7, v2, v2, 0x7050604
	s_delay_alu instid0(VALU_DEP_2) | instskip(NEXT) | instid1(VALU_DEP_2)
	v_lshlrev_b32_e32 v5, 16, v5
	v_cndmask_b32_e64 v2, v2, v7, s6
	s_delay_alu instid0(VALU_DEP_2) | instskip(NEXT) | instid1(VALU_DEP_2)
	v_and_or_b32 v5, 0xffff, v6, v5
	v_perm_b32 v7, v2, v2, 0x7060405
	s_delay_alu instid0(VALU_DEP_2) | instskip(NEXT) | instid1(VALU_DEP_2)
	v_cndmask_b32_e64 v5, v6, v5, s7
	v_cndmask_b32_e64 v2, v2, v7, s8
	s_delay_alu instid0(VALU_DEP_2) | instskip(NEXT) | instid1(VALU_DEP_2)
	v_perm_b32 v6, v5, v5, 0x7050604
	v_perm_b32 v7, v2, v2, 0x6070504
	s_delay_alu instid0(VALU_DEP_2) | instskip(NEXT) | instid1(VALU_DEP_2)
	v_cndmask_b32_e64 v5, v5, v6, s10
	v_cndmask_b32_e64 v2, v2, v7, s11
	s_delay_alu instid0(VALU_DEP_2) | instskip(NEXT) | instid1(VALU_DEP_2)
	v_lshrrev_b32_e32 v6, 16, v5
	v_lshlrev_b16 v7, 8, v2
	s_delay_alu instid0(VALU_DEP_2) | instskip(NEXT) | instid1(VALU_DEP_1)
	v_and_b32_e32 v6, 0xff, v6
	v_or_b32_e32 v6, v6, v7
	s_delay_alu instid0(VALU_DEP_1) | instskip(NEXT) | instid1(VALU_DEP_1)
	v_lshlrev_b32_e32 v6, 16, v6
	v_and_or_b32 v6, 0xffff, v5, v6
	s_delay_alu instid0(VALU_DEP_1) | instskip(SKIP_1) | instid1(VALU_DEP_2)
	v_cndmask_b32_e64 v6, v5, v6, s9
	v_perm_b32 v5, v5, v2, 0x3020107
	v_perm_b32 v7, 0, v6, 0xc0c0001
	s_delay_alu instid0(VALU_DEP_2) | instskip(NEXT) | instid1(VALU_DEP_2)
	v_cndmask_b32_e64 v2, v2, v5, s9
	v_and_or_b32 v7, 0xffff0000, v6, v7
	s_delay_alu instid0(VALU_DEP_1) | instskip(NEXT) | instid1(VALU_DEP_1)
	v_cndmask_b32_e64 v6, v6, v7, s12
	v_lshrrev_b32_e32 v7, 16, v6
	s_delay_alu instid0(VALU_DEP_1) | instskip(SKIP_1) | instid1(VALU_DEP_2)
	v_perm_b32 v5, 0, v7, 0xc0c0001
	v_perm_b32 v7, v2, v2, 0x7050604
	v_lshlrev_b32_e32 v5, 16, v5
	s_delay_alu instid0(VALU_DEP_2) | instskip(NEXT) | instid1(VALU_DEP_2)
	v_cndmask_b32_e64 v2, v2, v7, s13
	v_and_or_b32 v5, 0xffff, v6, v5
	s_delay_alu instid0(VALU_DEP_2) | instskip(NEXT) | instid1(VALU_DEP_2)
	v_perm_b32 v7, v2, v2, 0x7060405
	v_cndmask_b32_e64 v5, v6, v5, s14
	s_delay_alu instid0(VALU_DEP_2) | instskip(NEXT) | instid1(VALU_DEP_2)
	v_cndmask_b32_e64 v2, v2, v7, s15
	v_perm_b32 v6, v5, v5, 0x7050604
	s_delay_alu instid0(VALU_DEP_2) | instskip(NEXT) | instid1(VALU_DEP_2)
	v_perm_b32 v7, v2, v2, 0x6070504
	v_cndmask_b32_e64 v5, v5, v6, s21
	s_delay_alu instid0(VALU_DEP_2) | instskip(NEXT) | instid1(VALU_DEP_2)
	v_cndmask_b32_e64 v2, v2, v7, s22
	v_lshrrev_b32_e32 v6, 16, v5
	s_delay_alu instid0(VALU_DEP_2) | instskip(NEXT) | instid1(VALU_DEP_2)
	v_lshlrev_b16 v7, 8, v2
	v_and_b32_e32 v6, 0xff, v6
	s_delay_alu instid0(VALU_DEP_1) | instskip(NEXT) | instid1(VALU_DEP_1)
	v_or_b32_e32 v6, v6, v7
	v_lshlrev_b32_e32 v6, 16, v6
	s_delay_alu instid0(VALU_DEP_1) | instskip(NEXT) | instid1(VALU_DEP_1)
	v_and_or_b32 v6, 0xffff, v5, v6
	v_cndmask_b32_e64 v6, v5, v6, s16
	v_perm_b32 v5, v5, v2, 0x3020107
	s_delay_alu instid0(VALU_DEP_2) | instskip(NEXT) | instid1(VALU_DEP_2)
	v_perm_b32 v7, 0, v6, 0xc0c0001
	v_cndmask_b32_e64 v2, v2, v5, s16
	s_delay_alu instid0(VALU_DEP_2) | instskip(NEXT) | instid1(VALU_DEP_2)
	v_and_or_b32 v7, 0xffff0000, v6, v7
	v_perm_b32 v15, v2, v2, 0x7050604
	s_delay_alu instid0(VALU_DEP_2) | instskip(NEXT) | instid1(VALU_DEP_2)
	v_cndmask_b32_e64 v6, v6, v7, s25
	v_cndmask_b32_e64 v2, v2, v15, s24
	;; [unrolled: 1-line block ×4, first 2 shown]
	s_delay_alu instid0(VALU_DEP_4) | instskip(NEXT) | instid1(VALU_DEP_4)
	v_lshrrev_b32_e32 v31, 16, v6
	v_perm_b32 v15, v2, v2, 0x7060405
	s_delay_alu instid0(VALU_DEP_4) | instskip(NEXT) | instid1(VALU_DEP_4)
	v_lshlrev_b16 v7, 8, v7
	v_add_nc_u32_e32 v21, v0, v35
	s_delay_alu instid0(VALU_DEP_4) | instskip(NEXT) | instid1(VALU_DEP_4)
	v_perm_b32 v5, 0, v31, 0xc0c0001
	v_cndmask_b32_e64 v2, v2, v15, s17
	s_delay_alu instid0(VALU_DEP_2) | instskip(NEXT) | instid1(VALU_DEP_2)
	v_lshlrev_b32_e32 v5, 16, v5
	v_perm_b32 v1, v2, v2, 0x6070504
	s_delay_alu instid0(VALU_DEP_2) | instskip(NEXT) | instid1(VALU_DEP_2)
	v_and_or_b32 v5, 0xffff, v6, v5
	v_cndmask_b32_e64 v1, v2, v1, s19
	s_delay_alu instid0(VALU_DEP_2) | instskip(NEXT) | instid1(VALU_DEP_2)
	v_cndmask_b32_e64 v5, v6, v5, s18
	v_lshlrev_b16 v25, 8, v1
	v_cndmask_b32_e64 v6, v39, v24, s33
	v_add_nc_u32_e32 v24, v0, v26
	s_delay_alu instid0(VALU_DEP_4) | instskip(NEXT) | instid1(VALU_DEP_3)
	v_perm_b32 v15, v5, v5, 0x7050604
	v_cmp_lt_i32_e64 s1, v6, v9
	s_delay_alu instid0(VALU_DEP_2) | instskip(SKIP_1) | instid1(VALU_DEP_3)
	v_cndmask_b32_e64 v5, v5, v15, s23
	v_add_nc_u32_e32 v15, v0, v19
	s_and_b32 vcc_lo, s1, s0
	v_add_nc_u32_e32 v19, v0, v32
	v_cndmask_b32_e32 v6, v20, v6, vcc_lo
	v_lshrrev_b32_e32 v2, 16, v5
	v_perm_b32 v26, v5, v1, 0x3020107
	v_and_b32_e32 v20, 0xff, v23
	s_mov_b32 s0, 0
	v_add_nc_u32_e32 v11, v0, v6
	v_and_b32_e32 v2, 0xff, v2
	v_cndmask_b32_e64 v1, v1, v26, s20
	v_cndmask_b32_e32 v26, v34, v36, vcc_lo
	s_mov_b32 s1, exec_lo
	s_delay_alu instid0(VALU_DEP_3) | instskip(NEXT) | instid1(VALU_DEP_3)
	v_or_b32_e32 v2, v2, v25
	v_perm_b32 v9, v1, v1, 0x7050604
	v_and_b32_e32 v25, 0xff, v30
	v_lshlrev_b16 v23, 8, v26
	s_delay_alu instid0(VALU_DEP_4) | instskip(NEXT) | instid1(VALU_DEP_3)
	v_lshlrev_b32_e32 v2, 16, v2
	v_or_b32_e32 v7, v25, v7
	s_delay_alu instid0(VALU_DEP_2) | instskip(SKIP_1) | instid1(VALU_DEP_2)
	v_and_or_b32 v10, 0xffff, v5, v2
	v_cndmask_b32_e64 v2, v1, v9, s26
	v_cndmask_b32_e64 v1, v5, v10, s20
	ds_store_b64 v17, v[1:2]
	; wave barrier
	ds_load_u8 v2, v12
	ds_load_u8 v6, v13
	;; [unrolled: 1-line block ×8, first 2 shown]
	v_or_b32_e32 v13, v18, v22
	v_or_b32_e32 v15, v20, v23
	v_and_b32_e32 v18, 0xffff, v7
	v_sub_nc_u32_e64 v7, v8, 16 clamp
	s_delay_alu instid0(VALU_DEP_4) | instskip(NEXT) | instid1(VALU_DEP_4)
	v_lshlrev_b32_e32 v16, 16, v13
	v_lshlrev_b32_e32 v15, 16, v15
	v_min_i32_e32 v13, 16, v8
	; wave barrier
	s_delay_alu instid0(VALU_DEP_3) | instskip(NEXT) | instid1(VALU_DEP_3)
	v_or_b32_e32 v14, v14, v16
	v_or_b32_e32 v15, v18, v15
	ds_store_b64 v17, v[14:15]
	; wave barrier
	v_cmpx_lt_u32_e64 v7, v13
	s_cbranch_execz .LBB57_35
	.p2align	6
.LBB57_33:                              ; =>This Inner Loop Header: Depth=1
	v_sub_nc_u32_e32 v14, v13, v7
	s_delay_alu instid0(VALU_DEP_1) | instskip(NEXT) | instid1(VALU_DEP_1)
	v_lshrrev_b32_e32 v15, 31, v14
	v_add_nc_u32_e32 v14, v14, v15
	s_delay_alu instid0(VALU_DEP_1) | instskip(NEXT) | instid1(VALU_DEP_1)
	v_ashrrev_i32_e32 v14, 1, v14
	v_add_nc_u32_e32 v14, v14, v7
	s_delay_alu instid0(VALU_DEP_1)
	v_add_nc_u32_e32 v15, v0, v14
	v_xad_u32 v16, v14, -1, v4
	v_add_nc_u32_e32 v17, 1, v14
	ds_load_i8 v15, v15
	ds_load_i8 v16, v16 offset:16
	s_waitcnt lgkmcnt(0)
	v_cmp_lt_i16_e32 vcc_lo, v16, v15
	v_cndmask_b32_e32 v13, v13, v14, vcc_lo
	v_cndmask_b32_e32 v7, v17, v7, vcc_lo
	s_delay_alu instid0(VALU_DEP_1) | instskip(SKIP_1) | instid1(SALU_CYCLE_1)
	v_cmp_ge_i32_e32 vcc_lo, v7, v13
	s_or_b32 s0, vcc_lo, s0
	s_and_not1_b32 exec_lo, exec_lo, s0
	s_cbranch_execnz .LBB57_33
; %bb.34:
	s_or_b32 exec_lo, exec_lo, s0
.LBB57_35:
	s_delay_alu instid0(SALU_CYCLE_1) | instskip(SKIP_3) | instid1(VALU_DEP_3)
	s_or_b32 exec_lo, exec_lo, s1
	v_sub_nc_u32_e32 v14, v8, v7
	v_add_nc_u32_e32 v15, v0, v7
	v_cmp_lt_i32_e32 vcc_lo, 15, v7
	v_add_nc_u32_e32 v17, v0, v14
	v_add_nc_u32_e32 v16, 16, v14
                                        ; implicit-def: $vgpr14
	ds_load_u8 v8, v15
	ds_load_u8 v13, v17 offset:16
	v_cmp_gt_i32_e64 s1, 32, v16
	s_waitcnt lgkmcnt(1)
	v_bfe_i32 v8, v8, 0, 8
	s_waitcnt lgkmcnt(0)
	v_bfe_i32 v13, v13, 0, 8
	s_delay_alu instid0(VALU_DEP_1) | instskip(NEXT) | instid1(VALU_DEP_1)
	v_cmp_lt_i16_e64 s0, v13, v8
	s_or_b32 s0, vcc_lo, s0
	s_delay_alu instid0(SALU_CYCLE_1) | instskip(NEXT) | instid1(SALU_CYCLE_1)
	s_and_b32 vcc_lo, s1, s0
	s_xor_b32 s0, vcc_lo, -1
	s_delay_alu instid0(SALU_CYCLE_1) | instskip(NEXT) | instid1(SALU_CYCLE_1)
	s_and_saveexec_b32 s1, s0
	s_xor_b32 s0, exec_lo, s1
	s_cbranch_execz .LBB57_37
; %bb.36:
	ds_load_u8 v14, v15 offset:1
                                        ; implicit-def: $vgpr17
.LBB57_37:
	s_or_saveexec_b32 s0, s0
	v_mov_b32_e32 v15, v13
	s_xor_b32 exec_lo, exec_lo, s0
	s_cbranch_execz .LBB57_39
; %bb.38:
	ds_load_u8 v15, v17 offset:17
	s_waitcnt lgkmcnt(1)
	v_mov_b32_e32 v14, v8
.LBB57_39:
	s_or_b32 exec_lo, exec_lo, s0
	v_add_nc_u32_e32 v18, 1, v16
	v_add_nc_u32_e32 v17, 1, v7
	s_waitcnt lgkmcnt(0)
	v_bfe_i32 v19, v14, 0, 8
	s_delay_alu instid0(VALU_DEP_2) | instskip(SKIP_1) | instid1(VALU_DEP_2)
	v_dual_cndmask_b32 v22, v16, v18 :: v_dual_cndmask_b32 v21, v17, v7
	v_bfe_i32 v17, v15, 0, 8
	v_cmp_gt_i32_e64 s2, 32, v22
	s_delay_alu instid0(VALU_DEP_3) | instskip(NEXT) | instid1(VALU_DEP_3)
	v_cmp_lt_i32_e64 s0, 15, v21
	v_cmp_lt_i16_e64 s1, v17, v19
                                        ; implicit-def: $vgpr17
	s_delay_alu instid0(VALU_DEP_1)
	s_or_b32 s0, s0, s1
	s_delay_alu instid0(VALU_DEP_3) | instid1(SALU_CYCLE_1)
	s_and_b32 s0, s2, s0
	s_delay_alu instid0(SALU_CYCLE_1) | instskip(NEXT) | instid1(SALU_CYCLE_1)
	s_xor_b32 s1, s0, -1
	s_and_saveexec_b32 s2, s1
	s_delay_alu instid0(SALU_CYCLE_1)
	s_xor_b32 s1, exec_lo, s2
	s_cbranch_execz .LBB57_41
; %bb.40:
	v_add_nc_u32_e32 v17, v0, v21
	ds_load_u8 v17, v17 offset:1
.LBB57_41:
	s_or_saveexec_b32 s1, s1
	v_mov_b32_e32 v18, v15
	s_xor_b32 exec_lo, exec_lo, s1
	s_cbranch_execz .LBB57_43
; %bb.42:
	s_waitcnt lgkmcnt(0)
	v_add_nc_u32_e32 v17, v0, v22
	ds_load_u8 v18, v17 offset:1
	v_mov_b32_e32 v17, v14
.LBB57_43:
	s_or_b32 exec_lo, exec_lo, s1
	v_add_nc_u32_e32 v19, 1, v21
	v_add_nc_u32_e32 v20, 1, v22
	s_waitcnt lgkmcnt(0)
	v_bfe_i32 v23, v17, 0, 8
	s_delay_alu instid0(VALU_DEP_3) | instskip(SKIP_2) | instid1(VALU_DEP_3)
	v_cndmask_b32_e64 v25, v19, v21, s0
	v_bfe_i32 v19, v18, 0, 8
	v_cndmask_b32_e64 v26, v22, v20, s0
	v_cmp_lt_i32_e64 s1, 15, v25
	s_delay_alu instid0(VALU_DEP_3) | instskip(NEXT) | instid1(VALU_DEP_3)
	v_cmp_lt_i16_e64 s2, v19, v23
	v_cmp_gt_i32_e64 s3, 32, v26
                                        ; implicit-def: $vgpr19
	s_delay_alu instid0(VALU_DEP_2)
	s_or_b32 s1, s1, s2
	s_delay_alu instid0(VALU_DEP_1) | instid1(SALU_CYCLE_1)
	s_and_b32 s1, s3, s1
	s_delay_alu instid0(SALU_CYCLE_1) | instskip(NEXT) | instid1(SALU_CYCLE_1)
	s_xor_b32 s2, s1, -1
	s_and_saveexec_b32 s3, s2
	s_delay_alu instid0(SALU_CYCLE_1)
	s_xor_b32 s2, exec_lo, s3
	s_cbranch_execz .LBB57_45
; %bb.44:
	v_add_nc_u32_e32 v19, v0, v25
	ds_load_u8 v19, v19 offset:1
.LBB57_45:
	s_or_saveexec_b32 s2, s2
	v_mov_b32_e32 v20, v18
	s_xor_b32 exec_lo, exec_lo, s2
	s_cbranch_execz .LBB57_47
; %bb.46:
	s_waitcnt lgkmcnt(0)
	v_add_nc_u32_e32 v19, v0, v26
	ds_load_u8 v20, v19 offset:1
	v_mov_b32_e32 v19, v17
.LBB57_47:
	s_or_b32 exec_lo, exec_lo, s2
	v_add_nc_u32_e32 v23, 1, v25
	v_add_nc_u32_e32 v24, 1, v26
	s_waitcnt lgkmcnt(0)
	v_bfe_i32 v27, v19, 0, 8
	s_delay_alu instid0(VALU_DEP_3) | instskip(SKIP_2) | instid1(VALU_DEP_3)
	v_cndmask_b32_e64 v29, v23, v25, s1
	v_bfe_i32 v23, v20, 0, 8
	v_cndmask_b32_e64 v30, v26, v24, s1
	v_cmp_lt_i32_e64 s2, 15, v29
	s_delay_alu instid0(VALU_DEP_3) | instskip(NEXT) | instid1(VALU_DEP_3)
	v_cmp_lt_i16_e64 s3, v23, v27
	v_cmp_gt_i32_e64 s4, 32, v30
                                        ; implicit-def: $vgpr23
	s_delay_alu instid0(VALU_DEP_2)
	s_or_b32 s2, s2, s3
	s_delay_alu instid0(VALU_DEP_1) | instid1(SALU_CYCLE_1)
	s_and_b32 s2, s4, s2
	s_delay_alu instid0(SALU_CYCLE_1) | instskip(NEXT) | instid1(SALU_CYCLE_1)
	s_xor_b32 s3, s2, -1
	s_and_saveexec_b32 s4, s3
	s_delay_alu instid0(SALU_CYCLE_1)
	s_xor_b32 s3, exec_lo, s4
	s_cbranch_execz .LBB57_49
; %bb.48:
	v_add_nc_u32_e32 v23, v0, v29
	ds_load_u8 v23, v23 offset:1
.LBB57_49:
	s_or_saveexec_b32 s3, s3
	v_mov_b32_e32 v24, v20
	s_xor_b32 exec_lo, exec_lo, s3
	s_cbranch_execz .LBB57_51
; %bb.50:
	s_waitcnt lgkmcnt(0)
	v_add_nc_u32_e32 v23, v0, v30
	ds_load_u8 v24, v23 offset:1
	v_mov_b32_e32 v23, v19
.LBB57_51:
	s_or_b32 exec_lo, exec_lo, s3
	v_add_nc_u32_e32 v27, 1, v29
	v_add_nc_u32_e32 v28, 1, v30
	s_waitcnt lgkmcnt(0)
	v_bfe_i32 v33, v23, 0, 8
	s_delay_alu instid0(VALU_DEP_3) | instskip(SKIP_2) | instid1(VALU_DEP_3)
	v_cndmask_b32_e64 v31, v27, v29, s2
	v_bfe_i32 v27, v24, 0, 8
	v_cndmask_b32_e64 v32, v30, v28, s2
	v_cmp_lt_i32_e64 s3, 15, v31
	s_delay_alu instid0(VALU_DEP_3) | instskip(NEXT) | instid1(VALU_DEP_3)
	v_cmp_lt_i16_e64 s4, v27, v33
	v_cmp_gt_i32_e64 s5, 32, v32
                                        ; implicit-def: $vgpr27
	s_delay_alu instid0(VALU_DEP_2)
	s_or_b32 s3, s3, s4
	s_delay_alu instid0(VALU_DEP_1) | instid1(SALU_CYCLE_1)
	s_and_b32 s3, s5, s3
	s_delay_alu instid0(SALU_CYCLE_1) | instskip(NEXT) | instid1(SALU_CYCLE_1)
	s_xor_b32 s4, s3, -1
	s_and_saveexec_b32 s5, s4
	s_delay_alu instid0(SALU_CYCLE_1)
	s_xor_b32 s4, exec_lo, s5
	s_cbranch_execz .LBB57_53
; %bb.52:
	v_add_nc_u32_e32 v27, v0, v31
	ds_load_u8 v27, v27 offset:1
.LBB57_53:
	s_or_saveexec_b32 s4, s4
	v_mov_b32_e32 v28, v24
	s_xor_b32 exec_lo, exec_lo, s4
	s_cbranch_execz .LBB57_55
; %bb.54:
	s_waitcnt lgkmcnt(0)
	v_add_nc_u32_e32 v27, v0, v32
	ds_load_u8 v28, v27 offset:1
	v_mov_b32_e32 v27, v23
.LBB57_55:
	s_or_b32 exec_lo, exec_lo, s4
	v_add_nc_u32_e32 v33, 1, v31
	v_add_nc_u32_e32 v34, 1, v32
	s_waitcnt lgkmcnt(0)
	v_bfe_i32 v37, v27, 0, 8
                                        ; implicit-def: $vgpr41
	s_delay_alu instid0(VALU_DEP_3) | instskip(SKIP_2) | instid1(VALU_DEP_3)
	v_cndmask_b32_e64 v35, v33, v31, s3
	v_bfe_i32 v33, v28, 0, 8
	v_cndmask_b32_e64 v36, v32, v34, s3
	v_cmp_lt_i32_e64 s4, 15, v35
	s_delay_alu instid0(VALU_DEP_3) | instskip(NEXT) | instid1(VALU_DEP_3)
	v_cmp_lt_i16_e64 s5, v33, v37
	v_cmp_gt_i32_e64 s6, 32, v36
	s_delay_alu instid0(VALU_DEP_2)
	s_or_b32 s4, s4, s5
	s_delay_alu instid0(VALU_DEP_1) | instid1(SALU_CYCLE_1)
	s_and_b32 s4, s6, s4
	s_delay_alu instid0(SALU_CYCLE_1) | instskip(NEXT) | instid1(SALU_CYCLE_1)
	s_xor_b32 s5, s4, -1
	s_and_saveexec_b32 s6, s5
	s_delay_alu instid0(SALU_CYCLE_1)
	s_xor_b32 s5, exec_lo, s6
	s_cbranch_execz .LBB57_57
; %bb.56:
	v_add_nc_u32_e32 v33, v0, v35
	ds_load_u8 v41, v33 offset:1
.LBB57_57:
	s_or_saveexec_b32 s5, s5
	v_mov_b32_e32 v33, v28
	s_xor_b32 exec_lo, exec_lo, s5
	s_cbranch_execz .LBB57_59
; %bb.58:
	v_add_nc_u32_e32 v33, v0, v36
	s_waitcnt lgkmcnt(0)
	v_mov_b32_e32 v41, v27
	ds_load_u8 v33, v33 offset:1
.LBB57_59:
	s_or_b32 exec_lo, exec_lo, s5
	v_add_nc_u32_e32 v34, 1, v35
	v_add_nc_u32_e32 v37, 1, v36
	s_waitcnt lgkmcnt(0)
	v_bfe_i32 v38, v41, 0, 8
                                        ; implicit-def: $vgpr39
	s_delay_alu instid0(VALU_DEP_3) | instskip(SKIP_2) | instid1(VALU_DEP_3)
	v_cndmask_b32_e64 v42, v34, v35, s4
	v_bfe_i32 v34, v33, 0, 8
	v_cndmask_b32_e64 v37, v36, v37, s4
	v_cmp_gt_i32_e64 s5, 16, v42
	s_delay_alu instid0(VALU_DEP_3) | instskip(NEXT) | instid1(VALU_DEP_3)
	v_cmp_ge_i16_e64 s6, v34, v38
	v_cmp_lt_i32_e64 s7, 31, v37
                                        ; implicit-def: $vgpr38
	s_delay_alu instid0(VALU_DEP_2)
	s_and_b32 s5, s5, s6
	s_delay_alu instid0(VALU_DEP_1) | instid1(SALU_CYCLE_1)
	s_or_b32 s5, s7, s5
	s_delay_alu instid0(SALU_CYCLE_1) | instskip(NEXT) | instid1(SALU_CYCLE_1)
	s_and_saveexec_b32 s6, s5
	s_xor_b32 s5, exec_lo, s6
	s_cbranch_execz .LBB57_61
; %bb.60:
	v_add_nc_u32_e32 v34, v0, v42
	v_add_nc_u32_e32 v38, 1, v42
	ds_load_u8 v39, v34 offset:1
.LBB57_61:
	s_or_saveexec_b32 s5, s5
	v_mov_b32_e32 v34, v41
	v_mov_b32_e32 v40, v42
	s_xor_b32 exec_lo, exec_lo, s5
	s_cbranch_execz .LBB57_63
; %bb.62:
	s_waitcnt lgkmcnt(0)
	v_add_nc_u32_e32 v39, 1, v37
	v_add_nc_u32_e32 v34, v0, v37
	v_mov_b32_e32 v40, v37
	s_delay_alu instid0(VALU_DEP_3)
	v_dual_mov_b32 v38, v42 :: v_dual_mov_b32 v37, v39
	v_mov_b32_e32 v39, v41
	ds_load_u8 v43, v34 offset:1
	s_waitcnt lgkmcnt(0)
	v_dual_mov_b32 v34, v33 :: v_dual_mov_b32 v33, v43
.LBB57_63:
	s_or_b32 exec_lo, exec_lo, s5
	v_lshlrev_b16 v12, 8, v12
	v_dual_cndmask_b32 v7, v7, v16 :: v_dual_and_b32 v10, 0xff, v10
	v_lshlrev_b16 v11, 8, v11
	v_and_b32_e32 v9, 0xff, v9
	v_lshlrev_b16 v6, 8, v6
	v_and_b32_e32 v2, 0xff, v2
	;; [unrolled: 2-line block ×3, first 2 shown]
	v_cndmask_b32_e64 v25, v25, v26, s1
	v_cndmask_b32_e64 v21, v21, v22, s0
	s_waitcnt lgkmcnt(0)
	v_bfe_i32 v22, v39, 0, 8
	v_bfe_i32 v26, v33, 0, 8
	v_or_b32_e32 v10, v10, v12
	v_or_b32_e32 v9, v9, v11
	;; [unrolled: 1-line block ×4, first 2 shown]
	v_cmp_lt_i32_e64 s5, 15, v38
	v_cmp_lt_i16_e64 s6, v26, v22
	v_dual_cndmask_b32 v8, v8, v13 :: v_dual_and_b32 v5, 0xffff, v10
	v_lshlrev_b32_e32 v6, 16, v9
	v_and_b32_e32 v9, 0xffff, v2
	v_lshlrev_b32_e32 v1, 16, v1
	v_cmp_gt_i32_e64 s7, 32, v37
	s_or_b32 s5, s5, s6
	v_or_b32_e32 v2, v5, v6
	v_cndmask_b32_e64 v29, v29, v30, s2
	v_or_b32_e32 v1, v9, v1
	s_and_b32 s5, s7, s5
	v_cndmask_b32_e64 v35, v35, v36, s4
	v_cndmask_b32_e64 v31, v31, v32, s3
	;; [unrolled: 1-line block ×3, first 2 shown]
	; wave barrier
	ds_store_b64 v4, v[1:2]
	v_add_nc_u32_e32 v1, v0, v7
	v_add_nc_u32_e32 v2, v0, v21
	v_add_nc_u32_e32 v4, v0, v25
	v_add_nc_u32_e32 v7, v0, v29
	v_add_nc_u32_e32 v9, v0, v31
	v_add_nc_u32_e32 v10, v0, v35
	v_add_nc_u32_e32 v11, v0, v40
	v_add_nc_u32_e32 v0, v0, v6
	; wave barrier
	ds_load_u8 v1, v1
	ds_load_u8 v2, v2
	;; [unrolled: 1-line block ×8, first 2 shown]
	v_cndmask_b32_e64 v5, v39, v33, s5
	v_cndmask_b32_e64 v11, v27, v28, s4
	;; [unrolled: 1-line block ×6, first 2 shown]
	s_add_u32 s0, s38, s40
	s_addc_u32 s1, s39, 0
	s_waitcnt lgkmcnt(7)
	v_add_nc_u16 v1, v1, v8
	s_waitcnt lgkmcnt(6)
	v_add_nc_u16 v2, v2, v12
	s_waitcnt lgkmcnt(5)
	v_add_nc_u16 v4, v4, v13
	s_waitcnt lgkmcnt(4)
	v_add_nc_u16 v6, v6, v14
	s_waitcnt lgkmcnt(3)
	v_add_nc_u16 v7, v7, v15
	s_waitcnt lgkmcnt(2)
	v_add_nc_u16 v8, v9, v11
	s_waitcnt lgkmcnt(1)
	v_add_nc_u16 v9, v10, v34
	s_waitcnt lgkmcnt(0)
	v_add_nc_u16 v0, v0, v5
	v_lshlrev_b16 v2, 8, v2
	v_and_b32_e32 v1, 0xff, v1
	v_lshlrev_b16 v5, 8, v6
	v_and_b32_e32 v4, 0xff, v4
	;; [unrolled: 2-line block ×4, first 2 shown]
	v_or_b32_e32 v1, v1, v2
	v_or_b32_e32 v2, v4, v5
	;; [unrolled: 1-line block ×3, first 2 shown]
	s_delay_alu instid0(VALU_DEP_4) | instskip(NEXT) | instid1(VALU_DEP_4)
	v_or_b32_e32 v0, v8, v0
	v_and_b32_e32 v5, 0xffff, v1
	s_delay_alu instid0(VALU_DEP_4) | instskip(NEXT) | instid1(VALU_DEP_4)
	v_lshlrev_b32_e32 v2, 16, v2
	v_and_b32_e32 v4, 0xffff, v4
	s_delay_alu instid0(VALU_DEP_4) | instskip(SKIP_1) | instid1(VALU_DEP_1)
	v_lshlrev_b32_e32 v6, 16, v0
	v_add_co_u32 v0, s0, s0, v3
	v_add_co_ci_u32_e64 v1, null, s1, 0, s0
	v_or_b32_e32 v2, v5, v2
	s_delay_alu instid0(VALU_DEP_4)
	v_or_b32_e32 v3, v4, v6
	global_store_b64 v[0:1], v[2:3], off
	s_nop 0
	s_sendmsg sendmsg(MSG_DEALLOC_VGPRS)
	s_endpgm
	.section	.rodata,"a",@progbits
	.p2align	6, 0x0
	.amdhsa_kernel _Z10sort_pairsILj256ELj4ELj8EaN10test_utils4lessEEvPKT2_PS2_T3_
		.amdhsa_group_segment_fixed_size 2112
		.amdhsa_private_segment_fixed_size 0
		.amdhsa_kernarg_size 20
		.amdhsa_user_sgpr_count 15
		.amdhsa_user_sgpr_dispatch_ptr 0
		.amdhsa_user_sgpr_queue_ptr 0
		.amdhsa_user_sgpr_kernarg_segment_ptr 1
		.amdhsa_user_sgpr_dispatch_id 0
		.amdhsa_user_sgpr_private_segment_size 0
		.amdhsa_wavefront_size32 1
		.amdhsa_uses_dynamic_stack 0
		.amdhsa_enable_private_segment 0
		.amdhsa_system_sgpr_workgroup_id_x 1
		.amdhsa_system_sgpr_workgroup_id_y 0
		.amdhsa_system_sgpr_workgroup_id_z 0
		.amdhsa_system_sgpr_workgroup_info 0
		.amdhsa_system_vgpr_workitem_id 0
		.amdhsa_next_free_vgpr 46
		.amdhsa_next_free_sgpr 41
		.amdhsa_reserve_vcc 1
		.amdhsa_float_round_mode_32 0
		.amdhsa_float_round_mode_16_64 0
		.amdhsa_float_denorm_mode_32 3
		.amdhsa_float_denorm_mode_16_64 3
		.amdhsa_dx10_clamp 1
		.amdhsa_ieee_mode 1
		.amdhsa_fp16_overflow 0
		.amdhsa_workgroup_processor_mode 1
		.amdhsa_memory_ordered 1
		.amdhsa_forward_progress 0
		.amdhsa_shared_vgpr_count 0
		.amdhsa_exception_fp_ieee_invalid_op 0
		.amdhsa_exception_fp_denorm_src 0
		.amdhsa_exception_fp_ieee_div_zero 0
		.amdhsa_exception_fp_ieee_overflow 0
		.amdhsa_exception_fp_ieee_underflow 0
		.amdhsa_exception_fp_ieee_inexact 0
		.amdhsa_exception_int_div_zero 0
	.end_amdhsa_kernel
	.section	.text._Z10sort_pairsILj256ELj4ELj8EaN10test_utils4lessEEvPKT2_PS2_T3_,"axG",@progbits,_Z10sort_pairsILj256ELj4ELj8EaN10test_utils4lessEEvPKT2_PS2_T3_,comdat
.Lfunc_end57:
	.size	_Z10sort_pairsILj256ELj4ELj8EaN10test_utils4lessEEvPKT2_PS2_T3_, .Lfunc_end57-_Z10sort_pairsILj256ELj4ELj8EaN10test_utils4lessEEvPKT2_PS2_T3_
                                        ; -- End function
	.section	.AMDGPU.csdata,"",@progbits
; Kernel info:
; codeLenInByte = 7104
; NumSgprs: 43
; NumVgprs: 46
; ScratchSize: 0
; MemoryBound: 0
; FloatMode: 240
; IeeeMode: 1
; LDSByteSize: 2112 bytes/workgroup (compile time only)
; SGPRBlocks: 5
; VGPRBlocks: 5
; NumSGPRsForWavesPerEU: 43
; NumVGPRsForWavesPerEU: 46
; Occupancy: 16
; WaveLimiterHint : 0
; COMPUTE_PGM_RSRC2:SCRATCH_EN: 0
; COMPUTE_PGM_RSRC2:USER_SGPR: 15
; COMPUTE_PGM_RSRC2:TRAP_HANDLER: 0
; COMPUTE_PGM_RSRC2:TGID_X_EN: 1
; COMPUTE_PGM_RSRC2:TGID_Y_EN: 0
; COMPUTE_PGM_RSRC2:TGID_Z_EN: 0
; COMPUTE_PGM_RSRC2:TIDIG_COMP_CNT: 0
	.section	.text._Z19sort_keys_segmentedILj256ELj4ELj8EaN10test_utils4lessEEvPKT2_PS2_PKjT3_,"axG",@progbits,_Z19sort_keys_segmentedILj256ELj4ELj8EaN10test_utils4lessEEvPKT2_PS2_PKjT3_,comdat
	.protected	_Z19sort_keys_segmentedILj256ELj4ELj8EaN10test_utils4lessEEvPKT2_PS2_PKjT3_ ; -- Begin function _Z19sort_keys_segmentedILj256ELj4ELj8EaN10test_utils4lessEEvPKT2_PS2_PKjT3_
	.globl	_Z19sort_keys_segmentedILj256ELj4ELj8EaN10test_utils4lessEEvPKT2_PS2_PKjT3_
	.p2align	8
	.type	_Z19sort_keys_segmentedILj256ELj4ELj8EaN10test_utils4lessEEvPKT2_PS2_PKjT3_,@function
_Z19sort_keys_segmentedILj256ELj4ELj8EaN10test_utils4lessEEvPKT2_PS2_PKjT3_: ; @_Z19sort_keys_segmentedILj256ELj4ELj8EaN10test_utils4lessEEvPKT2_PS2_PKjT3_
; %bb.0:
	s_clause 0x1
	s_load_b64 s[2:3], s[0:1], 0x10
	s_load_b128 s[16:19], s[0:1], 0x0
	v_lshrrev_b32_e32 v5, 2, v0
	v_mov_b32_e32 v1, 0
                                        ; implicit-def: $vgpr10
	s_delay_alu instid0(VALU_DEP_2) | instskip(NEXT) | instid1(VALU_DEP_1)
	v_lshl_or_b32 v0, s15, 6, v5
	v_lshlrev_b64 v[1:2], 2, v[0:1]
	v_lshlrev_b32_e32 v3, 5, v0
	s_waitcnt lgkmcnt(0)
	s_delay_alu instid0(VALU_DEP_2) | instskip(NEXT) | instid1(VALU_DEP_3)
	v_add_co_u32 v1, vcc_lo, s2, v1
	v_add_co_ci_u32_e32 v2, vcc_lo, s3, v2, vcc_lo
	s_delay_alu instid0(VALU_DEP_3) | instskip(SKIP_2) | instid1(VALU_DEP_1)
	v_add_co_u32 v0, s0, s16, v3
	global_load_b32 v4, v[1:2], off
	v_mbcnt_lo_u32_b32 v1, -1, 0
	v_lshlrev_b32_e32 v6, 3, v1
	v_add_co_ci_u32_e64 v1, null, s17, 0, s0
	s_delay_alu instid0(VALU_DEP_2) | instskip(NEXT) | instid1(VALU_DEP_1)
	v_and_b32_e32 v2, 24, v6
	v_add_co_u32 v0, vcc_lo, v0, v2
	s_delay_alu instid0(VALU_DEP_3)
	v_add_co_ci_u32_e32 v1, vcc_lo, 0, v1, vcc_lo
	s_waitcnt vmcnt(0)
	v_cmp_lt_u32_e32 vcc_lo, v2, v4
	s_and_saveexec_b32 s0, vcc_lo
	s_cbranch_execz .LBB58_2
; %bb.1:
	global_load_u8 v10, v[0:1], off
.LBB58_2:
	s_or_b32 exec_lo, exec_lo, s0
	v_or_b32_e32 v9, 1, v2
                                        ; implicit-def: $vgpr11
	s_delay_alu instid0(VALU_DEP_1) | instskip(NEXT) | instid1(VALU_DEP_1)
	v_cmp_lt_u32_e64 s0, v9, v4
	s_and_saveexec_b32 s1, s0
	s_cbranch_execz .LBB58_4
; %bb.3:
	global_load_u8 v11, v[0:1], off offset:1
.LBB58_4:
	s_or_b32 exec_lo, exec_lo, s1
	v_or_b32_e32 v7, 2, v2
                                        ; implicit-def: $vgpr13
	s_delay_alu instid0(VALU_DEP_1) | instskip(NEXT) | instid1(VALU_DEP_1)
	v_cmp_lt_u32_e64 s1, v7, v4
	s_and_saveexec_b32 s2, s1
	s_cbranch_execz .LBB58_6
; %bb.5:
	global_load_u8 v13, v[0:1], off offset:2
.LBB58_6:
	s_or_b32 exec_lo, exec_lo, s2
	v_or_b32_e32 v8, 3, v2
                                        ; implicit-def: $vgpr15
	s_delay_alu instid0(VALU_DEP_1) | instskip(NEXT) | instid1(VALU_DEP_1)
	v_cmp_lt_u32_e64 s2, v8, v4
	s_and_saveexec_b32 s3, s2
	s_cbranch_execz .LBB58_8
; %bb.7:
	global_load_u8 v15, v[0:1], off offset:3
.LBB58_8:
	s_or_b32 exec_lo, exec_lo, s3
	v_or_b32_e32 v12, 4, v2
                                        ; implicit-def: $vgpr16
	s_delay_alu instid0(VALU_DEP_1) | instskip(NEXT) | instid1(VALU_DEP_1)
	v_cmp_lt_u32_e64 s3, v12, v4
	s_and_saveexec_b32 s4, s3
	s_cbranch_execz .LBB58_10
; %bb.9:
	global_load_u8 v16, v[0:1], off offset:4
.LBB58_10:
	s_or_b32 exec_lo, exec_lo, s4
	v_or_b32_e32 v14, 5, v2
                                        ; implicit-def: $vgpr18
	s_delay_alu instid0(VALU_DEP_1) | instskip(NEXT) | instid1(VALU_DEP_1)
	v_cmp_lt_u32_e64 s4, v14, v4
	s_and_saveexec_b32 s5, s4
	s_cbranch_execz .LBB58_12
; %bb.11:
	global_load_u8 v18, v[0:1], off offset:5
.LBB58_12:
	s_or_b32 exec_lo, exec_lo, s5
	v_or_b32_e32 v17, 6, v2
                                        ; implicit-def: $vgpr20
	s_delay_alu instid0(VALU_DEP_1) | instskip(NEXT) | instid1(VALU_DEP_1)
	v_cmp_lt_u32_e64 s5, v17, v4
	s_and_saveexec_b32 s6, s5
	s_cbranch_execz .LBB58_14
; %bb.13:
	global_load_u8 v20, v[0:1], off offset:6
.LBB58_14:
	s_or_b32 exec_lo, exec_lo, s6
	v_or_b32_e32 v19, 7, v2
                                        ; implicit-def: $vgpr21
	s_delay_alu instid0(VALU_DEP_1) | instskip(NEXT) | instid1(VALU_DEP_1)
	v_cmp_lt_u32_e64 s6, v19, v4
	s_and_saveexec_b32 s7, s6
	s_cbranch_execz .LBB58_16
; %bb.15:
	global_load_u8 v21, v[0:1], off offset:7
.LBB58_16:
	s_or_b32 exec_lo, exec_lo, s7
	s_waitcnt vmcnt(0)
	v_and_b32_e32 v0, 0xff, v10
	v_lshlrev_b16 v1, 8, v11
	v_and_b32_e32 v10, 0xff, v13
	v_lshlrev_b16 v11, 8, v15
	v_cmp_lt_i32_e64 s7, v9, v4
	v_and_b32_e32 v9, 0xff, v16
	v_or_b32_e32 v1, v0, v1
	v_or_b32_e32 v0, 0x7f00, v0
	;; [unrolled: 1-line block ×3, first 2 shown]
	v_and_b32_e32 v13, 0xff, v20
	v_lshlrev_b16 v15, 8, v21
	v_and_b32_e32 v1, 0xffff, v1
	v_and_b32_e32 v0, 0xffff, v0
	v_lshlrev_b32_e32 v10, 16, v10
	v_cmp_lt_i32_e64 s8, v8, v4
	s_mov_b32 s10, exec_lo
	s_delay_alu instid0(VALU_DEP_2) | instskip(SKIP_2) | instid1(VALU_DEP_2)
	v_or_b32_e32 v11, v1, v10
	v_or_b32_e32 v0, v0, v10
	v_lshlrev_b16 v10, 8, v18
	v_cndmask_b32_e64 v0, v0, v11, s7
	s_delay_alu instid0(VALU_DEP_2) | instskip(SKIP_2) | instid1(VALU_DEP_4)
	v_or_b32_e32 v9, v9, v10
	v_or_b32_e32 v10, v13, v15
	v_cmp_lt_i32_e64 s7, v7, v4
	v_lshrrev_b32_e32 v1, 16, v0
	s_delay_alu instid0(VALU_DEP_4) | instskip(NEXT) | instid1(VALU_DEP_2)
	v_and_b32_e32 v13, 0xffffff00, v9
	v_and_b32_e32 v1, 0xffffff00, v1
	s_delay_alu instid0(VALU_DEP_1) | instskip(NEXT) | instid1(VALU_DEP_1)
	v_or_b32_e32 v1, 0x7f, v1
	v_lshlrev_b32_e32 v1, 16, v1
	s_delay_alu instid0(VALU_DEP_1) | instskip(SKIP_3) | instid1(VALU_DEP_4)
	v_and_or_b32 v0, 0xffff, v0, v1
	v_and_b32_e32 v1, 0xffff, v9
	v_lshlrev_b32_e32 v9, 16, v10
	v_or_b32_e32 v10, 0x7f, v13
	v_cndmask_b32_e64 v0, v0, v11, s7
	v_cmp_lt_i32_e64 s7, v12, v4
	s_delay_alu instid0(VALU_DEP_4) | instskip(NEXT) | instid1(VALU_DEP_4)
	v_or_b32_e32 v1, v1, v9
	v_and_b32_e32 v7, 0xffff, v10
	s_delay_alu instid0(VALU_DEP_4) | instskip(NEXT) | instid1(VALU_DEP_2)
	v_lshrrev_b32_e32 v9, 16, v0
	v_and_or_b32 v7, 0xffff0000, v1, v7
	s_delay_alu instid0(VALU_DEP_2) | instskip(NEXT) | instid1(VALU_DEP_2)
	v_and_b32_e32 v9, 0xff, v9
	v_cndmask_b32_e64 v7, v7, v1, s7
	s_delay_alu instid0(VALU_DEP_2) | instskip(NEXT) | instid1(VALU_DEP_2)
	v_or_b32_e32 v9, 0x7f00, v9
	v_and_b32_e32 v10, 0xff, v7
	s_delay_alu instid0(VALU_DEP_2) | instskip(NEXT) | instid1(VALU_DEP_2)
	v_lshlrev_b32_e32 v9, 16, v9
	v_or_b32_e32 v10, 0x7f00, v10
	s_delay_alu instid0(VALU_DEP_2) | instskip(NEXT) | instid1(VALU_DEP_2)
	v_and_or_b32 v0, 0xffff, v0, v9
	v_and_b32_e32 v9, 0xffff, v10
	s_delay_alu instid0(VALU_DEP_2) | instskip(NEXT) | instid1(VALU_DEP_2)
	v_cndmask_b32_e64 v0, v0, v11, s8
	v_and_or_b32 v7, 0xffff0000, v7, v9
	s_delay_alu instid0(VALU_DEP_2) | instskip(SKIP_1) | instid1(VALU_DEP_1)
	v_cndmask_b32_e64 v0, v0, v11, s7
	v_cmp_lt_i32_e64 s7, v14, v4
	v_cndmask_b32_e64 v7, v7, v1, s7
	s_delay_alu instid0(VALU_DEP_3) | instskip(SKIP_1) | instid1(VALU_DEP_3)
	v_cndmask_b32_e64 v0, v0, v11, s7
	v_cmp_lt_i32_e64 s7, v17, v4
	v_lshrrev_b32_e32 v8, 16, v7
	s_delay_alu instid0(VALU_DEP_2) | instskip(NEXT) | instid1(VALU_DEP_2)
	v_cndmask_b32_e64 v0, v0, v11, s7
	v_and_b32_e32 v8, 0xffffff00, v8
	s_delay_alu instid0(VALU_DEP_1) | instskip(NEXT) | instid1(VALU_DEP_1)
	v_or_b32_e32 v8, 0x7f, v8
	v_lshlrev_b32_e32 v8, 16, v8
	s_delay_alu instid0(VALU_DEP_1) | instskip(NEXT) | instid1(VALU_DEP_1)
	v_and_or_b32 v7, 0xffff, v7, v8
	v_cndmask_b32_e64 v7, v7, v1, s7
	v_cmp_lt_i32_e64 s7, v19, v4
	s_delay_alu instid0(VALU_DEP_2) | instskip(NEXT) | instid1(VALU_DEP_2)
	v_lshrrev_b32_e32 v8, 16, v7
	v_cndmask_b32_e64 v0, v0, v11, s7
	s_delay_alu instid0(VALU_DEP_2) | instskip(NEXT) | instid1(VALU_DEP_1)
	v_and_b32_e32 v8, 0xff, v8
	v_or_b32_e32 v8, 0x7f00, v8
	s_delay_alu instid0(VALU_DEP_1) | instskip(NEXT) | instid1(VALU_DEP_1)
	v_lshlrev_b32_e32 v8, 16, v8
	v_and_or_b32 v7, 0xffff, v7, v8
	s_delay_alu instid0(VALU_DEP_1)
	v_cndmask_b32_e64 v1, v7, v1, s7
	v_cmpx_lt_i32_e64 v2, v4
	s_cbranch_execz .LBB58_18
; %bb.17:
	v_lshrrev_b32_e32 v7, 8, v0
	v_perm_b32 v8, 0, v0, 0xc0c0001
	v_bfe_i32 v9, v0, 0, 8
	s_delay_alu instid0(VALU_DEP_3) | instskip(NEXT) | instid1(VALU_DEP_3)
	v_bfe_i32 v7, v7, 0, 8
	v_and_or_b32 v8, 0xffff0000, v0, v8
	s_delay_alu instid0(VALU_DEP_2) | instskip(NEXT) | instid1(VALU_DEP_1)
	v_cmp_lt_i16_e64 s7, v7, v9
	v_cndmask_b32_e64 v0, v0, v8, s7
	s_delay_alu instid0(VALU_DEP_1) | instskip(SKIP_1) | instid1(VALU_DEP_2)
	v_lshrrev_b32_e32 v8, 16, v0
	v_lshrrev_b32_e32 v11, 24, v0
	v_perm_b32 v10, 0, v8, 0xc0c0001
	s_delay_alu instid0(VALU_DEP_2) | instskip(SKIP_1) | instid1(VALU_DEP_3)
	v_bfe_i32 v11, v11, 0, 8
	v_bfe_i32 v8, v8, 0, 8
	v_lshlrev_b32_e32 v10, 16, v10
	s_delay_alu instid0(VALU_DEP_2) | instskip(SKIP_2) | instid1(VALU_DEP_4)
	v_cmp_lt_i16_e64 s7, v11, v8
	v_min_i16 v12, v11, v8
	v_max_i16 v8, v11, v8
	v_and_or_b32 v10, 0xffff, v0, v10
	s_delay_alu instid0(VALU_DEP_3) | instskip(NEXT) | instid1(VALU_DEP_2)
	v_lshlrev_b16 v15, 8, v12
	v_cndmask_b32_e64 v0, v0, v10, s7
	v_max_i16 v10, v7, v9
	v_min_i16 v7, v7, v9
	s_delay_alu instid0(VALU_DEP_3) | instskip(NEXT) | instid1(VALU_DEP_3)
	v_lshrrev_b32_e32 v13, 16, v0
	v_and_b32_e32 v14, 0xff, v10
	v_and_b32_e32 v16, 0xff, v0
	v_cmp_lt_i16_e64 s7, v12, v10
	v_min_i16 v9, v12, v10
	v_and_b32_e32 v13, 0xffffff00, v13
	v_lshlrev_b16 v11, 8, v7
	v_or_b32_e32 v15, v16, v15
	v_max_i16 v10, v12, v10
	s_delay_alu instid0(VALU_DEP_4) | instskip(NEXT) | instid1(VALU_DEP_3)
	v_or_b32_e32 v13, v14, v13
	v_and_b32_e32 v14, 0xffff, v15
	v_lshrrev_b32_e32 v15, 8, v1
	s_delay_alu instid0(VALU_DEP_4) | instskip(NEXT) | instid1(VALU_DEP_4)
	v_lshlrev_b16 v20, 8, v10
	v_lshlrev_b32_e32 v13, 16, v13
	s_delay_alu instid0(VALU_DEP_3) | instskip(NEXT) | instid1(VALU_DEP_2)
	v_bfe_i32 v15, v15, 0, 8
	v_or_b32_e32 v13, v14, v13
	v_bfe_i32 v14, v1, 0, 8
	s_delay_alu instid0(VALU_DEP_2) | instskip(NEXT) | instid1(VALU_DEP_2)
	v_cndmask_b32_e64 v0, v0, v13, s7
	v_min_i16 v13, v15, v14
	v_cmp_lt_i16_e64 s8, v15, v14
	v_max_i16 v14, v15, v14
	s_delay_alu instid0(VALU_DEP_4) | instskip(NEXT) | instid1(VALU_DEP_4)
	v_lshrrev_b32_e32 v16, 16, v0
	v_lshlrev_b16 v17, 8, v13
	v_cmp_lt_i16_e64 s7, v13, v8
	v_min_i16 v18, v13, v8
	s_delay_alu instid0(VALU_DEP_4) | instskip(NEXT) | instid1(VALU_DEP_2)
	v_and_b32_e32 v16, 0xff, v16
	v_and_b32_e32 v19, 0xff, v18
	s_delay_alu instid0(VALU_DEP_2) | instskip(SKIP_1) | instid1(VALU_DEP_2)
	v_or_b32_e32 v16, v16, v17
	v_and_b32_e32 v17, 0xff, v9
	v_lshlrev_b32_e32 v16, 16, v16
	s_delay_alu instid0(VALU_DEP_2) | instskip(SKIP_1) | instid1(VALU_DEP_3)
	v_or_b32_e32 v11, v17, v11
	v_perm_b32 v17, v1, v1, 0x7060405
	v_and_or_b32 v16, 0xffff, v0, v16
	s_delay_alu instid0(VALU_DEP_3) | instskip(NEXT) | instid1(VALU_DEP_3)
	v_and_b32_e32 v11, 0xffff, v11
	v_cndmask_b32_e64 v1, v1, v17, s8
	v_cmp_lt_i16_e64 s8, v12, v7
	s_delay_alu instid0(VALU_DEP_4) | instskip(SKIP_1) | instid1(VALU_DEP_4)
	v_cndmask_b32_e64 v0, v0, v16, s7
	v_or_b32_e32 v16, v19, v20
	v_lshrrev_b32_e32 v15, 24, v1
	v_lshrrev_b32_e32 v17, 16, v1
	v_cndmask_b32_e64 v19, v9, v7, s8
	v_and_or_b32 v11, 0xffff0000, v0, v11
	v_lshlrev_b32_e32 v16, 16, v16
	v_cndmask_b32_e64 v7, v7, v9, s8
	v_bfe_i32 v12, v17, 0, 8
	v_and_b32_e32 v22, 0xff, v19
	v_cndmask_b32_e64 v0, v0, v11, s8
	v_bfe_i32 v11, v15, 0, 8
	v_perm_b32 v15, v1, v1, 0x6070504
	v_and_b32_e32 v17, 0xff, v14
	s_delay_alu instid0(VALU_DEP_4) | instskip(NEXT) | instid1(VALU_DEP_4)
	v_and_or_b32 v16, 0xffff, v0, v16
	v_cmp_lt_i16_e64 s9, v11, v12
	s_delay_alu instid0(VALU_DEP_1) | instskip(SKIP_3) | instid1(VALU_DEP_4)
	v_cndmask_b32_e64 v1, v1, v15, s9
	v_cmp_lt_i16_e64 s9, v18, v10
	v_max_i16 v15, v11, v12
	v_min_i16 v11, v11, v12
	v_perm_b32 v20, v8, v1, 0x3020104
	s_delay_alu instid0(VALU_DEP_4)
	v_cndmask_b32_e64 v0, v0, v16, s9
	v_min_i16 v16, v18, v10
	v_max_i16 v8, v13, v8
	v_min_i16 v24, v11, v14
	v_cndmask_b32_e64 v1, v1, v20, s7
	v_lshrrev_b32_e32 v12, 16, v0
	v_lshlrev_b16 v21, 8, v16
	v_and_b32_e32 v23, 0xff, v0
	v_cmp_lt_i16_e64 s9, v16, v19
	v_lshrrev_b32_e32 v30, 16, v1
	v_and_b32_e32 v12, 0xffffff00, v12
	v_lshlrev_b16 v13, 8, v11
	v_or_b32_e32 v21, v23, v21
	v_min_i16 v9, v16, v19
	v_and_b32_e32 v31, 0xff, v1
	v_or_b32_e32 v12, v22, v12
	v_and_b32_e32 v25, 0xff, v24
	v_and_b32_e32 v21, 0xffff, v21
	v_lshlrev_b16 v26, 8, v8
	v_max_i16 v10, v18, v10
	v_lshlrev_b32_e32 v12, 16, v12
	v_and_b32_e32 v32, 0xff, v9
	v_or_b32_e32 v13, v31, v13
	v_or_b32_e32 v25, v25, v26
	v_max_i16 v16, v16, v19
	v_or_b32_e32 v12, v21, v12
	v_min_i16 v21, v24, v8
	v_and_b32_e32 v13, 0xffff, v13
	v_max_i16 v22, v11, v14
	v_and_b32_e32 v20, 0xffff, v25
	v_cndmask_b32_e64 v0, v0, v12, s9
	v_lshlrev_b16 v12, 8, v21
	v_min_i16 v28, v21, v10
	v_cmp_lt_i16_e64 s7, v21, v10
	v_cmp_lt_i16_e64 s8, v11, v14
	v_lshrrev_b32_e32 v29, 16, v0
	v_and_b32_e32 v23, 0xff, v15
	v_and_b32_e32 v25, 0xff, v28
	v_lshlrev_b16 v18, 8, v22
	v_max_i16 v26, v21, v10
	v_and_b32_e32 v29, 0xff, v29
	v_min_i16 v21, v9, v7
	v_max_i16 v27, v24, v8
	v_or_b32_e32 v18, v23, v18
	s_delay_alu instid0(VALU_DEP_4) | instskip(SKIP_2) | instid1(VALU_DEP_4)
	v_or_b32_e32 v12, v29, v12
	v_and_b32_e32 v29, 0xffffff00, v30
	v_lshlrev_b16 v30, 8, v7
	v_lshlrev_b32_e32 v18, 16, v18
	v_and_b32_e32 v23, 0xff, v27
	v_lshlrev_b32_e32 v12, 16, v12
	v_or_b32_e32 v17, v17, v29
	v_or_b32_e32 v19, v32, v30
	v_lshlrev_b16 v29, 8, v16
	s_delay_alu instid0(VALU_DEP_4) | instskip(NEXT) | instid1(VALU_DEP_4)
	v_and_or_b32 v12, 0xffff, v0, v12
	v_lshlrev_b32_e32 v17, 16, v17
	s_delay_alu instid0(VALU_DEP_4) | instskip(NEXT) | instid1(VALU_DEP_3)
	v_and_b32_e32 v19, 0xffff, v19
	v_cndmask_b32_e64 v0, v0, v12, s7
	s_delay_alu instid0(VALU_DEP_3) | instskip(SKIP_2) | instid1(VALU_DEP_4)
	v_or_b32_e32 v13, v13, v17
	v_or_b32_e32 v17, v25, v29
	v_lshlrev_b16 v12, 8, v26
	v_and_or_b32 v19, 0xffff0000, v0, v19
	s_delay_alu instid0(VALU_DEP_4)
	v_cndmask_b32_e64 v1, v1, v13, s8
	v_cmp_lt_i16_e64 s8, v9, v7
	v_lshlrev_b32_e32 v11, 16, v17
	v_max_i16 v7, v9, v7
	v_min_i16 v17, v28, v16
	v_and_or_b32 v9, 0xffff0000, v1, v20
	v_cndmask_b32_e64 v0, v0, v19, s8
	v_cmp_lt_i16_e64 s8, v24, v8
	v_and_b32_e32 v8, 0xff, v7
	v_max_i16 v13, v28, v16
	s_delay_alu instid0(VALU_DEP_4) | instskip(NEXT) | instid1(VALU_DEP_4)
	v_and_or_b32 v11, 0xffff, v0, v11
	v_cndmask_b32_e64 v1, v1, v9, s8
	v_cmp_lt_i16_e64 s8, v28, v16
	v_lshlrev_b16 v9, 8, v17
	v_max_i16 v16, v17, v7
	s_delay_alu instid0(VALU_DEP_3)
	v_cndmask_b32_e64 v0, v0, v11, s8
	v_and_or_b32 v11, 0xffff, v1, v18
	v_cmp_gt_i16_e64 s8, v14, v15
	v_min_i16 v18, v17, v7
	v_lshlrev_b16 v24, 8, v16
	v_lshrrev_b32_e32 v19, 16, v0
	v_and_b32_e32 v14, 0xff, v0
	v_cndmask_b32_e64 v1, v1, v11, s8
	v_lshlrev_b16 v11, 8, v21
	v_and_b32_e32 v20, 0xff, v18
	v_and_b32_e32 v19, 0xffffff00, v19
	v_or_b32_e32 v9, v14, v9
	v_perm_b32 v10, v10, v1, 0x3020104
	v_cndmask_b32_e64 v14, v15, v22, s8
	v_or_b32_e32 v11, v20, v11
	v_or_b32_e32 v8, v8, v19
	v_and_b32_e32 v9, 0xffff, v9
	v_cndmask_b32_e64 v1, v1, v10, s7
	v_cndmask_b32_e64 v10, v22, v15, s8
	v_cmp_lt_i16_e64 s7, v17, v7
	v_lshlrev_b32_e32 v8, 16, v8
	s_delay_alu instid0(VALU_DEP_4) | instskip(NEXT) | instid1(VALU_DEP_4)
	v_lshrrev_b32_e32 v15, 16, v1
	v_lshlrev_b16 v19, 8, v10
	v_min_i16 v22, v10, v27
	s_delay_alu instid0(VALU_DEP_4) | instskip(SKIP_3) | instid1(VALU_DEP_4)
	v_or_b32_e32 v8, v9, v8
	v_and_b32_e32 v9, 0xff, v1
	v_and_b32_e32 v15, 0xffffff00, v15
	v_max_i16 v20, v10, v27
	v_cndmask_b32_e64 v0, v0, v8, s7
	s_delay_alu instid0(VALU_DEP_4) | instskip(NEXT) | instid1(VALU_DEP_4)
	v_or_b32_e32 v7, v9, v19
	v_or_b32_e32 v8, v23, v15
	v_and_b32_e32 v9, 0xff, v22
	v_min_i16 v15, v22, v26
	v_lshrrev_b32_e32 v19, 16, v0
	v_and_b32_e32 v7, 0xffff, v7
	v_lshlrev_b32_e32 v8, 16, v8
	v_or_b32_e32 v9, v9, v12
	v_lshlrev_b16 v12, 8, v15
	v_and_b32_e32 v19, 0xff, v19
	v_cmp_lt_i16_e64 s7, v10, v27
	v_or_b32_e32 v7, v7, v8
	v_and_b32_e32 v23, 0xff, v14
	v_lshlrev_b16 v8, 8, v20
	v_and_b32_e32 v9, 0xffff, v9
	v_or_b32_e32 v12, v19, v12
	v_cndmask_b32_e64 v1, v1, v7, s7
	v_cmp_lt_i16_e64 s7, v22, v26
	v_or_b32_e32 v8, v23, v8
	v_and_b32_e32 v7, 0xffff, v11
	v_lshlrev_b32_e32 v10, 16, v12
	v_and_or_b32 v9, 0xffff0000, v1, v9
	v_min_i16 v12, v15, v13
	v_lshlrev_b32_e32 v8, 16, v8
	v_cmp_lt_i16_e64 s8, v14, v20
	v_and_or_b32 v10, 0xffff, v0, v10
	v_cndmask_b32_e64 v1, v1, v9, s7
	v_cmp_lt_i16_e64 s7, v15, v13
	v_and_b32_e32 v9, 0xff, v12
	v_max_i16 v11, v22, v26
	v_min_i16 v19, v14, v20
	v_and_or_b32 v8, 0xffff, v1, v8
	v_cndmask_b32_e64 v0, v0, v10, s7
	v_or_b32_e32 v9, v9, v24
	v_max_i16 v10, v14, v20
	v_lshlrev_b16 v14, 8, v19
	v_cndmask_b32_e64 v1, v1, v8, s8
	v_and_or_b32 v7, 0xffff0000, v0, v7
	v_cmp_lt_i16_e64 s8, v17, v21
	v_lshlrev_b32_e32 v8, 16, v9
	s_delay_alu instid0(VALU_DEP_4) | instskip(SKIP_1) | instid1(VALU_DEP_4)
	v_perm_b32 v9, v13, v1, 0x3020104
	v_max_i16 v13, v15, v13
	v_cndmask_b32_e64 v0, v0, v7, s8
	v_and_b32_e32 v7, 0xff, v11
	v_cndmask_b32_e64 v18, v18, v21, s8
	v_cndmask_b32_e64 v1, v1, v9, s7
	v_cmp_lt_i16_e64 s7, v12, v16
	v_and_or_b32 v8, 0xffff, v0, v8
	v_min_i16 v9, v12, v16
	v_and_b32_e32 v23, 0xff, v18
	v_lshrrev_b32_e32 v17, 16, v1
	v_and_b32_e32 v22, 0xff, v1
	v_cndmask_b32_e64 v0, v0, v8, s7
	v_min_i16 v8, v19, v11
	v_lshlrev_b16 v20, 8, v9
	v_and_b32_e32 v17, 0xffffff00, v17
	v_or_b32_e32 v14, v22, v14
	v_lshrrev_b32_e32 v21, 16, v0
	v_and_b32_e32 v24, 0xff, v0
	v_and_b32_e32 v25, 0xff, v8
	v_or_b32_e32 v7, v7, v17
	v_and_b32_e32 v14, 0xffff, v14
	v_and_b32_e32 v21, 0xffffff00, v21
	v_or_b32_e32 v17, v24, v20
	v_max_i16 v15, v19, v11
	v_lshlrev_b32_e32 v7, 16, v7
	v_cmp_lt_i16_e64 s7, v19, v11
	v_or_b32_e32 v20, v23, v21
	v_lshlrev_b16 v21, 8, v13
	v_and_b32_e32 v17, 0xffff, v17
	v_or_b32_e32 v7, v14, v7
	v_and_b32_e32 v22, 0xff, v10
	v_lshlrev_b32_e32 v20, 16, v20
	v_or_b32_e32 v21, v25, v21
	v_lshlrev_b16 v14, 8, v15
	v_cndmask_b32_e64 v1, v1, v7, s7
	v_cmp_lt_i16_e64 s7, v9, v18
	v_or_b32_e32 v17, v17, v20
	v_and_b32_e32 v20, 0xffff, v21
	v_or_b32_e32 v9, v22, v14
	v_min_i16 v7, v8, v13
	v_max_i16 v12, v12, v16
	v_cndmask_b32_e64 v0, v0, v17, s7
	v_and_or_b32 v14, 0xffff0000, v1, v20
	v_cmp_lt_i16_e64 s7, v8, v13
	v_lshlrev_b32_e32 v9, 16, v9
	v_lshlrev_b16 v18, 8, v7
	v_lshrrev_b32_e32 v17, 16, v0
	v_cmp_lt_i16_e64 s8, v7, v12
	v_cndmask_b32_e64 v1, v1, v14, s7
	v_cmp_gt_i16_e64 s7, v11, v10
	v_max_i16 v8, v8, v13
	v_and_b32_e32 v14, 0xff, v17
	s_delay_alu instid0(VALU_DEP_4) | instskip(NEXT) | instid1(VALU_DEP_4)
	v_and_or_b32 v9, 0xffff, v1, v9
	v_cndmask_b32_e64 v7, v15, v10, s7
	s_delay_alu instid0(VALU_DEP_3) | instskip(NEXT) | instid1(VALU_DEP_3)
	v_or_b32_e32 v14, v14, v18
	v_cndmask_b32_e64 v1, v1, v9, s7
	s_delay_alu instid0(VALU_DEP_3) | instskip(SKIP_1) | instid1(VALU_DEP_4)
	v_lshlrev_b16 v10, 8, v7
	v_cmp_lt_i16_e64 s7, v7, v8
	v_lshlrev_b32_e32 v9, 16, v14
	s_delay_alu instid0(VALU_DEP_4) | instskip(SKIP_1) | instid1(VALU_DEP_3)
	v_perm_b32 v11, v12, v1, 0x3020104
	v_and_b32_e32 v12, 0xff, v8
	v_and_or_b32 v9, 0xffff, v0, v9
	s_delay_alu instid0(VALU_DEP_3) | instskip(NEXT) | instid1(VALU_DEP_2)
	v_cndmask_b32_e64 v1, v1, v11, s8
	v_cndmask_b32_e64 v0, v0, v9, s8
	s_delay_alu instid0(VALU_DEP_2) | instskip(SKIP_1) | instid1(VALU_DEP_2)
	v_lshrrev_b32_e32 v9, 16, v1
	v_and_b32_e32 v11, 0xff, v1
	v_and_b32_e32 v9, 0xffffff00, v9
	s_delay_alu instid0(VALU_DEP_2) | instskip(NEXT) | instid1(VALU_DEP_2)
	v_or_b32_e32 v10, v11, v10
	v_or_b32_e32 v9, v12, v9
	s_delay_alu instid0(VALU_DEP_2) | instskip(NEXT) | instid1(VALU_DEP_2)
	v_and_b32_e32 v10, 0xffff, v10
	v_lshlrev_b32_e32 v9, 16, v9
	s_delay_alu instid0(VALU_DEP_1) | instskip(NEXT) | instid1(VALU_DEP_1)
	v_or_b32_e32 v9, v10, v9
	v_cndmask_b32_e64 v1, v1, v9, s7
.LBB58_18:
	s_or_b32 exec_lo, exec_lo, s10
	v_and_b32_e32 v7, 16, v6
	v_and_b32_e32 v10, 8, v6
	s_mov_b32 s8, exec_lo
	; wave barrier
	s_delay_alu instid0(VALU_DEP_2) | instskip(NEXT) | instid1(VALU_DEP_1)
	v_min_i32_e32 v8, v4, v7
	v_add_nc_u32_e32 v7, 8, v8
	s_delay_alu instid0(VALU_DEP_1) | instskip(NEXT) | instid1(VALU_DEP_1)
	v_min_i32_e32 v7, v4, v7
	v_add_nc_u32_e32 v9, 8, v7
	v_sub_nc_u32_e32 v12, v7, v8
	s_delay_alu instid0(VALU_DEP_2) | instskip(SKIP_1) | instid1(VALU_DEP_2)
	v_min_i32_e32 v6, v4, v9
	v_min_i32_e32 v9, v4, v10
	v_sub_nc_u32_e32 v10, v6, v7
	s_delay_alu instid0(VALU_DEP_1) | instskip(SKIP_1) | instid1(VALU_DEP_1)
	v_sub_nc_u32_e32 v11, v9, v10
	v_cmp_ge_i32_e64 s7, v9, v10
	v_cndmask_b32_e64 v10, 0, v11, s7
	v_min_i32_e32 v11, v9, v12
	v_mad_u32_u24 v12, v5, 33, v2
	v_mul_u32_u24_e32 v5, 33, v5
	ds_store_b64 v12, v[0:1]
	; wave barrier
	v_cmpx_lt_i32_e64 v10, v11
	s_cbranch_execz .LBB58_22
; %bb.19:
	v_add_nc_u32_e32 v0, v5, v8
	v_add3_u32 v1, v5, v7, v9
	s_mov_b32 s9, 0
	.p2align	6
.LBB58_20:                              ; =>This Inner Loop Header: Depth=1
	v_sub_nc_u32_e32 v12, v11, v10
	s_delay_alu instid0(VALU_DEP_1) | instskip(NEXT) | instid1(VALU_DEP_1)
	v_lshrrev_b32_e32 v13, 31, v12
	v_add_nc_u32_e32 v12, v12, v13
	s_delay_alu instid0(VALU_DEP_1) | instskip(NEXT) | instid1(VALU_DEP_1)
	v_ashrrev_i32_e32 v12, 1, v12
	v_add_nc_u32_e32 v12, v12, v10
	s_delay_alu instid0(VALU_DEP_1)
	v_add_nc_u32_e32 v13, v0, v12
	v_xad_u32 v14, v12, -1, v1
	v_add_nc_u32_e32 v15, 1, v12
	ds_load_i8 v13, v13
	ds_load_i8 v14, v14
	s_waitcnt lgkmcnt(0)
	v_cmp_lt_i16_e64 s7, v14, v13
	s_delay_alu instid0(VALU_DEP_1) | instskip(SKIP_1) | instid1(VALU_DEP_1)
	v_cndmask_b32_e64 v11, v11, v12, s7
	v_cndmask_b32_e64 v10, v15, v10, s7
	v_cmp_ge_i32_e64 s7, v10, v11
	s_delay_alu instid0(VALU_DEP_1) | instskip(NEXT) | instid1(SALU_CYCLE_1)
	s_or_b32 s9, s7, s9
	s_and_not1_b32 exec_lo, exec_lo, s9
	s_cbranch_execnz .LBB58_20
; %bb.21:
	s_or_b32 exec_lo, exec_lo, s9
.LBB58_22:
	s_delay_alu instid0(SALU_CYCLE_1) | instskip(SKIP_2) | instid1(VALU_DEP_2)
	s_or_b32 exec_lo, exec_lo, s8
	v_add_nc_u32_e32 v0, v7, v9
	v_add_nc_u32_e32 v11, v10, v8
                                        ; implicit-def: $vgpr8
	v_sub_nc_u32_e32 v10, v0, v10
	s_delay_alu instid0(VALU_DEP_2) | instskip(SKIP_1) | instid1(VALU_DEP_3)
	v_add_nc_u32_e32 v9, v5, v11
	v_cmp_le_i32_e64 s7, v7, v11
	v_add_nc_u32_e32 v12, v5, v10
	v_cmp_gt_i32_e64 s9, v6, v10
	ds_load_u8 v0, v9
	ds_load_u8 v1, v12
	s_waitcnt lgkmcnt(1)
	v_bfe_i32 v0, v0, 0, 8
	s_waitcnt lgkmcnt(0)
	v_bfe_i32 v1, v1, 0, 8
	s_delay_alu instid0(VALU_DEP_1) | instskip(NEXT) | instid1(VALU_DEP_1)
	v_cmp_lt_i16_e64 s8, v1, v0
	s_or_b32 s7, s7, s8
	s_delay_alu instid0(SALU_CYCLE_1) | instskip(NEXT) | instid1(SALU_CYCLE_1)
	s_and_b32 s7, s9, s7
	s_xor_b32 s8, s7, -1
	s_delay_alu instid0(SALU_CYCLE_1) | instskip(NEXT) | instid1(SALU_CYCLE_1)
	s_and_saveexec_b32 s9, s8
	s_xor_b32 s8, exec_lo, s9
	s_cbranch_execz .LBB58_24
; %bb.23:
	ds_load_u8 v8, v9 offset:1
                                        ; implicit-def: $vgpr12
.LBB58_24:
	s_or_saveexec_b32 s8, s8
	v_mov_b32_e32 v9, v1
	s_xor_b32 exec_lo, exec_lo, s8
	s_cbranch_execz .LBB58_26
; %bb.25:
	ds_load_u8 v9, v12 offset:1
	s_waitcnt lgkmcnt(1)
	v_mov_b32_e32 v8, v0
.LBB58_26:
	s_or_b32 exec_lo, exec_lo, s8
	v_add_nc_u32_e32 v12, 1, v11
	v_add_nc_u32_e32 v14, 1, v10
	s_waitcnt lgkmcnt(0)
	v_bfe_i32 v15, v8, 0, 8
	s_delay_alu instid0(VALU_DEP_3) | instskip(SKIP_2) | instid1(VALU_DEP_3)
	v_cndmask_b32_e64 v13, v12, v11, s7
	v_bfe_i32 v11, v9, 0, 8
	v_cndmask_b32_e64 v12, v10, v14, s7
                                        ; implicit-def: $vgpr10
	v_cmp_ge_i32_e64 s8, v13, v7
	s_delay_alu instid0(VALU_DEP_3) | instskip(NEXT) | instid1(VALU_DEP_3)
	v_cmp_lt_i16_e64 s9, v11, v15
	v_cmp_lt_i32_e64 s10, v12, v6
	s_delay_alu instid0(VALU_DEP_2)
	s_or_b32 s8, s8, s9
	s_delay_alu instid0(VALU_DEP_1) | instid1(SALU_CYCLE_1)
	s_and_b32 s8, s10, s8
	s_delay_alu instid0(SALU_CYCLE_1) | instskip(NEXT) | instid1(SALU_CYCLE_1)
	s_xor_b32 s9, s8, -1
	s_and_saveexec_b32 s10, s9
	s_delay_alu instid0(SALU_CYCLE_1)
	s_xor_b32 s9, exec_lo, s10
	s_cbranch_execz .LBB58_28
; %bb.27:
	v_add_nc_u32_e32 v10, v5, v13
	ds_load_u8 v10, v10 offset:1
.LBB58_28:
	s_or_saveexec_b32 s9, s9
	v_mov_b32_e32 v11, v9
	s_xor_b32 exec_lo, exec_lo, s9
	s_cbranch_execz .LBB58_30
; %bb.29:
	s_waitcnt lgkmcnt(0)
	v_add_nc_u32_e32 v10, v5, v12
	ds_load_u8 v11, v10 offset:1
	v_mov_b32_e32 v10, v8
.LBB58_30:
	s_or_b32 exec_lo, exec_lo, s9
	v_add_nc_u32_e32 v14, 1, v13
	v_add_nc_u32_e32 v16, 1, v12
	s_waitcnt lgkmcnt(0)
	v_bfe_i32 v17, v10, 0, 8
	s_delay_alu instid0(VALU_DEP_3) | instskip(SKIP_2) | instid1(VALU_DEP_3)
	v_cndmask_b32_e64 v15, v14, v13, s8
	v_bfe_i32 v13, v11, 0, 8
	v_cndmask_b32_e64 v14, v12, v16, s8
                                        ; implicit-def: $vgpr12
	v_cmp_ge_i32_e64 s9, v15, v7
	s_delay_alu instid0(VALU_DEP_3) | instskip(NEXT) | instid1(VALU_DEP_3)
	v_cmp_lt_i16_e64 s10, v13, v17
	v_cmp_lt_i32_e64 s11, v14, v6
	s_delay_alu instid0(VALU_DEP_2)
	s_or_b32 s9, s9, s10
	s_delay_alu instid0(VALU_DEP_1) | instid1(SALU_CYCLE_1)
	s_and_b32 s9, s11, s9
	s_delay_alu instid0(SALU_CYCLE_1) | instskip(NEXT) | instid1(SALU_CYCLE_1)
	s_xor_b32 s10, s9, -1
	s_and_saveexec_b32 s11, s10
	s_delay_alu instid0(SALU_CYCLE_1)
	s_xor_b32 s10, exec_lo, s11
	s_cbranch_execz .LBB58_32
; %bb.31:
	v_add_nc_u32_e32 v12, v5, v15
	ds_load_u8 v12, v12 offset:1
.LBB58_32:
	s_or_saveexec_b32 s10, s10
	v_mov_b32_e32 v13, v11
	s_xor_b32 exec_lo, exec_lo, s10
	s_cbranch_execz .LBB58_34
; %bb.33:
	s_waitcnt lgkmcnt(0)
	v_add_nc_u32_e32 v12, v5, v14
	ds_load_u8 v13, v12 offset:1
	v_mov_b32_e32 v12, v10
.LBB58_34:
	s_or_b32 exec_lo, exec_lo, s10
	v_add_nc_u32_e32 v16, 1, v15
	v_add_nc_u32_e32 v18, 1, v14
	s_waitcnt lgkmcnt(0)
	v_bfe_i32 v19, v12, 0, 8
	s_delay_alu instid0(VALU_DEP_3) | instskip(SKIP_2) | instid1(VALU_DEP_3)
	v_cndmask_b32_e64 v17, v16, v15, s9
	v_bfe_i32 v15, v13, 0, 8
	v_cndmask_b32_e64 v16, v14, v18, s9
                                        ; implicit-def: $vgpr14
	v_cmp_ge_i32_e64 s10, v17, v7
	s_delay_alu instid0(VALU_DEP_3) | instskip(NEXT) | instid1(VALU_DEP_3)
	v_cmp_lt_i16_e64 s11, v15, v19
	v_cmp_lt_i32_e64 s12, v16, v6
	s_delay_alu instid0(VALU_DEP_2)
	s_or_b32 s10, s10, s11
	s_delay_alu instid0(VALU_DEP_1) | instid1(SALU_CYCLE_1)
	s_and_b32 s10, s12, s10
	s_delay_alu instid0(SALU_CYCLE_1) | instskip(NEXT) | instid1(SALU_CYCLE_1)
	s_xor_b32 s11, s10, -1
	s_and_saveexec_b32 s12, s11
	s_delay_alu instid0(SALU_CYCLE_1)
	s_xor_b32 s11, exec_lo, s12
	s_cbranch_execz .LBB58_36
; %bb.35:
	v_add_nc_u32_e32 v14, v5, v17
	ds_load_u8 v14, v14 offset:1
.LBB58_36:
	s_or_saveexec_b32 s11, s11
	v_mov_b32_e32 v15, v13
	s_xor_b32 exec_lo, exec_lo, s11
	s_cbranch_execz .LBB58_38
; %bb.37:
	s_waitcnt lgkmcnt(0)
	v_add_nc_u32_e32 v14, v5, v16
	ds_load_u8 v15, v14 offset:1
	v_mov_b32_e32 v14, v12
.LBB58_38:
	s_or_b32 exec_lo, exec_lo, s11
	v_add_nc_u32_e32 v18, 1, v17
	v_add_nc_u32_e32 v20, 1, v16
	s_waitcnt lgkmcnt(0)
	v_bfe_i32 v21, v14, 0, 8
	s_delay_alu instid0(VALU_DEP_3) | instskip(SKIP_2) | instid1(VALU_DEP_3)
	v_cndmask_b32_e64 v19, v18, v17, s10
	v_bfe_i32 v17, v15, 0, 8
	v_cndmask_b32_e64 v18, v16, v20, s10
                                        ; implicit-def: $vgpr16
	v_cmp_ge_i32_e64 s11, v19, v7
	s_delay_alu instid0(VALU_DEP_3) | instskip(NEXT) | instid1(VALU_DEP_3)
	v_cmp_lt_i16_e64 s12, v17, v21
	v_cmp_lt_i32_e64 s13, v18, v6
	s_delay_alu instid0(VALU_DEP_2)
	s_or_b32 s11, s11, s12
	s_delay_alu instid0(VALU_DEP_1) | instid1(SALU_CYCLE_1)
	s_and_b32 s11, s13, s11
	s_delay_alu instid0(SALU_CYCLE_1) | instskip(NEXT) | instid1(SALU_CYCLE_1)
	s_xor_b32 s12, s11, -1
	s_and_saveexec_b32 s13, s12
	s_delay_alu instid0(SALU_CYCLE_1)
	s_xor_b32 s12, exec_lo, s13
	s_cbranch_execz .LBB58_40
; %bb.39:
	v_add_nc_u32_e32 v16, v5, v19
	ds_load_u8 v16, v16 offset:1
.LBB58_40:
	s_or_saveexec_b32 s12, s12
	v_mov_b32_e32 v17, v15
	s_xor_b32 exec_lo, exec_lo, s12
	s_cbranch_execz .LBB58_42
; %bb.41:
	s_waitcnt lgkmcnt(0)
	v_add_nc_u32_e32 v16, v5, v18
	ds_load_u8 v17, v16 offset:1
	v_mov_b32_e32 v16, v14
.LBB58_42:
	s_or_b32 exec_lo, exec_lo, s12
	v_add_nc_u32_e32 v20, 1, v19
	v_add_nc_u32_e32 v21, 1, v18
	s_waitcnt lgkmcnt(0)
	v_bfe_i32 v22, v16, 0, 8
	s_delay_alu instid0(VALU_DEP_3) | instskip(SKIP_2) | instid1(VALU_DEP_3)
	v_cndmask_b32_e64 v20, v20, v19, s11
	v_bfe_i32 v19, v17, 0, 8
	v_cndmask_b32_e64 v18, v18, v21, s11
	v_cmp_ge_i32_e64 s12, v20, v7
	s_delay_alu instid0(VALU_DEP_3) | instskip(NEXT) | instid1(VALU_DEP_3)
	v_cmp_lt_i16_e64 s13, v19, v22
	v_cmp_lt_i32_e64 s14, v18, v6
                                        ; implicit-def: $vgpr19
	s_delay_alu instid0(VALU_DEP_2)
	s_or_b32 s12, s12, s13
	s_delay_alu instid0(VALU_DEP_1) | instid1(SALU_CYCLE_1)
	s_and_b32 s12, s14, s12
	s_delay_alu instid0(SALU_CYCLE_1) | instskip(NEXT) | instid1(SALU_CYCLE_1)
	s_xor_b32 s13, s12, -1
	s_and_saveexec_b32 s14, s13
	s_delay_alu instid0(SALU_CYCLE_1)
	s_xor_b32 s13, exec_lo, s14
	s_cbranch_execz .LBB58_44
; %bb.43:
	v_add_nc_u32_e32 v19, v5, v20
	ds_load_u8 v19, v19 offset:1
.LBB58_44:
	s_or_saveexec_b32 s13, s13
	v_mov_b32_e32 v21, v17
	s_xor_b32 exec_lo, exec_lo, s13
	s_cbranch_execz .LBB58_46
; %bb.45:
	s_waitcnt lgkmcnt(0)
	v_add_nc_u32_e32 v19, v5, v18
	ds_load_u8 v21, v19 offset:1
	v_mov_b32_e32 v19, v16
.LBB58_46:
	s_or_b32 exec_lo, exec_lo, s13
	v_add_nc_u32_e32 v22, 1, v20
	v_add_nc_u32_e32 v24, 1, v18
	s_waitcnt lgkmcnt(0)
	v_bfe_i32 v25, v19, 0, 8
	s_delay_alu instid0(VALU_DEP_3) | instskip(SKIP_2) | instid1(VALU_DEP_3)
	v_cndmask_b32_e64 v23, v22, v20, s12
	v_bfe_i32 v20, v21, 0, 8
	v_cndmask_b32_e64 v22, v18, v24, s12
                                        ; implicit-def: $vgpr18
	v_cmp_ge_i32_e64 s13, v23, v7
	s_delay_alu instid0(VALU_DEP_3) | instskip(NEXT) | instid1(VALU_DEP_3)
	v_cmp_lt_i16_e64 s14, v20, v25
	v_cmp_lt_i32_e64 s15, v22, v6
	s_delay_alu instid0(VALU_DEP_2)
	s_or_b32 s13, s13, s14
	s_delay_alu instid0(VALU_DEP_1) | instid1(SALU_CYCLE_1)
	s_and_b32 s13, s15, s13
	s_delay_alu instid0(SALU_CYCLE_1) | instskip(NEXT) | instid1(SALU_CYCLE_1)
	s_xor_b32 s14, s13, -1
	s_and_saveexec_b32 s15, s14
	s_delay_alu instid0(SALU_CYCLE_1)
	s_xor_b32 s14, exec_lo, s15
	s_cbranch_execz .LBB58_48
; %bb.47:
	v_add_nc_u32_e32 v18, v5, v23
	ds_load_u8 v18, v18 offset:1
.LBB58_48:
	s_or_saveexec_b32 s14, s14
	v_mov_b32_e32 v20, v21
	s_xor_b32 exec_lo, exec_lo, s14
	s_cbranch_execz .LBB58_50
; %bb.49:
	s_waitcnt lgkmcnt(0)
	v_add_nc_u32_e32 v18, v5, v22
	ds_load_u8 v20, v18 offset:1
	v_mov_b32_e32 v18, v19
.LBB58_50:
	s_or_b32 exec_lo, exec_lo, s14
	v_add_nc_u32_e32 v24, 1, v23
	v_cndmask_b32_e64 v19, v19, v21, s13
	v_add_nc_u32_e32 v21, 1, v22
	v_cndmask_b32_e64 v14, v14, v15, s11
	v_cndmask_b32_e64 v13, v12, v13, s10
	;; [unrolled: 1-line block ×3, first 2 shown]
	v_min_i32_e32 v12, 0, v4
	v_cndmask_b32_e64 v15, v22, v21, s13
	v_cndmask_b32_e64 v16, v16, v17, s12
	s_waitcnt lgkmcnt(0)
	v_bfe_i32 v17, v18, 0, 8
	v_bfe_i32 v24, v20, 0, 8
	v_cmp_ge_i32_e64 s10, v23, v7
	v_cndmask_b32_e64 v7, v10, v11, s9
	v_cmp_lt_i32_e64 s9, v15, v6
	v_cndmask_b32_e64 v6, v8, v9, s8
	v_add_nc_u32_e32 v8, 16, v12
	v_cmp_lt_i16_e64 s11, v24, v17
	v_cndmask_b32_e64 v0, v0, v1, s7
	v_and_b32_e32 v7, 0xff, v7
	v_lshlrev_b16 v9, 8, v6
	v_min_i32_e32 v6, v4, v8
	s_or_b32 s8, s10, s11
	v_and_b32_e32 v0, 0xff, v0
	s_and_b32 s7, s9, s8
	v_lshlrev_b16 v8, 8, v13
	v_cndmask_b32_e64 v1, v18, v20, s7
	v_add_nc_u32_e32 v11, 16, v6
	v_or_b32_e32 v9, v0, v9
	v_lshlrev_b16 v0, 8, v16
	v_and_b32_e32 v13, 0xff, v14
	v_or_b32_e32 v8, v7, v8
	v_min_i32_e32 v7, v4, v11
	v_and_b32_e32 v11, 0xff, v19
	v_lshlrev_b16 v1, 8, v1
	v_or_b32_e32 v13, v13, v0
	v_min_i32_e32 v0, v4, v2
	v_sub_nc_u32_e32 v4, v7, v6
	v_and_b32_e32 v9, 0xffff, v9
	v_or_b32_e32 v1, v11, v1
	v_lshlrev_b32_e32 v8, 16, v8
	v_and_b32_e32 v11, 0xffff, v13
	v_sub_nc_u32_e32 v13, v0, v4
	v_sub_nc_u32_e32 v14, v6, v12
	v_lshlrev_b32_e32 v15, 16, v1
	v_cmp_ge_i32_e64 s7, v0, v4
	v_add_nc_u32_e32 v10, v5, v2
	v_or_b32_e32 v8, v9, v8
	v_min_i32_e32 v4, v0, v14
	v_or_b32_e32 v9, v11, v15
	v_cndmask_b32_e64 v1, 0, v13, s7
	s_mov_b32 s9, 0
	s_mov_b32 s8, exec_lo
	; wave barrier
	ds_store_b64 v10, v[8:9]
	; wave barrier
	v_cmpx_lt_i32_e64 v1, v4
	s_cbranch_execz .LBB58_54
; %bb.51:
	v_add_nc_u32_e32 v8, v5, v12
	v_add3_u32 v9, v5, v6, v0
	.p2align	6
.LBB58_52:                              ; =>This Inner Loop Header: Depth=1
	v_sub_nc_u32_e32 v10, v4, v1
	s_delay_alu instid0(VALU_DEP_1) | instskip(NEXT) | instid1(VALU_DEP_1)
	v_lshrrev_b32_e32 v11, 31, v10
	v_add_nc_u32_e32 v10, v10, v11
	s_delay_alu instid0(VALU_DEP_1) | instskip(NEXT) | instid1(VALU_DEP_1)
	v_ashrrev_i32_e32 v10, 1, v10
	v_add_nc_u32_e32 v10, v10, v1
	s_delay_alu instid0(VALU_DEP_1)
	v_add_nc_u32_e32 v11, v8, v10
	v_xad_u32 v13, v10, -1, v9
	v_add_nc_u32_e32 v14, 1, v10
	ds_load_i8 v11, v11
	ds_load_i8 v13, v13
	s_waitcnt lgkmcnt(0)
	v_cmp_lt_i16_e64 s7, v13, v11
	s_delay_alu instid0(VALU_DEP_1) | instskip(SKIP_1) | instid1(VALU_DEP_1)
	v_cndmask_b32_e64 v4, v4, v10, s7
	v_cndmask_b32_e64 v1, v14, v1, s7
	v_cmp_ge_i32_e64 s7, v1, v4
	s_delay_alu instid0(VALU_DEP_1) | instskip(NEXT) | instid1(SALU_CYCLE_1)
	s_or_b32 s9, s7, s9
	s_and_not1_b32 exec_lo, exec_lo, s9
	s_cbranch_execnz .LBB58_52
; %bb.53:
	s_or_b32 exec_lo, exec_lo, s9
.LBB58_54:
	s_delay_alu instid0(SALU_CYCLE_1) | instskip(SKIP_2) | instid1(VALU_DEP_2)
	s_or_b32 exec_lo, exec_lo, s8
	v_add_nc_u32_e32 v0, v6, v0
	v_add_nc_u32_e32 v11, v1, v12
                                        ; implicit-def: $vgpr9
	v_sub_nc_u32_e32 v0, v0, v1
	s_delay_alu instid0(VALU_DEP_2) | instskip(SKIP_1) | instid1(VALU_DEP_3)
	v_add_nc_u32_e32 v10, v5, v11
	v_cmp_le_i32_e64 s7, v6, v11
	v_add_nc_u32_e32 v1, v5, v0
	v_cmp_gt_i32_e64 s9, v7, v0
	ds_load_u8 v4, v10
	ds_load_u8 v8, v1
	s_waitcnt lgkmcnt(1)
	v_bfe_i32 v4, v4, 0, 8
	s_waitcnt lgkmcnt(0)
	v_bfe_i32 v8, v8, 0, 8
	s_delay_alu instid0(VALU_DEP_1) | instskip(NEXT) | instid1(VALU_DEP_1)
	v_cmp_lt_i16_e64 s8, v8, v4
	s_or_b32 s7, s7, s8
	s_delay_alu instid0(SALU_CYCLE_1) | instskip(NEXT) | instid1(SALU_CYCLE_1)
	s_and_b32 s7, s9, s7
	s_xor_b32 s8, s7, -1
	s_delay_alu instid0(SALU_CYCLE_1) | instskip(NEXT) | instid1(SALU_CYCLE_1)
	s_and_saveexec_b32 s9, s8
	s_xor_b32 s8, exec_lo, s9
	s_cbranch_execz .LBB58_56
; %bb.55:
	ds_load_u8 v9, v10 offset:1
                                        ; implicit-def: $vgpr1
.LBB58_56:
	s_or_saveexec_b32 s8, s8
	v_mov_b32_e32 v10, v8
	s_xor_b32 exec_lo, exec_lo, s8
	s_cbranch_execz .LBB58_58
; %bb.57:
	ds_load_u8 v10, v1 offset:1
	s_waitcnt lgkmcnt(1)
	v_mov_b32_e32 v9, v4
.LBB58_58:
	s_or_b32 exec_lo, exec_lo, s8
	v_add_nc_u32_e32 v1, 1, v11
	v_add_nc_u32_e32 v12, 1, v0
	s_waitcnt lgkmcnt(0)
	v_bfe_i32 v13, v9, 0, 8
	s_delay_alu instid0(VALU_DEP_3) | instskip(SKIP_2) | instid1(VALU_DEP_3)
	v_cndmask_b32_e64 v1, v1, v11, s7
	v_bfe_i32 v11, v10, 0, 8
	v_cndmask_b32_e64 v0, v0, v12, s7
	v_cmp_ge_i32_e64 s8, v1, v6
	s_delay_alu instid0(VALU_DEP_3) | instskip(NEXT) | instid1(VALU_DEP_3)
	v_cmp_lt_i16_e64 s9, v11, v13
	v_cmp_lt_i32_e64 s10, v0, v7
                                        ; implicit-def: $vgpr11
	s_delay_alu instid0(VALU_DEP_2)
	s_or_b32 s8, s8, s9
	s_delay_alu instid0(VALU_DEP_1) | instid1(SALU_CYCLE_1)
	s_and_b32 s8, s10, s8
	s_delay_alu instid0(SALU_CYCLE_1) | instskip(NEXT) | instid1(SALU_CYCLE_1)
	s_xor_b32 s9, s8, -1
	s_and_saveexec_b32 s10, s9
	s_delay_alu instid0(SALU_CYCLE_1)
	s_xor_b32 s9, exec_lo, s10
	s_cbranch_execz .LBB58_60
; %bb.59:
	v_add_nc_u32_e32 v11, v5, v1
	ds_load_u8 v11, v11 offset:1
.LBB58_60:
	s_or_saveexec_b32 s9, s9
	v_mov_b32_e32 v12, v10
	s_xor_b32 exec_lo, exec_lo, s9
	s_cbranch_execz .LBB58_62
; %bb.61:
	s_waitcnt lgkmcnt(0)
	v_add_nc_u32_e32 v11, v5, v0
	ds_load_u8 v12, v11 offset:1
	v_mov_b32_e32 v11, v9
.LBB58_62:
	s_or_b32 exec_lo, exec_lo, s9
	v_add_nc_u32_e32 v13, 1, v1
	v_add_nc_u32_e32 v14, 1, v0
	s_waitcnt lgkmcnt(0)
	v_bfe_i32 v15, v11, 0, 8
	s_delay_alu instid0(VALU_DEP_3) | instskip(SKIP_2) | instid1(VALU_DEP_3)
	v_cndmask_b32_e64 v1, v13, v1, s8
	v_bfe_i32 v13, v12, 0, 8
	v_cndmask_b32_e64 v0, v0, v14, s8
	v_cmp_ge_i32_e64 s9, v1, v6
	s_delay_alu instid0(VALU_DEP_3) | instskip(NEXT) | instid1(VALU_DEP_3)
	v_cmp_lt_i16_e64 s10, v13, v15
	v_cmp_lt_i32_e64 s11, v0, v7
                                        ; implicit-def: $vgpr13
	s_delay_alu instid0(VALU_DEP_2)
	s_or_b32 s9, s9, s10
	s_delay_alu instid0(VALU_DEP_1) | instid1(SALU_CYCLE_1)
	s_and_b32 s9, s11, s9
	s_delay_alu instid0(SALU_CYCLE_1) | instskip(NEXT) | instid1(SALU_CYCLE_1)
	s_xor_b32 s10, s9, -1
	s_and_saveexec_b32 s11, s10
	s_delay_alu instid0(SALU_CYCLE_1)
	s_xor_b32 s10, exec_lo, s11
	s_cbranch_execz .LBB58_64
; %bb.63:
	v_add_nc_u32_e32 v13, v5, v1
	ds_load_u8 v13, v13 offset:1
.LBB58_64:
	s_or_saveexec_b32 s10, s10
	v_mov_b32_e32 v14, v12
	s_xor_b32 exec_lo, exec_lo, s10
	s_cbranch_execz .LBB58_66
; %bb.65:
	s_waitcnt lgkmcnt(0)
	v_add_nc_u32_e32 v13, v5, v0
	ds_load_u8 v14, v13 offset:1
	v_mov_b32_e32 v13, v11
.LBB58_66:
	s_or_b32 exec_lo, exec_lo, s10
	v_add_nc_u32_e32 v15, 1, v1
	v_add_nc_u32_e32 v16, 1, v0
	s_waitcnt lgkmcnt(0)
	v_bfe_i32 v17, v13, 0, 8
	s_delay_alu instid0(VALU_DEP_3) | instskip(SKIP_2) | instid1(VALU_DEP_3)
	v_cndmask_b32_e64 v1, v15, v1, s9
	v_bfe_i32 v15, v14, 0, 8
	v_cndmask_b32_e64 v0, v0, v16, s9
	v_cmp_ge_i32_e64 s10, v1, v6
	s_delay_alu instid0(VALU_DEP_3) | instskip(NEXT) | instid1(VALU_DEP_3)
	v_cmp_lt_i16_e64 s11, v15, v17
	v_cmp_lt_i32_e64 s12, v0, v7
                                        ; implicit-def: $vgpr15
	s_delay_alu instid0(VALU_DEP_2)
	s_or_b32 s10, s10, s11
	s_delay_alu instid0(VALU_DEP_1) | instid1(SALU_CYCLE_1)
	s_and_b32 s10, s12, s10
	s_delay_alu instid0(SALU_CYCLE_1) | instskip(NEXT) | instid1(SALU_CYCLE_1)
	s_xor_b32 s11, s10, -1
	s_and_saveexec_b32 s12, s11
	s_delay_alu instid0(SALU_CYCLE_1)
	s_xor_b32 s11, exec_lo, s12
	s_cbranch_execz .LBB58_68
; %bb.67:
	v_add_nc_u32_e32 v15, v5, v1
	ds_load_u8 v15, v15 offset:1
.LBB58_68:
	s_or_saveexec_b32 s11, s11
	v_mov_b32_e32 v16, v14
	s_xor_b32 exec_lo, exec_lo, s11
	s_cbranch_execz .LBB58_70
; %bb.69:
	s_waitcnt lgkmcnt(0)
	v_add_nc_u32_e32 v15, v5, v0
	ds_load_u8 v16, v15 offset:1
	v_mov_b32_e32 v15, v13
.LBB58_70:
	s_or_b32 exec_lo, exec_lo, s11
	v_add_nc_u32_e32 v17, 1, v1
	v_add_nc_u32_e32 v18, 1, v0
	s_waitcnt lgkmcnt(0)
	v_bfe_i32 v19, v15, 0, 8
	s_delay_alu instid0(VALU_DEP_3) | instskip(SKIP_2) | instid1(VALU_DEP_3)
	v_cndmask_b32_e64 v1, v17, v1, s10
	v_bfe_i32 v17, v16, 0, 8
	v_cndmask_b32_e64 v0, v0, v18, s10
	v_cmp_ge_i32_e64 s11, v1, v6
	s_delay_alu instid0(VALU_DEP_3) | instskip(NEXT) | instid1(VALU_DEP_3)
	v_cmp_lt_i16_e64 s12, v17, v19
	v_cmp_lt_i32_e64 s13, v0, v7
                                        ; implicit-def: $vgpr17
	s_delay_alu instid0(VALU_DEP_2)
	s_or_b32 s11, s11, s12
	s_delay_alu instid0(VALU_DEP_1) | instid1(SALU_CYCLE_1)
	s_and_b32 s11, s13, s11
	s_delay_alu instid0(SALU_CYCLE_1) | instskip(NEXT) | instid1(SALU_CYCLE_1)
	s_xor_b32 s12, s11, -1
	s_and_saveexec_b32 s13, s12
	s_delay_alu instid0(SALU_CYCLE_1)
	s_xor_b32 s12, exec_lo, s13
	s_cbranch_execz .LBB58_72
; %bb.71:
	v_add_nc_u32_e32 v17, v5, v1
	ds_load_u8 v17, v17 offset:1
.LBB58_72:
	s_or_saveexec_b32 s12, s12
	v_mov_b32_e32 v18, v16
	s_xor_b32 exec_lo, exec_lo, s12
	s_cbranch_execz .LBB58_74
; %bb.73:
	s_waitcnt lgkmcnt(0)
	v_add_nc_u32_e32 v17, v5, v0
	ds_load_u8 v18, v17 offset:1
	v_mov_b32_e32 v17, v15
.LBB58_74:
	s_or_b32 exec_lo, exec_lo, s12
	v_add_nc_u32_e32 v19, 1, v1
	v_add_nc_u32_e32 v20, 1, v0
	s_waitcnt lgkmcnt(0)
	v_bfe_i32 v21, v17, 0, 8
	s_delay_alu instid0(VALU_DEP_3) | instskip(SKIP_2) | instid1(VALU_DEP_3)
	v_cndmask_b32_e64 v1, v19, v1, s11
	v_bfe_i32 v19, v18, 0, 8
	v_cndmask_b32_e64 v0, v0, v20, s11
	v_cmp_ge_i32_e64 s12, v1, v6
	s_delay_alu instid0(VALU_DEP_3) | instskip(NEXT) | instid1(VALU_DEP_3)
	v_cmp_lt_i16_e64 s13, v19, v21
	v_cmp_lt_i32_e64 s14, v0, v7
                                        ; implicit-def: $vgpr19
	s_delay_alu instid0(VALU_DEP_2)
	s_or_b32 s12, s12, s13
	s_delay_alu instid0(VALU_DEP_1) | instid1(SALU_CYCLE_1)
	s_and_b32 s12, s14, s12
	s_delay_alu instid0(SALU_CYCLE_1) | instskip(NEXT) | instid1(SALU_CYCLE_1)
	s_xor_b32 s13, s12, -1
	s_and_saveexec_b32 s14, s13
	s_delay_alu instid0(SALU_CYCLE_1)
	s_xor_b32 s13, exec_lo, s14
	s_cbranch_execz .LBB58_76
; %bb.75:
	v_add_nc_u32_e32 v19, v5, v1
	ds_load_u8 v19, v19 offset:1
.LBB58_76:
	s_or_saveexec_b32 s13, s13
	v_mov_b32_e32 v20, v18
	s_xor_b32 exec_lo, exec_lo, s13
	s_cbranch_execz .LBB58_78
; %bb.77:
	s_waitcnt lgkmcnt(0)
	v_add_nc_u32_e32 v19, v5, v0
	ds_load_u8 v20, v19 offset:1
	v_mov_b32_e32 v19, v17
.LBB58_78:
	s_or_b32 exec_lo, exec_lo, s13
	v_add_nc_u32_e32 v21, 1, v1
	v_add_nc_u32_e32 v22, 1, v0
	s_waitcnt lgkmcnt(0)
	v_bfe_i32 v23, v19, 0, 8
	v_bfe_i32 v24, v20, 0, 8
	v_cndmask_b32_e64 v1, v21, v1, s12
	v_cndmask_b32_e64 v21, v0, v22, s12
                                        ; implicit-def: $vgpr22
	s_delay_alu instid0(VALU_DEP_3) | instskip(NEXT) | instid1(VALU_DEP_3)
	v_cmp_lt_i16_e64 s14, v24, v23
                                        ; implicit-def: $vgpr23
	v_cmp_ge_i32_e64 s13, v1, v6
	s_delay_alu instid0(VALU_DEP_3) | instskip(NEXT) | instid1(VALU_DEP_2)
	v_cmp_lt_i32_e64 s15, v21, v7
	s_or_b32 s13, s13, s14
	s_delay_alu instid0(VALU_DEP_1) | instid1(SALU_CYCLE_1)
	s_and_b32 s13, s15, s13
	s_delay_alu instid0(SALU_CYCLE_1) | instskip(NEXT) | instid1(SALU_CYCLE_1)
	s_xor_b32 s14, s13, -1
	s_and_saveexec_b32 s15, s14
	s_delay_alu instid0(SALU_CYCLE_1)
	s_xor_b32 s14, exec_lo, s15
	s_cbranch_execz .LBB58_80
; %bb.79:
	v_add_nc_u32_e32 v0, v5, v1
	v_add_nc_u32_e32 v23, 1, v1
                                        ; implicit-def: $vgpr1
                                        ; implicit-def: $vgpr5
	ds_load_u8 v22, v0 offset:1
.LBB58_80:
	s_or_saveexec_b32 s14, s14
	v_mov_b32_e32 v24, v20
	s_xor_b32 exec_lo, exec_lo, s14
	s_cbranch_execz .LBB58_82
; %bb.81:
	v_add_nc_u32_e32 v0, v5, v21
	s_waitcnt lgkmcnt(0)
	v_dual_mov_b32 v22, v19 :: v_dual_add_nc_u32 v21, 1, v21
	v_mov_b32_e32 v23, v1
	ds_load_u8 v24, v0 offset:1
.LBB58_82:
	s_or_b32 exec_lo, exec_lo, s14
	v_add_co_u32 v0, s14, s18, v3
	s_delay_alu instid0(VALU_DEP_1) | instskip(NEXT) | instid1(VALU_DEP_2)
	v_add_co_ci_u32_e64 v1, null, s19, 0, s14
	v_add_co_u32 v0, s14, v0, v2
	s_delay_alu instid0(VALU_DEP_1)
	v_add_co_ci_u32_e64 v1, s14, 0, v1, s14
	s_and_saveexec_b32 s14, vcc_lo
	s_cbranch_execnz .LBB58_91
; %bb.83:
	s_or_b32 exec_lo, exec_lo, s14
	s_and_saveexec_b32 s7, s0
	s_cbranch_execnz .LBB58_92
.LBB58_84:
	s_or_b32 exec_lo, exec_lo, s7
	s_and_saveexec_b32 s0, s1
	s_cbranch_execnz .LBB58_93
.LBB58_85:
	s_or_b32 exec_lo, exec_lo, s0
	s_and_saveexec_b32 s0, s2
	s_cbranch_execnz .LBB58_94
.LBB58_86:
	s_or_b32 exec_lo, exec_lo, s0
	s_and_saveexec_b32 s0, s3
	s_cbranch_execnz .LBB58_95
.LBB58_87:
	s_or_b32 exec_lo, exec_lo, s0
	s_and_saveexec_b32 s0, s4
	s_cbranch_execnz .LBB58_96
.LBB58_88:
	s_or_b32 exec_lo, exec_lo, s0
	s_and_saveexec_b32 s0, s5
	s_cbranch_execnz .LBB58_97
.LBB58_89:
	s_or_b32 exec_lo, exec_lo, s0
	s_and_saveexec_b32 s0, s6
	s_cbranch_execnz .LBB58_98
.LBB58_90:
	s_nop 0
	s_sendmsg sendmsg(MSG_DEALLOC_VGPRS)
	s_endpgm
.LBB58_91:
	v_cndmask_b32_e64 v2, v4, v8, s7
	global_store_b8 v[0:1], v2, off
	s_or_b32 exec_lo, exec_lo, s14
	s_and_saveexec_b32 s7, s0
	s_cbranch_execz .LBB58_84
.LBB58_92:
	v_cndmask_b32_e64 v2, v9, v10, s8
	global_store_b8 v[0:1], v2, off offset:1
	s_or_b32 exec_lo, exec_lo, s7
	s_and_saveexec_b32 s0, s1
	s_cbranch_execz .LBB58_85
.LBB58_93:
	v_cndmask_b32_e64 v2, v11, v12, s9
	global_store_b8 v[0:1], v2, off offset:2
	s_or_b32 exec_lo, exec_lo, s0
	s_and_saveexec_b32 s0, s2
	s_cbranch_execz .LBB58_86
.LBB58_94:
	v_cndmask_b32_e64 v2, v13, v14, s10
	global_store_b8 v[0:1], v2, off offset:3
	s_or_b32 exec_lo, exec_lo, s0
	s_and_saveexec_b32 s0, s3
	s_cbranch_execz .LBB58_87
.LBB58_95:
	v_cndmask_b32_e64 v2, v15, v16, s11
	global_store_b8 v[0:1], v2, off offset:4
	s_or_b32 exec_lo, exec_lo, s0
	s_and_saveexec_b32 s0, s4
	s_cbranch_execz .LBB58_88
.LBB58_96:
	v_cndmask_b32_e64 v2, v17, v18, s12
	global_store_b8 v[0:1], v2, off offset:5
	s_or_b32 exec_lo, exec_lo, s0
	s_and_saveexec_b32 s0, s5
	s_cbranch_execz .LBB58_89
.LBB58_97:
	v_cndmask_b32_e64 v2, v19, v20, s13
	global_store_b8 v[0:1], v2, off offset:6
	s_or_b32 exec_lo, exec_lo, s0
	s_and_saveexec_b32 s0, s6
	s_cbranch_execz .LBB58_90
.LBB58_98:
	s_waitcnt lgkmcnt(0)
	v_bfe_i32 v2, v22, 0, 8
	v_bfe_i32 v3, v24, 0, 8
	v_cmp_ge_i32_e32 vcc_lo, v23, v6
	v_cmp_lt_i32_e64 s1, v21, v7
	s_delay_alu instid0(VALU_DEP_3) | instskip(NEXT) | instid1(VALU_DEP_1)
	v_cmp_lt_i16_e64 s0, v3, v2
	s_or_b32 s0, vcc_lo, s0
	s_delay_alu instid0(VALU_DEP_2) | instid1(SALU_CYCLE_1)
	s_and_b32 vcc_lo, s1, s0
	v_cndmask_b32_e32 v2, v22, v24, vcc_lo
	global_store_b8 v[0:1], v2, off offset:7
	s_nop 0
	s_sendmsg sendmsg(MSG_DEALLOC_VGPRS)
	s_endpgm
	.section	.rodata,"a",@progbits
	.p2align	6, 0x0
	.amdhsa_kernel _Z19sort_keys_segmentedILj256ELj4ELj8EaN10test_utils4lessEEvPKT2_PS2_PKjT3_
		.amdhsa_group_segment_fixed_size 2112
		.amdhsa_private_segment_fixed_size 0
		.amdhsa_kernarg_size 28
		.amdhsa_user_sgpr_count 15
		.amdhsa_user_sgpr_dispatch_ptr 0
		.amdhsa_user_sgpr_queue_ptr 0
		.amdhsa_user_sgpr_kernarg_segment_ptr 1
		.amdhsa_user_sgpr_dispatch_id 0
		.amdhsa_user_sgpr_private_segment_size 0
		.amdhsa_wavefront_size32 1
		.amdhsa_uses_dynamic_stack 0
		.amdhsa_enable_private_segment 0
		.amdhsa_system_sgpr_workgroup_id_x 1
		.amdhsa_system_sgpr_workgroup_id_y 0
		.amdhsa_system_sgpr_workgroup_id_z 0
		.amdhsa_system_sgpr_workgroup_info 0
		.amdhsa_system_vgpr_workitem_id 0
		.amdhsa_next_free_vgpr 33
		.amdhsa_next_free_sgpr 20
		.amdhsa_reserve_vcc 1
		.amdhsa_float_round_mode_32 0
		.amdhsa_float_round_mode_16_64 0
		.amdhsa_float_denorm_mode_32 3
		.amdhsa_float_denorm_mode_16_64 3
		.amdhsa_dx10_clamp 1
		.amdhsa_ieee_mode 1
		.amdhsa_fp16_overflow 0
		.amdhsa_workgroup_processor_mode 1
		.amdhsa_memory_ordered 1
		.amdhsa_forward_progress 0
		.amdhsa_shared_vgpr_count 0
		.amdhsa_exception_fp_ieee_invalid_op 0
		.amdhsa_exception_fp_denorm_src 0
		.amdhsa_exception_fp_ieee_div_zero 0
		.amdhsa_exception_fp_ieee_overflow 0
		.amdhsa_exception_fp_ieee_underflow 0
		.amdhsa_exception_fp_ieee_inexact 0
		.amdhsa_exception_int_div_zero 0
	.end_amdhsa_kernel
	.section	.text._Z19sort_keys_segmentedILj256ELj4ELj8EaN10test_utils4lessEEvPKT2_PS2_PKjT3_,"axG",@progbits,_Z19sort_keys_segmentedILj256ELj4ELj8EaN10test_utils4lessEEvPKT2_PS2_PKjT3_,comdat
.Lfunc_end58:
	.size	_Z19sort_keys_segmentedILj256ELj4ELj8EaN10test_utils4lessEEvPKT2_PS2_PKjT3_, .Lfunc_end58-_Z19sort_keys_segmentedILj256ELj4ELj8EaN10test_utils4lessEEvPKT2_PS2_PKjT3_
                                        ; -- End function
	.section	.AMDGPU.csdata,"",@progbits
; Kernel info:
; codeLenInByte = 6876
; NumSgprs: 22
; NumVgprs: 33
; ScratchSize: 0
; MemoryBound: 0
; FloatMode: 240
; IeeeMode: 1
; LDSByteSize: 2112 bytes/workgroup (compile time only)
; SGPRBlocks: 2
; VGPRBlocks: 4
; NumSGPRsForWavesPerEU: 22
; NumVGPRsForWavesPerEU: 33
; Occupancy: 16
; WaveLimiterHint : 0
; COMPUTE_PGM_RSRC2:SCRATCH_EN: 0
; COMPUTE_PGM_RSRC2:USER_SGPR: 15
; COMPUTE_PGM_RSRC2:TRAP_HANDLER: 0
; COMPUTE_PGM_RSRC2:TGID_X_EN: 1
; COMPUTE_PGM_RSRC2:TGID_Y_EN: 0
; COMPUTE_PGM_RSRC2:TGID_Z_EN: 0
; COMPUTE_PGM_RSRC2:TIDIG_COMP_CNT: 0
	.section	.text._Z20sort_pairs_segmentedILj256ELj4ELj8EaN10test_utils4lessEEvPKT2_PS2_PKjT3_,"axG",@progbits,_Z20sort_pairs_segmentedILj256ELj4ELj8EaN10test_utils4lessEEvPKT2_PS2_PKjT3_,comdat
	.protected	_Z20sort_pairs_segmentedILj256ELj4ELj8EaN10test_utils4lessEEvPKT2_PS2_PKjT3_ ; -- Begin function _Z20sort_pairs_segmentedILj256ELj4ELj8EaN10test_utils4lessEEvPKT2_PS2_PKjT3_
	.globl	_Z20sort_pairs_segmentedILj256ELj4ELj8EaN10test_utils4lessEEvPKT2_PS2_PKjT3_
	.p2align	8
	.type	_Z20sort_pairs_segmentedILj256ELj4ELj8EaN10test_utils4lessEEvPKT2_PS2_PKjT3_,@function
_Z20sort_pairs_segmentedILj256ELj4ELj8EaN10test_utils4lessEEvPKT2_PS2_PKjT3_: ; @_Z20sort_pairs_segmentedILj256ELj4ELj8EaN10test_utils4lessEEvPKT2_PS2_PKjT3_
; %bb.0:
	s_clause 0x1
	s_load_b64 s[2:3], s[0:1], 0x10
	s_load_b128 s[16:19], s[0:1], 0x0
	v_lshrrev_b32_e32 v7, 2, v0
	v_mov_b32_e32 v1, 0
	s_delay_alu instid0(VALU_DEP_2) | instskip(NEXT) | instid1(VALU_DEP_1)
	v_lshl_or_b32 v0, s15, 6, v7
	v_lshlrev_b64 v[1:2], 2, v[0:1]
	v_lshlrev_b32_e32 v5, 5, v0
	s_waitcnt lgkmcnt(0)
	s_delay_alu instid0(VALU_DEP_2) | instskip(NEXT) | instid1(VALU_DEP_3)
	v_add_co_u32 v1, vcc_lo, s2, v1
	v_add_co_ci_u32_e32 v2, vcc_lo, s3, v2, vcc_lo
	s_delay_alu instid0(VALU_DEP_3) | instskip(SKIP_2) | instid1(VALU_DEP_1)
	v_add_co_u32 v0, s0, s16, v5
	global_load_b32 v6, v[1:2], off
	v_mbcnt_lo_u32_b32 v1, -1, 0
                                        ; implicit-def: $vgpr2
	v_lshlrev_b32_e32 v8, 3, v1
	v_add_co_ci_u32_e64 v1, null, s17, 0, s0
	s_delay_alu instid0(VALU_DEP_2) | instskip(NEXT) | instid1(VALU_DEP_1)
	v_and_b32_e32 v4, 24, v8
	v_add_co_u32 v0, vcc_lo, v0, v4
	s_delay_alu instid0(VALU_DEP_3)
	v_add_co_ci_u32_e32 v1, vcc_lo, 0, v1, vcc_lo
	s_waitcnt vmcnt(0)
	v_cmp_lt_u32_e32 vcc_lo, v4, v6
	s_and_saveexec_b32 s0, vcc_lo
	s_cbranch_execz .LBB59_2
; %bb.1:
	global_load_u8 v2, v[0:1], off
.LBB59_2:
	s_or_b32 exec_lo, exec_lo, s0
	v_or_b32_e32 v11, 1, v4
                                        ; implicit-def: $vgpr16
	s_delay_alu instid0(VALU_DEP_1) | instskip(NEXT) | instid1(VALU_DEP_1)
	v_cmp_lt_u32_e64 s0, v11, v6
	s_and_saveexec_b32 s1, s0
	s_cbranch_execz .LBB59_4
; %bb.3:
	global_load_u8 v16, v[0:1], off offset:1
.LBB59_4:
	s_or_b32 exec_lo, exec_lo, s1
	v_or_b32_e32 v9, 2, v4
                                        ; implicit-def: $vgpr3
	s_delay_alu instid0(VALU_DEP_1) | instskip(NEXT) | instid1(VALU_DEP_1)
	v_cmp_lt_u32_e64 s1, v9, v6
	s_and_saveexec_b32 s2, s1
	s_cbranch_execz .LBB59_6
; %bb.5:
	global_load_u8 v3, v[0:1], off offset:2
.LBB59_6:
	s_or_b32 exec_lo, exec_lo, s2
	v_or_b32_e32 v10, 3, v4
                                        ; implicit-def: $vgpr19
	s_delay_alu instid0(VALU_DEP_1) | instskip(NEXT) | instid1(VALU_DEP_1)
	v_cmp_lt_u32_e64 s2, v10, v6
	s_and_saveexec_b32 s3, s2
	s_cbranch_execz .LBB59_8
; %bb.7:
	global_load_u8 v19, v[0:1], off offset:3
.LBB59_8:
	s_or_b32 exec_lo, exec_lo, s3
	v_or_b32_e32 v12, 4, v4
                                        ; implicit-def: $vgpr13
	s_delay_alu instid0(VALU_DEP_1) | instskip(NEXT) | instid1(VALU_DEP_1)
	v_cmp_lt_u32_e64 s3, v12, v6
	s_and_saveexec_b32 s4, s3
	s_cbranch_execz .LBB59_10
; %bb.9:
	global_load_u8 v13, v[0:1], off offset:4
.LBB59_10:
	s_or_b32 exec_lo, exec_lo, s4
	v_or_b32_e32 v14, 5, v4
                                        ; implicit-def: $vgpr20
	s_delay_alu instid0(VALU_DEP_1) | instskip(NEXT) | instid1(VALU_DEP_1)
	v_cmp_lt_u32_e64 s4, v14, v6
	s_and_saveexec_b32 s5, s4
	s_cbranch_execz .LBB59_12
; %bb.11:
	global_load_u8 v20, v[0:1], off offset:5
.LBB59_12:
	s_or_b32 exec_lo, exec_lo, s5
	v_or_b32_e32 v15, 6, v4
                                        ; implicit-def: $vgpr18
	s_delay_alu instid0(VALU_DEP_1) | instskip(NEXT) | instid1(VALU_DEP_1)
	v_cmp_lt_u32_e64 s5, v15, v6
	s_and_saveexec_b32 s6, s5
	s_cbranch_execz .LBB59_14
; %bb.13:
	global_load_u8 v18, v[0:1], off offset:6
.LBB59_14:
	s_or_b32 exec_lo, exec_lo, s6
	v_or_b32_e32 v17, 7, v4
                                        ; implicit-def: $vgpr21
	s_delay_alu instid0(VALU_DEP_1) | instskip(NEXT) | instid1(VALU_DEP_1)
	v_cmp_lt_u32_e64 s6, v17, v6
	s_and_saveexec_b32 s7, s6
	s_cbranch_execz .LBB59_16
; %bb.15:
	global_load_u8 v21, v[0:1], off offset:7
.LBB59_16:
	s_or_b32 exec_lo, exec_lo, s7
	s_waitcnt vmcnt(0)
	v_and_b32_e32 v0, 0xff, v2
	v_lshlrev_b16 v1, 8, v16
	v_and_b32_e32 v16, 0xff, v3
	v_lshlrev_b16 v19, 8, v19
	v_cmp_lt_i32_e64 s7, v11, v6
	v_lshlrev_b16 v20, 8, v20
	v_or_b32_e32 v22, v0, v1
	v_or_b32_e32 v0, 0x7f00, v0
	;; [unrolled: 1-line block ×3, first 2 shown]
	v_and_b32_e32 v23, 0xff, v18
	v_lshlrev_b16 v21, 8, v21
	v_and_b32_e32 v22, 0xffff, v22
	v_and_b32_e32 v0, 0xffff, v0
	v_lshlrev_b32_e32 v16, 16, v16
	v_cmp_lt_i32_e64 s8, v10, v6
	v_or_b32_e32 v23, v23, v21
	v_add_nc_u16 v2, v2, 1
	v_add_nc_u16 v3, v3, 1
	v_or_b32_e32 v22, v22, v16
	v_or_b32_e32 v0, v0, v16
	v_and_b32_e32 v16, 0xff, v13
	v_add_nc_u16 v13, v13, 1
	v_and_b32_e32 v2, 0xff, v2
	v_and_b32_e32 v3, 0xff, v3
	v_cndmask_b32_e64 v0, v0, v22, s7
	v_or_b32_e32 v16, v16, v20
	v_cmp_lt_i32_e64 s7, v9, v6
	v_perm_b32 v13, v13, 0, 0x3020104
	v_or_b32_e32 v1, v1, v2
	v_lshrrev_b32_e32 v11, 16, v0
	v_and_b32_e32 v24, 0xffffff00, v16
	v_and_b32_e32 v2, 0xffff, v2
	v_cndmask_b32_e64 v13, 0, v13, s3
	v_add_nc_u16 v1, v1, 0x100
	v_and_b32_e32 v11, 0xffffff00, v11
	v_lshlrev_b32_e32 v3, 16, v3
	s_mov_b32 s9, exec_lo
	s_delay_alu instid0(VALU_DEP_3) | instskip(NEXT) | instid1(VALU_DEP_3)
	v_and_b32_e32 v1, 0xffff, v1
	v_or_b32_e32 v11, 0x7f, v11
	s_delay_alu instid0(VALU_DEP_2) | instskip(NEXT) | instid1(VALU_DEP_2)
	v_cndmask_b32_e64 v1, v2, v1, s0
	v_lshlrev_b32_e32 v11, 16, v11
	s_delay_alu instid0(VALU_DEP_2) | instskip(NEXT) | instid1(VALU_DEP_2)
	v_or_b32_e32 v3, v1, v3
	v_and_or_b32 v0, 0xffff, v0, v11
	v_and_b32_e32 v11, 0xffff, v16
	v_lshlrev_b32_e32 v16, 16, v23
	v_or_b32_e32 v23, 0x7f, v24
	v_cndmask_b32_e64 v1, v1, v3, s1
	v_cndmask_b32_e64 v0, v0, v22, s7
	v_cmp_lt_i32_e64 s7, v12, v6
	v_or_b32_e32 v9, v11, v16
	v_and_b32_e32 v11, 0xffff, v23
	s_delay_alu instid0(VALU_DEP_4) | instskip(NEXT) | instid1(VALU_DEP_2)
	v_lshrrev_b32_e32 v16, 16, v0
	v_and_or_b32 v11, 0xffff0000, v9, v11
	s_delay_alu instid0(VALU_DEP_2) | instskip(NEXT) | instid1(VALU_DEP_2)
	v_and_b32_e32 v16, 0xff, v16
	v_cndmask_b32_e64 v11, v11, v9, s7
	s_delay_alu instid0(VALU_DEP_2) | instskip(NEXT) | instid1(VALU_DEP_2)
	v_or_b32_e32 v12, 0x7f00, v16
	v_and_b32_e32 v16, 0xff, v11
	s_delay_alu instid0(VALU_DEP_2) | instskip(NEXT) | instid1(VALU_DEP_2)
	v_lshlrev_b32_e32 v12, 16, v12
	v_or_b32_e32 v16, 0x7f00, v16
	s_delay_alu instid0(VALU_DEP_2) | instskip(SKIP_1) | instid1(VALU_DEP_3)
	v_and_or_b32 v0, 0xffff, v0, v12
	v_and_b32_e32 v12, 0xff, v13
	v_and_b32_e32 v16, 0xffff, v16
	s_delay_alu instid0(VALU_DEP_3) | instskip(NEXT) | instid1(VALU_DEP_3)
	v_cndmask_b32_e64 v0, v0, v22, s8
	v_or_b32_e32 v10, v20, v12
	s_delay_alu instid0(VALU_DEP_3) | instskip(NEXT) | instid1(VALU_DEP_3)
	v_and_or_b32 v11, 0xffff0000, v11, v16
	v_cndmask_b32_e64 v0, v0, v22, s7
	v_cmp_lt_i32_e64 s7, v14, v6
	s_delay_alu instid0(VALU_DEP_4) | instskip(SKIP_1) | instid1(VALU_DEP_3)
	v_add_nc_u16 v10, v10, 0x100
	v_add_nc_u16 v14, v18, 1
	v_cndmask_b32_e64 v11, v11, v9, s7
	s_delay_alu instid0(VALU_DEP_3) | instskip(SKIP_2) | instid1(VALU_DEP_4)
	v_and_b32_e32 v10, 0xffff, v10
	v_cndmask_b32_e64 v0, v0, v22, s7
	v_cmp_lt_i32_e64 s7, v15, v6
	v_lshrrev_b32_e32 v12, 16, v11
	s_delay_alu instid0(VALU_DEP_4) | instskip(NEXT) | instid1(VALU_DEP_2)
	v_and_or_b32 v10, 0xffff0000, v13, v10
	v_and_b32_e32 v12, 0xffffff00, v12
	s_delay_alu instid0(VALU_DEP_2) | instskip(NEXT) | instid1(VALU_DEP_2)
	v_cndmask_b32_e64 v2, v13, v10, s4
	v_or_b32_e32 v10, 0x7f, v12
	s_delay_alu instid0(VALU_DEP_2) | instskip(NEXT) | instid1(VALU_DEP_2)
	v_perm_b32 v12, v2, v14, 0x7000504
	v_lshlrev_b32_e32 v10, 16, v10
	s_delay_alu instid0(VALU_DEP_2) | instskip(SKIP_1) | instid1(VALU_DEP_3)
	v_cndmask_b32_e64 v2, v2, v12, s5
	v_cndmask_b32_e64 v12, v0, v22, s7
	v_and_or_b32 v3, 0xffff, v11, v10
	v_lshrrev_b32_e32 v10, 16, v1
	s_delay_alu instid0(VALU_DEP_4) | instskip(NEXT) | instid1(VALU_DEP_3)
	v_lshrrev_b32_e32 v11, 16, v2
	v_cndmask_b32_e64 v0, v3, v9, s7
	s_delay_alu instid0(VALU_DEP_3) | instskip(NEXT) | instid1(VALU_DEP_3)
	v_and_b32_e32 v3, 0xff, v10
	v_and_b32_e32 v10, 0xff, v11
	v_cmp_lt_i32_e64 s7, v17, v6
	s_delay_alu instid0(VALU_DEP_4) | instskip(NEXT) | instid1(VALU_DEP_4)
	v_lshrrev_b32_e32 v11, 16, v0
	v_or_b32_e32 v3, v19, v3
	s_delay_alu instid0(VALU_DEP_4) | instskip(NEXT) | instid1(VALU_DEP_3)
	v_or_b32_e32 v10, v21, v10
	v_and_b32_e32 v11, 0xff, v11
	s_delay_alu instid0(VALU_DEP_3) | instskip(NEXT) | instid1(VALU_DEP_3)
	v_add_nc_u16 v3, v3, 0x100
	v_add_nc_u16 v10, v10, 0x100
	s_delay_alu instid0(VALU_DEP_3) | instskip(NEXT) | instid1(VALU_DEP_3)
	v_or_b32_e32 v11, 0x7f00, v11
	v_lshlrev_b32_e32 v3, 16, v3
	s_delay_alu instid0(VALU_DEP_3) | instskip(NEXT) | instid1(VALU_DEP_3)
	v_lshlrev_b32_e32 v10, 16, v10
	v_lshlrev_b32_e32 v11, 16, v11
	s_delay_alu instid0(VALU_DEP_3) | instskip(NEXT) | instid1(VALU_DEP_3)
	v_and_or_b32 v3, 0xffff, v1, v3
	v_and_or_b32 v10, 0xffff, v2, v10
	s_delay_alu instid0(VALU_DEP_3) | instskip(NEXT) | instid1(VALU_DEP_3)
	v_and_or_b32 v11, 0xffff, v0, v11
	v_cndmask_b32_e64 v0, v1, v3, s2
	s_delay_alu instid0(VALU_DEP_3) | instskip(SKIP_1) | instid1(VALU_DEP_4)
	v_cndmask_b32_e64 v1, v2, v10, s6
	v_cndmask_b32_e64 v2, v12, v22, s7
	;; [unrolled: 1-line block ×3, first 2 shown]
	v_cmpx_lt_i32_e64 v4, v6
	s_cbranch_execz .LBB59_18
; %bb.17:
	s_delay_alu instid0(VALU_DEP_3)
	v_lshrrev_b32_e32 v9, 8, v2
	v_perm_b32 v11, 0, v2, 0xc0c0001
	v_bfe_i32 v12, v2, 0, 8
	v_perm_b32 v10, 0, v0, 0xc0c0001
	v_lshrrev_b32_e32 v14, 8, v3
	v_bfe_i32 v9, v9, 0, 8
	v_and_or_b32 v11, 0xffff0000, v2, v11
	v_bfe_i32 v15, v3, 0, 8
	v_and_or_b32 v10, 0xffff0000, v0, v10
	v_bfe_i32 v14, v14, 0, 8
	v_cmp_lt_i16_e64 s7, v9, v12
	v_perm_b32 v13, v1, v1, 0x7060405
	s_delay_alu instid0(VALU_DEP_3) | instskip(NEXT) | instid1(VALU_DEP_3)
	v_cmp_lt_i16_e64 s8, v14, v15
	v_cndmask_b32_e64 v2, v2, v11, s7
	v_cndmask_b32_e64 v0, v0, v10, s7
	s_delay_alu instid0(VALU_DEP_3) | instskip(NEXT) | instid1(VALU_DEP_3)
	v_cndmask_b32_e64 v1, v1, v13, s8
	v_lshrrev_b32_e32 v10, 16, v2
	s_delay_alu instid0(VALU_DEP_3) | instskip(SKIP_1) | instid1(VALU_DEP_3)
	v_lshrrev_b32_e32 v9, 16, v0
	v_lshrrev_b32_e32 v11, 24, v2
	v_perm_b32 v12, 0, v10, 0xc0c0001
	s_delay_alu instid0(VALU_DEP_3) | instskip(NEXT) | instid1(VALU_DEP_3)
	v_perm_b32 v9, 0, v9, 0xc0c0001
	v_bfe_i32 v11, v11, 0, 8
	v_bfe_i32 v10, v10, 0, 8
	s_delay_alu instid0(VALU_DEP_4) | instskip(NEXT) | instid1(VALU_DEP_4)
	v_lshlrev_b32_e32 v12, 16, v12
	v_lshlrev_b32_e32 v9, 16, v9
	s_delay_alu instid0(VALU_DEP_3) | instskip(SKIP_1) | instid1(VALU_DEP_4)
	v_cmp_lt_i16_e64 s7, v11, v10
	v_perm_b32 v10, v3, v3, 0x7060405
	v_and_or_b32 v12, 0xffff, v2, v12
	s_delay_alu instid0(VALU_DEP_4) | instskip(NEXT) | instid1(VALU_DEP_3)
	v_and_or_b32 v9, 0xffff, v0, v9
	v_cndmask_b32_e64 v3, v3, v10, s8
	s_delay_alu instid0(VALU_DEP_3) | instskip(NEXT) | instid1(VALU_DEP_3)
	v_cndmask_b32_e64 v2, v2, v12, s7
	v_cndmask_b32_e64 v0, v0, v9, s7
	s_delay_alu instid0(VALU_DEP_3) | instskip(NEXT) | instid1(VALU_DEP_3)
	v_lshrrev_b32_e32 v11, 24, v3
	v_lshrrev_b32_e32 v9, 16, v2
	;; [unrolled: 1-line block ×4, first 2 shown]
	v_perm_b32 v13, v0, v0, 0x7050604
	v_bfe_i32 v11, v11, 0, 8
	v_bfe_i32 v9, v9, 0, 8
	;; [unrolled: 1-line block ×4, first 2 shown]
	v_perm_b32 v14, v2, v2, 0x7050604
	s_delay_alu instid0(VALU_DEP_3) | instskip(SKIP_3) | instid1(VALU_DEP_4)
	v_cmp_lt_i16_e64 s7, v9, v10
	v_perm_b32 v9, v1, v1, 0x6070504
	v_perm_b32 v10, v3, v3, 0x6070504
	v_cmp_lt_i16_e64 s8, v11, v12
	v_cndmask_b32_e64 v0, v0, v13, s7
	v_cndmask_b32_e64 v2, v2, v14, s7
	s_delay_alu instid0(VALU_DEP_3) | instskip(SKIP_1) | instid1(VALU_DEP_4)
	v_cndmask_b32_e64 v1, v1, v9, s8
	v_cndmask_b32_e64 v3, v3, v10, s8
	v_lshrrev_b32_e32 v9, 16, v0
	s_delay_alu instid0(VALU_DEP_4) | instskip(NEXT) | instid1(VALU_DEP_4)
	v_lshrrev_b32_e32 v10, 16, v2
	v_lshlrev_b16 v11, 8, v1
	s_delay_alu instid0(VALU_DEP_4) | instskip(NEXT) | instid1(VALU_DEP_4)
	v_lshlrev_b16 v12, 8, v3
	v_and_b32_e32 v9, 0xff, v9
	s_delay_alu instid0(VALU_DEP_4) | instskip(NEXT) | instid1(VALU_DEP_2)
	v_and_b32_e32 v10, 0xff, v10
	v_or_b32_e32 v9, v9, v11
	s_delay_alu instid0(VALU_DEP_2) | instskip(SKIP_2) | instid1(VALU_DEP_4)
	v_or_b32_e32 v10, v10, v12
	v_lshrrev_b32_e32 v11, 24, v2
	v_bfe_i32 v12, v3, 0, 8
	v_lshlrev_b32_e32 v9, 16, v9
	s_delay_alu instid0(VALU_DEP_4) | instskip(NEXT) | instid1(VALU_DEP_4)
	v_lshlrev_b32_e32 v10, 16, v10
	v_bfe_i32 v11, v11, 0, 8
	s_delay_alu instid0(VALU_DEP_3) | instskip(NEXT) | instid1(VALU_DEP_3)
	v_and_or_b32 v9, 0xffff, v0, v9
	v_and_or_b32 v10, 0xffff, v2, v10
	s_delay_alu instid0(VALU_DEP_3) | instskip(SKIP_1) | instid1(VALU_DEP_2)
	v_cmp_lt_i16_e64 s7, v12, v11
	v_perm_b32 v11, v0, v1, 0x3020107
	v_cndmask_b32_e64 v0, v0, v9, s7
	s_delay_alu instid0(VALU_DEP_4) | instskip(SKIP_1) | instid1(VALU_DEP_4)
	v_cndmask_b32_e64 v9, v2, v10, s7
	v_perm_b32 v2, v2, v3, 0x3020107
	v_cndmask_b32_e64 v1, v1, v11, s7
	s_delay_alu instid0(VALU_DEP_3) | instskip(NEXT) | instid1(VALU_DEP_3)
	v_lshrrev_b32_e32 v10, 8, v9
	v_cndmask_b32_e64 v2, v3, v2, s7
	v_perm_b32 v3, 0, v0, 0xc0c0001
	v_perm_b32 v11, 0, v9, 0xc0c0001
	v_bfe_i32 v12, v9, 0, 8
	v_bfe_i32 v10, v10, 0, 8
	v_lshrrev_b32_e32 v13, 16, v2
	v_lshrrev_b32_e32 v14, 8, v2
	v_and_or_b32 v3, 0xffff0000, v0, v3
	v_and_or_b32 v11, 0xffff0000, v9, v11
	v_cmp_lt_i16_e64 s7, v10, v12
	v_bfe_i32 v10, v13, 0, 8
	v_bfe_i32 v12, v14, 0, 8
	v_perm_b32 v13, v2, v2, 0x7050604
	s_delay_alu instid0(VALU_DEP_4) | instskip(SKIP_3) | instid1(VALU_DEP_4)
	v_cndmask_b32_e64 v0, v0, v3, s7
	v_cndmask_b32_e64 v3, v9, v11, s7
	v_perm_b32 v9, v1, v1, 0x7050604
	v_cmp_lt_i16_e64 s7, v10, v12
	v_lshrrev_b32_e32 v10, 16, v0
	s_delay_alu instid0(VALU_DEP_4) | instskip(NEXT) | instid1(VALU_DEP_3)
	v_lshrrev_b32_e32 v11, 16, v3
	v_cndmask_b32_e64 v1, v1, v9, s7
	v_cndmask_b32_e64 v2, v2, v13, s7
	v_lshrrev_b32_e32 v9, 24, v3
	s_delay_alu instid0(VALU_DEP_4)
	v_perm_b32 v12, 0, v11, 0xc0c0001
	v_perm_b32 v10, 0, v10, 0xc0c0001
	v_bfe_i32 v11, v11, 0, 8
	v_lshrrev_b32_e32 v14, 8, v2
	v_bfe_i32 v9, v9, 0, 8
	v_lshlrev_b32_e32 v12, 16, v12
	v_lshlrev_b32_e32 v10, 16, v10
	v_bfe_i32 v15, v2, 0, 8
	v_bfe_i32 v14, v14, 0, 8
	v_cmp_lt_i16_e64 s7, v9, v11
	v_and_or_b32 v12, 0xffff, v3, v12
	v_and_or_b32 v10, 0xffff, v0, v10
	v_perm_b32 v9, v2, v2, 0x7060405
	v_cmp_lt_i16_e64 s8, v14, v15
	v_perm_b32 v13, v1, v1, 0x7060405
	v_cndmask_b32_e64 v3, v3, v12, s7
	v_cndmask_b32_e64 v0, v0, v10, s7
	s_delay_alu instid0(VALU_DEP_4) | instskip(NEXT) | instid1(VALU_DEP_4)
	v_cndmask_b32_e64 v2, v2, v9, s8
	v_cndmask_b32_e64 v1, v1, v13, s8
	s_delay_alu instid0(VALU_DEP_4)
	v_lshrrev_b32_e32 v9, 16, v3
	v_lshrrev_b32_e32 v10, 8, v3
	v_perm_b32 v13, v0, v0, 0x7050604
	v_lshrrev_b32_e32 v11, 24, v2
	v_lshrrev_b32_e32 v12, 16, v2
	v_bfe_i32 v9, v9, 0, 8
	v_bfe_i32 v10, v10, 0, 8
	v_perm_b32 v14, v3, v3, 0x7050604
	v_bfe_i32 v11, v11, 0, 8
	v_bfe_i32 v12, v12, 0, 8
	s_delay_alu instid0(VALU_DEP_4) | instskip(SKIP_2) | instid1(VALU_DEP_4)
	v_cmp_lt_i16_e64 s7, v9, v10
	v_perm_b32 v9, v1, v1, 0x6070504
	v_perm_b32 v10, v2, v2, 0x6070504
	v_cmp_lt_i16_e64 s8, v11, v12
	s_delay_alu instid0(VALU_DEP_4) | instskip(SKIP_1) | instid1(VALU_DEP_3)
	v_cndmask_b32_e64 v0, v0, v13, s7
	v_cndmask_b32_e64 v3, v3, v14, s7
	;; [unrolled: 1-line block ×4, first 2 shown]
	s_delay_alu instid0(VALU_DEP_4) | instskip(NEXT) | instid1(VALU_DEP_4)
	v_lshrrev_b32_e32 v9, 16, v0
	v_lshrrev_b32_e32 v10, 16, v3
	s_delay_alu instid0(VALU_DEP_4) | instskip(NEXT) | instid1(VALU_DEP_4)
	v_lshlrev_b16 v11, 8, v1
	v_lshlrev_b16 v12, 8, v2
	s_delay_alu instid0(VALU_DEP_4) | instskip(NEXT) | instid1(VALU_DEP_4)
	v_and_b32_e32 v9, 0xff, v9
	v_and_b32_e32 v10, 0xff, v10
	s_delay_alu instid0(VALU_DEP_2) | instskip(NEXT) | instid1(VALU_DEP_2)
	v_or_b32_e32 v9, v9, v11
	v_or_b32_e32 v10, v10, v12
	v_lshrrev_b32_e32 v11, 24, v3
	v_bfe_i32 v12, v2, 0, 8
	s_delay_alu instid0(VALU_DEP_4) | instskip(NEXT) | instid1(VALU_DEP_4)
	v_lshlrev_b32_e32 v9, 16, v9
	v_lshlrev_b32_e32 v10, 16, v10
	s_delay_alu instid0(VALU_DEP_4) | instskip(NEXT) | instid1(VALU_DEP_3)
	v_bfe_i32 v11, v11, 0, 8
	v_and_or_b32 v9, 0xffff, v0, v9
	s_delay_alu instid0(VALU_DEP_3) | instskip(NEXT) | instid1(VALU_DEP_3)
	v_and_or_b32 v10, 0xffff, v3, v10
	v_cmp_lt_i16_e64 s7, v12, v11
	v_perm_b32 v11, v0, v1, 0x3020107
	s_delay_alu instid0(VALU_DEP_2) | instskip(NEXT) | instid1(VALU_DEP_4)
	v_cndmask_b32_e64 v0, v0, v9, s7
	v_cndmask_b32_e64 v9, v3, v10, s7
	v_perm_b32 v3, v3, v2, 0x3020107
	s_delay_alu instid0(VALU_DEP_4) | instskip(NEXT) | instid1(VALU_DEP_3)
	v_cndmask_b32_e64 v1, v1, v11, s7
	v_lshrrev_b32_e32 v10, 8, v9
	s_delay_alu instid0(VALU_DEP_3)
	v_cndmask_b32_e64 v2, v2, v3, s7
	v_perm_b32 v3, 0, v0, 0xc0c0001
	v_perm_b32 v11, 0, v9, 0xc0c0001
	v_bfe_i32 v12, v9, 0, 8
	v_bfe_i32 v10, v10, 0, 8
	v_lshrrev_b32_e32 v13, 16, v2
	v_lshrrev_b32_e32 v14, 8, v2
	v_and_or_b32 v3, 0xffff0000, v0, v3
	v_and_or_b32 v11, 0xffff0000, v9, v11
	v_cmp_lt_i16_e64 s7, v10, v12
	v_bfe_i32 v10, v13, 0, 8
	v_bfe_i32 v12, v14, 0, 8
	v_perm_b32 v13, v2, v2, 0x7050604
	s_delay_alu instid0(VALU_DEP_4) | instskip(SKIP_3) | instid1(VALU_DEP_4)
	v_cndmask_b32_e64 v0, v0, v3, s7
	v_cndmask_b32_e64 v3, v9, v11, s7
	v_perm_b32 v9, v1, v1, 0x7050604
	v_cmp_lt_i16_e64 s7, v10, v12
	v_lshrrev_b32_e32 v10, 16, v0
	s_delay_alu instid0(VALU_DEP_4) | instskip(NEXT) | instid1(VALU_DEP_3)
	v_lshrrev_b32_e32 v11, 16, v3
	v_cndmask_b32_e64 v1, v1, v9, s7
	v_cndmask_b32_e64 v2, v2, v13, s7
	v_lshrrev_b32_e32 v9, 24, v3
	s_delay_alu instid0(VALU_DEP_4)
	v_perm_b32 v12, 0, v11, 0xc0c0001
	v_perm_b32 v10, 0, v10, 0xc0c0001
	v_bfe_i32 v11, v11, 0, 8
	v_lshrrev_b32_e32 v14, 8, v2
	v_bfe_i32 v9, v9, 0, 8
	v_lshlrev_b32_e32 v12, 16, v12
	v_lshlrev_b32_e32 v10, 16, v10
	v_bfe_i32 v15, v2, 0, 8
	v_bfe_i32 v14, v14, 0, 8
	v_cmp_lt_i16_e64 s7, v9, v11
	v_and_or_b32 v12, 0xffff, v3, v12
	v_and_or_b32 v10, 0xffff, v0, v10
	v_perm_b32 v9, v2, v2, 0x7060405
	v_cmp_lt_i16_e64 s8, v14, v15
	v_perm_b32 v13, v1, v1, 0x7060405
	v_cndmask_b32_e64 v3, v3, v12, s7
	v_cndmask_b32_e64 v0, v0, v10, s7
	s_delay_alu instid0(VALU_DEP_4) | instskip(NEXT) | instid1(VALU_DEP_4)
	v_cndmask_b32_e64 v2, v2, v9, s8
	v_cndmask_b32_e64 v1, v1, v13, s8
	s_delay_alu instid0(VALU_DEP_4)
	v_lshrrev_b32_e32 v9, 16, v3
	v_lshrrev_b32_e32 v10, 8, v3
	v_perm_b32 v13, v0, v0, 0x7050604
	v_lshrrev_b32_e32 v11, 24, v2
	v_lshrrev_b32_e32 v12, 16, v2
	v_bfe_i32 v9, v9, 0, 8
	v_bfe_i32 v10, v10, 0, 8
	v_perm_b32 v14, v3, v3, 0x7050604
	v_bfe_i32 v11, v11, 0, 8
	v_bfe_i32 v12, v12, 0, 8
	s_delay_alu instid0(VALU_DEP_4) | instskip(SKIP_2) | instid1(VALU_DEP_4)
	v_cmp_lt_i16_e64 s7, v9, v10
	v_perm_b32 v9, v1, v1, 0x6070504
	v_perm_b32 v10, v2, v2, 0x6070504
	v_cmp_lt_i16_e64 s8, v11, v12
	s_delay_alu instid0(VALU_DEP_4) | instskip(SKIP_1) | instid1(VALU_DEP_3)
	v_cndmask_b32_e64 v0, v0, v13, s7
	v_cndmask_b32_e64 v3, v3, v14, s7
	;; [unrolled: 1-line block ×4, first 2 shown]
	s_delay_alu instid0(VALU_DEP_4) | instskip(NEXT) | instid1(VALU_DEP_4)
	v_lshrrev_b32_e32 v9, 16, v0
	v_lshrrev_b32_e32 v10, 16, v3
	s_delay_alu instid0(VALU_DEP_4) | instskip(NEXT) | instid1(VALU_DEP_4)
	v_lshlrev_b16 v11, 8, v1
	v_lshlrev_b16 v12, 8, v2
	s_delay_alu instid0(VALU_DEP_4) | instskip(NEXT) | instid1(VALU_DEP_4)
	v_and_b32_e32 v9, 0xff, v9
	v_and_b32_e32 v10, 0xff, v10
	s_delay_alu instid0(VALU_DEP_2) | instskip(NEXT) | instid1(VALU_DEP_2)
	v_or_b32_e32 v9, v9, v11
	v_or_b32_e32 v10, v10, v12
	v_lshrrev_b32_e32 v11, 24, v3
	v_bfe_i32 v12, v2, 0, 8
	s_delay_alu instid0(VALU_DEP_4) | instskip(NEXT) | instid1(VALU_DEP_4)
	v_lshlrev_b32_e32 v9, 16, v9
	v_lshlrev_b32_e32 v10, 16, v10
	s_delay_alu instid0(VALU_DEP_4) | instskip(NEXT) | instid1(VALU_DEP_3)
	v_bfe_i32 v11, v11, 0, 8
	v_and_or_b32 v9, 0xffff, v0, v9
	s_delay_alu instid0(VALU_DEP_3) | instskip(NEXT) | instid1(VALU_DEP_3)
	v_and_or_b32 v10, 0xffff, v3, v10
	v_cmp_lt_i16_e64 s7, v12, v11
	v_perm_b32 v11, v0, v1, 0x3020107
	s_delay_alu instid0(VALU_DEP_2) | instskip(NEXT) | instid1(VALU_DEP_4)
	v_cndmask_b32_e64 v0, v0, v9, s7
	v_cndmask_b32_e64 v9, v3, v10, s7
	v_perm_b32 v3, v3, v2, 0x3020107
	s_delay_alu instid0(VALU_DEP_4) | instskip(NEXT) | instid1(VALU_DEP_3)
	v_cndmask_b32_e64 v1, v1, v11, s7
	v_lshrrev_b32_e32 v10, 8, v9
	s_delay_alu instid0(VALU_DEP_3)
	v_cndmask_b32_e64 v2, v2, v3, s7
	v_perm_b32 v3, 0, v0, 0xc0c0001
	v_perm_b32 v11, 0, v9, 0xc0c0001
	v_bfe_i32 v12, v9, 0, 8
	v_bfe_i32 v10, v10, 0, 8
	v_lshrrev_b32_e32 v13, 16, v2
	v_lshrrev_b32_e32 v14, 8, v2
	v_and_or_b32 v3, 0xffff0000, v0, v3
	v_and_or_b32 v11, 0xffff0000, v9, v11
	v_cmp_lt_i16_e64 s7, v10, v12
	v_bfe_i32 v10, v13, 0, 8
	v_bfe_i32 v12, v14, 0, 8
	v_perm_b32 v13, v2, v2, 0x7050604
	s_delay_alu instid0(VALU_DEP_4) | instskip(SKIP_3) | instid1(VALU_DEP_4)
	v_cndmask_b32_e64 v0, v0, v3, s7
	v_cndmask_b32_e64 v3, v9, v11, s7
	v_perm_b32 v9, v1, v1, 0x7050604
	v_cmp_lt_i16_e64 s7, v10, v12
	v_lshrrev_b32_e32 v10, 16, v0
	s_delay_alu instid0(VALU_DEP_4) | instskip(NEXT) | instid1(VALU_DEP_3)
	v_lshrrev_b32_e32 v11, 16, v3
	v_cndmask_b32_e64 v1, v1, v9, s7
	v_cndmask_b32_e64 v2, v2, v13, s7
	v_lshrrev_b32_e32 v9, 24, v3
	s_delay_alu instid0(VALU_DEP_4)
	v_perm_b32 v12, 0, v11, 0xc0c0001
	v_perm_b32 v10, 0, v10, 0xc0c0001
	v_bfe_i32 v11, v11, 0, 8
	v_lshrrev_b32_e32 v13, 8, v2
	v_bfe_i32 v9, v9, 0, 8
	v_lshlrev_b32_e32 v12, 16, v12
	v_lshlrev_b32_e32 v10, 16, v10
	v_bfe_i32 v14, v2, 0, 8
	v_bfe_i32 v13, v13, 0, 8
	v_cmp_lt_i16_e64 s7, v9, v11
	v_and_or_b32 v12, 0xffff, v3, v12
	v_and_or_b32 v10, 0xffff, v0, v10
	v_perm_b32 v9, v1, v1, 0x7060405
	v_perm_b32 v11, v2, v2, 0x7060405
	v_cmp_lt_i16_e64 s8, v13, v14
	v_cndmask_b32_e64 v3, v3, v12, s7
	v_cndmask_b32_e64 v0, v0, v10, s7
	s_delay_alu instid0(VALU_DEP_3) | instskip(SKIP_1) | instid1(VALU_DEP_4)
	v_cndmask_b32_e64 v1, v1, v9, s8
	v_cndmask_b32_e64 v2, v2, v11, s8
	v_lshrrev_b32_e32 v9, 16, v3
	v_lshrrev_b32_e32 v10, 8, v3
	v_perm_b32 v13, v0, v0, 0x7050604
	v_perm_b32 v14, v1, v1, 0x6070504
	v_lshrrev_b32_e32 v11, 24, v2
	v_lshrrev_b32_e32 v12, 16, v2
	v_bfe_i32 v9, v9, 0, 8
	v_bfe_i32 v10, v10, 0, 8
	s_delay_alu instid0(VALU_DEP_4) | instskip(NEXT) | instid1(VALU_DEP_4)
	v_bfe_i32 v11, v11, 0, 8
	v_bfe_i32 v12, v12, 0, 8
	s_delay_alu instid0(VALU_DEP_3) | instskip(SKIP_1) | instid1(VALU_DEP_3)
	v_cmp_lt_i16_e64 s7, v9, v10
	v_perm_b32 v10, v3, v3, 0x7050604
	v_cmp_lt_i16_e64 s8, v11, v12
	v_perm_b32 v11, v2, v2, 0x6070504
	s_delay_alu instid0(VALU_DEP_4) | instskip(NEXT) | instid1(VALU_DEP_4)
	v_cndmask_b32_e64 v9, v0, v13, s7
	v_cndmask_b32_e64 v3, v3, v10, s7
	s_delay_alu instid0(VALU_DEP_4) | instskip(NEXT) | instid1(VALU_DEP_4)
	v_cndmask_b32_e64 v1, v1, v14, s8
	v_cndmask_b32_e64 v2, v2, v11, s8
	s_delay_alu instid0(VALU_DEP_4) | instskip(NEXT) | instid1(VALU_DEP_4)
	v_lshrrev_b32_e32 v0, 16, v9
	v_lshrrev_b32_e32 v10, 24, v3
	;; [unrolled: 1-line block ×3, first 2 shown]
	v_lshlrev_b16 v12, 8, v1
	v_bfe_i32 v11, v2, 0, 8
	v_and_b32_e32 v0, 0xff, v0
	v_bfe_i32 v10, v10, 0, 8
	s_delay_alu instid0(VALU_DEP_2) | instskip(SKIP_1) | instid1(VALU_DEP_3)
	v_or_b32_e32 v0, v0, v12
	v_perm_b32 v12, v3, v2, 0x3020107
	v_cmp_lt_i16_e64 s7, v11, v10
	v_lshlrev_b16 v10, 8, v2
	v_and_b32_e32 v11, 0xff, v13
	v_lshlrev_b32_e32 v0, 16, v0
	s_delay_alu instid0(VALU_DEP_4) | instskip(NEXT) | instid1(VALU_DEP_3)
	v_cndmask_b32_e64 v12, v2, v12, s7
	v_or_b32_e32 v2, v11, v10
	s_delay_alu instid0(VALU_DEP_3) | instskip(NEXT) | instid1(VALU_DEP_3)
	v_and_or_b32 v0, 0xffff, v9, v0
	v_lshrrev_b32_e32 v10, 16, v12
	v_lshrrev_b32_e32 v11, 8, v12
	s_delay_alu instid0(VALU_DEP_4) | instskip(NEXT) | instid1(VALU_DEP_4)
	v_lshlrev_b32_e32 v2, 16, v2
	v_cndmask_b32_e64 v0, v9, v0, s7
	v_perm_b32 v9, v9, v1, 0x3020107
	s_delay_alu instid0(VALU_DEP_3) | instskip(NEXT) | instid1(VALU_DEP_2)
	v_and_or_b32 v2, 0xffff, v3, v2
	v_cndmask_b32_e64 v1, v1, v9, s7
	v_bfe_i32 v9, v10, 0, 8
	v_bfe_i32 v10, v11, 0, 8
	v_perm_b32 v11, v12, v12, 0x7050604
	v_cndmask_b32_e64 v2, v3, v2, s7
	v_perm_b32 v13, v1, v1, 0x7050604
	s_delay_alu instid0(VALU_DEP_4) | instskip(NEXT) | instid1(VALU_DEP_1)
	v_cmp_lt_i16_e64 s8, v9, v10
	v_cndmask_b32_e64 v1, v1, v13, s8
	v_cndmask_b32_e64 v3, v12, v11, s8
.LBB59_18:
	s_or_b32 exec_lo, exec_lo, s9
	v_and_b32_e32 v9, 16, v8
	v_and_b32_e32 v12, 8, v8
	s_mov_b32 s8, exec_lo
	; wave barrier
	s_delay_alu instid0(VALU_DEP_2) | instskip(NEXT) | instid1(VALU_DEP_1)
	v_min_i32_e32 v10, v6, v9
	v_add_nc_u32_e32 v9, 8, v10
	s_delay_alu instid0(VALU_DEP_1) | instskip(NEXT) | instid1(VALU_DEP_1)
	v_min_i32_e32 v9, v6, v9
	v_add_nc_u32_e32 v11, 8, v9
	v_sub_nc_u32_e32 v14, v9, v10
	s_delay_alu instid0(VALU_DEP_2) | instskip(SKIP_1) | instid1(VALU_DEP_2)
	v_min_i32_e32 v8, v6, v11
	v_min_i32_e32 v11, v6, v12
	v_sub_nc_u32_e32 v12, v8, v9
	s_delay_alu instid0(VALU_DEP_1) | instskip(SKIP_1) | instid1(VALU_DEP_1)
	v_sub_nc_u32_e32 v13, v11, v12
	v_cmp_ge_i32_e64 s7, v11, v12
	v_cndmask_b32_e64 v12, 0, v13, s7
	v_min_i32_e32 v13, v11, v14
	v_mad_u32_u24 v14, v7, 33, v4
	v_mul_u32_u24_e32 v7, 33, v7
	ds_store_b64 v14, v[2:3]
	; wave barrier
	v_cmpx_lt_i32_e64 v12, v13
	s_cbranch_execz .LBB59_22
; %bb.19:
	v_add_nc_u32_e32 v2, v7, v10
	v_add3_u32 v3, v7, v9, v11
	s_mov_b32 s9, 0
	.p2align	6
.LBB59_20:                              ; =>This Inner Loop Header: Depth=1
	v_sub_nc_u32_e32 v14, v13, v12
	s_delay_alu instid0(VALU_DEP_1) | instskip(NEXT) | instid1(VALU_DEP_1)
	v_lshrrev_b32_e32 v15, 31, v14
	v_add_nc_u32_e32 v14, v14, v15
	s_delay_alu instid0(VALU_DEP_1) | instskip(NEXT) | instid1(VALU_DEP_1)
	v_ashrrev_i32_e32 v14, 1, v14
	v_add_nc_u32_e32 v14, v14, v12
	s_delay_alu instid0(VALU_DEP_1)
	v_add_nc_u32_e32 v15, v2, v14
	v_xad_u32 v16, v14, -1, v3
	v_add_nc_u32_e32 v17, 1, v14
	ds_load_i8 v15, v15
	ds_load_i8 v16, v16
	s_waitcnt lgkmcnt(0)
	v_cmp_lt_i16_e64 s7, v16, v15
	s_delay_alu instid0(VALU_DEP_1) | instskip(SKIP_1) | instid1(VALU_DEP_1)
	v_cndmask_b32_e64 v13, v13, v14, s7
	v_cndmask_b32_e64 v12, v17, v12, s7
	v_cmp_ge_i32_e64 s7, v12, v13
	s_delay_alu instid0(VALU_DEP_1) | instskip(NEXT) | instid1(SALU_CYCLE_1)
	s_or_b32 s9, s7, s9
	s_and_not1_b32 exec_lo, exec_lo, s9
	s_cbranch_execnz .LBB59_20
; %bb.21:
	s_or_b32 exec_lo, exec_lo, s9
.LBB59_22:
	s_delay_alu instid0(SALU_CYCLE_1) | instskip(SKIP_2) | instid1(VALU_DEP_2)
	s_or_b32 exec_lo, exec_lo, s8
	v_add_nc_u32_e32 v3, v9, v11
	v_add_nc_u32_e32 v2, v12, v10
	v_sub_nc_u32_e32 v3, v3, v12
	s_delay_alu instid0(VALU_DEP_2) | instskip(SKIP_1) | instid1(VALU_DEP_3)
	v_add_nc_u32_e32 v13, v7, v2
	v_cmp_le_i32_e64 s7, v9, v2
                                        ; implicit-def: $vgpr12
	v_add_nc_u32_e32 v14, v7, v3
	v_cmp_gt_i32_e64 s9, v8, v3
	ds_load_u8 v10, v13
	ds_load_u8 v11, v14
	s_waitcnt lgkmcnt(1)
	v_bfe_i32 v10, v10, 0, 8
	s_waitcnt lgkmcnt(0)
	v_bfe_i32 v11, v11, 0, 8
	s_delay_alu instid0(VALU_DEP_1) | instskip(NEXT) | instid1(VALU_DEP_1)
	v_cmp_lt_i16_e64 s8, v11, v10
	s_or_b32 s7, s7, s8
	s_delay_alu instid0(SALU_CYCLE_1) | instskip(NEXT) | instid1(SALU_CYCLE_1)
	s_and_b32 s7, s9, s7
	s_xor_b32 s8, s7, -1
	s_delay_alu instid0(SALU_CYCLE_1) | instskip(NEXT) | instid1(SALU_CYCLE_1)
	s_and_saveexec_b32 s9, s8
	s_xor_b32 s8, exec_lo, s9
	s_cbranch_execz .LBB59_24
; %bb.23:
	ds_load_u8 v12, v13 offset:1
                                        ; implicit-def: $vgpr14
.LBB59_24:
	s_or_saveexec_b32 s8, s8
	v_mov_b32_e32 v13, v11
	s_xor_b32 exec_lo, exec_lo, s8
	s_cbranch_execz .LBB59_26
; %bb.25:
	ds_load_u8 v13, v14 offset:1
	s_waitcnt lgkmcnt(1)
	v_mov_b32_e32 v12, v10
.LBB59_26:
	s_or_b32 exec_lo, exec_lo, s8
	v_add_nc_u32_e32 v14, 1, v2
	v_add_nc_u32_e32 v15, 1, v3
	s_waitcnt lgkmcnt(0)
	v_bfe_i32 v16, v12, 0, 8
	v_bfe_i32 v17, v13, 0, 8
	v_cndmask_b32_e64 v14, v14, v2, s7
	v_cndmask_b32_e64 v15, v3, v15, s7
	s_delay_alu instid0(VALU_DEP_3) | instskip(NEXT) | instid1(VALU_DEP_3)
	v_cmp_lt_i16_e64 s9, v17, v16
                                        ; implicit-def: $vgpr16
	v_cmp_ge_i32_e64 s8, v14, v9
	s_delay_alu instid0(VALU_DEP_3) | instskip(NEXT) | instid1(VALU_DEP_2)
	v_cmp_lt_i32_e64 s10, v15, v8
	s_or_b32 s8, s8, s9
	s_delay_alu instid0(VALU_DEP_1) | instid1(SALU_CYCLE_1)
	s_and_b32 s8, s10, s8
	s_delay_alu instid0(SALU_CYCLE_1) | instskip(NEXT) | instid1(SALU_CYCLE_1)
	s_xor_b32 s9, s8, -1
	s_and_saveexec_b32 s10, s9
	s_delay_alu instid0(SALU_CYCLE_1)
	s_xor_b32 s9, exec_lo, s10
	s_cbranch_execz .LBB59_28
; %bb.27:
	v_add_nc_u32_e32 v16, v7, v14
	ds_load_u8 v16, v16 offset:1
.LBB59_28:
	s_or_saveexec_b32 s9, s9
	v_mov_b32_e32 v17, v13
	s_xor_b32 exec_lo, exec_lo, s9
	s_cbranch_execz .LBB59_30
; %bb.29:
	s_waitcnt lgkmcnt(0)
	v_add_nc_u32_e32 v16, v7, v15
	ds_load_u8 v17, v16 offset:1
	v_mov_b32_e32 v16, v12
.LBB59_30:
	s_or_b32 exec_lo, exec_lo, s9
	v_add_nc_u32_e32 v18, 1, v14
	v_add_nc_u32_e32 v19, 1, v15
	s_waitcnt lgkmcnt(0)
	v_bfe_i32 v20, v16, 0, 8
	v_bfe_i32 v21, v17, 0, 8
	v_cndmask_b32_e64 v18, v18, v14, s8
	v_cndmask_b32_e64 v19, v15, v19, s8
	s_delay_alu instid0(VALU_DEP_3) | instskip(NEXT) | instid1(VALU_DEP_3)
	v_cmp_lt_i16_e64 s10, v21, v20
                                        ; implicit-def: $vgpr20
	v_cmp_ge_i32_e64 s9, v18, v9
	s_delay_alu instid0(VALU_DEP_3) | instskip(NEXT) | instid1(VALU_DEP_2)
	v_cmp_lt_i32_e64 s11, v19, v8
	s_or_b32 s9, s9, s10
	s_delay_alu instid0(VALU_DEP_1) | instid1(SALU_CYCLE_1)
	s_and_b32 s9, s11, s9
	s_delay_alu instid0(SALU_CYCLE_1) | instskip(NEXT) | instid1(SALU_CYCLE_1)
	s_xor_b32 s10, s9, -1
	s_and_saveexec_b32 s11, s10
	s_delay_alu instid0(SALU_CYCLE_1)
	s_xor_b32 s10, exec_lo, s11
	s_cbranch_execz .LBB59_32
; %bb.31:
	v_add_nc_u32_e32 v20, v7, v18
	ds_load_u8 v20, v20 offset:1
.LBB59_32:
	s_or_saveexec_b32 s10, s10
	v_mov_b32_e32 v21, v17
	s_xor_b32 exec_lo, exec_lo, s10
	s_cbranch_execz .LBB59_34
; %bb.33:
	s_waitcnt lgkmcnt(0)
	v_add_nc_u32_e32 v20, v7, v19
	ds_load_u8 v21, v20 offset:1
	v_mov_b32_e32 v20, v16
.LBB59_34:
	s_or_b32 exec_lo, exec_lo, s10
	v_add_nc_u32_e32 v22, 1, v18
	v_add_nc_u32_e32 v23, 1, v19
	s_waitcnt lgkmcnt(0)
	v_bfe_i32 v24, v20, 0, 8
	v_bfe_i32 v25, v21, 0, 8
	v_cndmask_b32_e64 v22, v22, v18, s9
	v_cndmask_b32_e64 v23, v19, v23, s9
	s_delay_alu instid0(VALU_DEP_3) | instskip(NEXT) | instid1(VALU_DEP_3)
	v_cmp_lt_i16_e64 s11, v25, v24
                                        ; implicit-def: $vgpr24
	v_cmp_ge_i32_e64 s10, v22, v9
	s_delay_alu instid0(VALU_DEP_3) | instskip(NEXT) | instid1(VALU_DEP_2)
	v_cmp_lt_i32_e64 s12, v23, v8
	s_or_b32 s10, s10, s11
	s_delay_alu instid0(VALU_DEP_1) | instid1(SALU_CYCLE_1)
	s_and_b32 s10, s12, s10
	s_delay_alu instid0(SALU_CYCLE_1) | instskip(NEXT) | instid1(SALU_CYCLE_1)
	s_xor_b32 s11, s10, -1
	s_and_saveexec_b32 s12, s11
	s_delay_alu instid0(SALU_CYCLE_1)
	s_xor_b32 s11, exec_lo, s12
	s_cbranch_execz .LBB59_36
; %bb.35:
	v_add_nc_u32_e32 v24, v7, v22
	ds_load_u8 v24, v24 offset:1
.LBB59_36:
	s_or_saveexec_b32 s11, s11
	v_mov_b32_e32 v25, v21
	s_xor_b32 exec_lo, exec_lo, s11
	s_cbranch_execz .LBB59_38
; %bb.37:
	s_waitcnt lgkmcnt(0)
	v_add_nc_u32_e32 v24, v7, v23
	ds_load_u8 v25, v24 offset:1
	v_mov_b32_e32 v24, v20
.LBB59_38:
	s_or_b32 exec_lo, exec_lo, s11
	v_add_nc_u32_e32 v26, 1, v22
	v_add_nc_u32_e32 v27, 1, v23
	s_waitcnt lgkmcnt(0)
	v_bfe_i32 v28, v24, 0, 8
	v_bfe_i32 v29, v25, 0, 8
	v_cndmask_b32_e64 v26, v26, v22, s10
	v_cndmask_b32_e64 v27, v23, v27, s10
	s_delay_alu instid0(VALU_DEP_3) | instskip(NEXT) | instid1(VALU_DEP_3)
	v_cmp_lt_i16_e64 s12, v29, v28
                                        ; implicit-def: $vgpr28
	v_cmp_ge_i32_e64 s11, v26, v9
	s_delay_alu instid0(VALU_DEP_3) | instskip(NEXT) | instid1(VALU_DEP_2)
	v_cmp_lt_i32_e64 s13, v27, v8
	s_or_b32 s11, s11, s12
	s_delay_alu instid0(VALU_DEP_1) | instid1(SALU_CYCLE_1)
	s_and_b32 s11, s13, s11
	s_delay_alu instid0(SALU_CYCLE_1) | instskip(NEXT) | instid1(SALU_CYCLE_1)
	s_xor_b32 s12, s11, -1
	s_and_saveexec_b32 s13, s12
	s_delay_alu instid0(SALU_CYCLE_1)
	s_xor_b32 s12, exec_lo, s13
	s_cbranch_execz .LBB59_40
; %bb.39:
	v_add_nc_u32_e32 v28, v7, v26
	ds_load_u8 v28, v28 offset:1
.LBB59_40:
	s_or_saveexec_b32 s12, s12
	v_mov_b32_e32 v29, v25
	s_xor_b32 exec_lo, exec_lo, s12
	s_cbranch_execz .LBB59_42
; %bb.41:
	s_waitcnt lgkmcnt(0)
	v_add_nc_u32_e32 v28, v7, v27
	ds_load_u8 v29, v28 offset:1
	v_mov_b32_e32 v28, v24
.LBB59_42:
	s_or_b32 exec_lo, exec_lo, s12
	v_add_nc_u32_e32 v30, 1, v26
	v_add_nc_u32_e32 v31, 1, v27
	s_waitcnt lgkmcnt(0)
	v_bfe_i32 v32, v28, 0, 8
	v_bfe_i32 v33, v29, 0, 8
	v_cndmask_b32_e64 v30, v30, v26, s11
	v_cndmask_b32_e64 v31, v27, v31, s11
	s_delay_alu instid0(VALU_DEP_3) | instskip(NEXT) | instid1(VALU_DEP_3)
	v_cmp_lt_i16_e64 s13, v33, v32
                                        ; implicit-def: $vgpr32
	v_cmp_ge_i32_e64 s12, v30, v9
	s_delay_alu instid0(VALU_DEP_3) | instskip(NEXT) | instid1(VALU_DEP_2)
	v_cmp_lt_i32_e64 s14, v31, v8
	s_or_b32 s12, s12, s13
	s_delay_alu instid0(VALU_DEP_1) | instid1(SALU_CYCLE_1)
	s_and_b32 s12, s14, s12
	s_delay_alu instid0(SALU_CYCLE_1) | instskip(NEXT) | instid1(SALU_CYCLE_1)
	s_xor_b32 s13, s12, -1
	s_and_saveexec_b32 s14, s13
	s_delay_alu instid0(SALU_CYCLE_1)
	s_xor_b32 s13, exec_lo, s14
	s_cbranch_execz .LBB59_44
; %bb.43:
	v_add_nc_u32_e32 v32, v7, v30
	ds_load_u8 v32, v32 offset:1
.LBB59_44:
	s_or_saveexec_b32 s13, s13
	v_mov_b32_e32 v34, v29
	s_xor_b32 exec_lo, exec_lo, s13
	s_cbranch_execz .LBB59_46
; %bb.45:
	s_waitcnt lgkmcnt(0)
	v_add_nc_u32_e32 v32, v7, v31
	ds_load_u8 v34, v32 offset:1
	v_mov_b32_e32 v32, v28
.LBB59_46:
	s_or_b32 exec_lo, exec_lo, s13
	v_add_nc_u32_e32 v33, 1, v30
	v_add_nc_u32_e32 v35, 1, v31
	s_waitcnt lgkmcnt(0)
	v_bfe_i32 v38, v32, 0, 8
	s_delay_alu instid0(VALU_DEP_3) | instskip(SKIP_2) | instid1(VALU_DEP_3)
	v_cndmask_b32_e64 v36, v33, v30, s12
	v_bfe_i32 v33, v34, 0, 8
	v_cndmask_b32_e64 v37, v31, v35, s12
	v_cmp_ge_i32_e64 s13, v36, v9
	s_delay_alu instid0(VALU_DEP_3) | instskip(NEXT) | instid1(VALU_DEP_3)
	v_cmp_lt_i16_e64 s14, v33, v38
	v_cmp_lt_i32_e64 s15, v37, v8
                                        ; implicit-def: $vgpr33
	s_delay_alu instid0(VALU_DEP_2)
	s_or_b32 s13, s13, s14
	s_delay_alu instid0(VALU_DEP_1) | instid1(SALU_CYCLE_1)
	s_and_b32 s13, s15, s13
	s_delay_alu instid0(SALU_CYCLE_1) | instskip(NEXT) | instid1(SALU_CYCLE_1)
	s_xor_b32 s14, s13, -1
	s_and_saveexec_b32 s15, s14
	s_delay_alu instid0(SALU_CYCLE_1)
	s_xor_b32 s14, exec_lo, s15
	s_cbranch_execz .LBB59_48
; %bb.47:
	v_add_nc_u32_e32 v33, v7, v36
	ds_load_u8 v33, v33 offset:1
.LBB59_48:
	s_or_saveexec_b32 s14, s14
	v_mov_b32_e32 v35, v34
	s_xor_b32 exec_lo, exec_lo, s14
	s_cbranch_execz .LBB59_50
; %bb.49:
	s_waitcnt lgkmcnt(0)
	v_add_nc_u32_e32 v33, v7, v37
	ds_load_u8 v35, v33 offset:1
	v_mov_b32_e32 v33, v32
.LBB59_50:
	s_or_b32 exec_lo, exec_lo, s14
	v_add_nc_u32_e32 v39, 1, v36
	v_add_nc_u32_e32 v38, 1, v37
	v_cndmask_b32_e64 v32, v32, v34, s13
	v_cndmask_b32_e64 v34, v36, v37, s13
	;; [unrolled: 1-line block ×5, first 2 shown]
	s_waitcnt lgkmcnt(0)
	v_bfe_i32 v22, v33, 0, 8
	v_bfe_i32 v23, v35, 0, 8
	v_cndmask_b32_e64 v37, v37, v38, s13
	v_cndmask_b32_e64 v16, v16, v17, s9
	;; [unrolled: 1-line block ×3, first 2 shown]
	v_cmp_ge_i32_e64 s9, v36, v9
	v_cmp_lt_i16_e64 s10, v23, v22
	v_cndmask_b32_e64 v9, v14, v15, s8
	v_cndmask_b32_e64 v3, v2, v3, s7
	v_add_nc_u32_e32 v2, v7, v4
	v_min_i32_e32 v15, 0, v6
	v_cndmask_b32_e64 v12, v12, v13, s8
	v_cmp_lt_i32_e64 s8, v37, v8
	v_cndmask_b32_e64 v8, v10, v11, s7
	s_or_b32 s7, s9, s10
	; wave barrier
	ds_store_b64 v2, v[0:1]
	v_add_nc_u32_e32 v0, 16, v15
	s_and_b32 s7, s8, s7
	v_cndmask_b32_e64 v28, v28, v29, s12
	v_cndmask_b32_e64 v29, v30, v31, s12
	;; [unrolled: 1-line block ×5, first 2 shown]
	v_add_nc_u32_e32 v1, v7, v3
	v_add_nc_u32_e32 v3, v7, v9
	v_min_i32_e32 v0, v6, v0
	v_add_nc_u32_e32 v9, v7, v17
	v_add_nc_u32_e32 v11, v7, v21
	;; [unrolled: 1-line block ×4, first 2 shown]
	; wave barrier
	v_add_nc_u32_e32 v17, v7, v34
	v_add_nc_u32_e32 v19, v7, v10
	v_lshlrev_b16 v21, 8, v12
	v_and_b32_e32 v22, 0xff, v8
	ds_load_u8 v8, v1
	ds_load_u8 v10, v3
	;; [unrolled: 1-line block ×8, first 2 shown]
	v_cndmask_b32_e64 v18, v33, v35, s7
	v_lshlrev_b16 v3, 8, v20
	v_and_b32_e32 v16, 0xff, v16
	v_add_nc_u32_e32 v17, 16, v0
	v_or_b32_e32 v19, v22, v21
	v_lshlrev_b16 v20, 8, v28
	v_and_b32_e32 v21, 0xff, v24
	v_or_b32_e32 v16, v16, v3
	v_min_i32_e32 v3, v6, v17
	v_and_b32_e32 v17, 0xff, v32
	v_lshlrev_b16 v18, 8, v18
	v_or_b32_e32 v20, v21, v20
	v_min_i32_e32 v6, v6, v4
	v_sub_nc_u32_e32 v21, v3, v0
	v_and_b32_e32 v19, 0xffff, v19
	v_or_b32_e32 v17, v17, v18
	v_lshlrev_b32_e32 v16, 16, v16
	v_and_b32_e32 v20, 0xffff, v20
	v_sub_nc_u32_e32 v22, v6, v21
	v_sub_nc_u32_e32 v23, v0, v15
	v_lshlrev_b32_e32 v24, 16, v17
	v_cmp_ge_i32_e64 s7, v6, v21
	v_or_b32_e32 v18, v19, v16
	s_mov_b32 s9, 0
	v_min_i32_e32 v17, v6, v23
	v_or_b32_e32 v19, v20, v24
	v_cndmask_b32_e64 v16, 0, v22, s7
	s_mov_b32 s8, exec_lo
	; wave barrier
	ds_store_b64 v2, v[18:19]
	; wave barrier
	v_cmpx_lt_i32_e64 v16, v17
	s_cbranch_execz .LBB59_54
; %bb.51:
	v_add_nc_u32_e32 v18, v7, v15
	v_add3_u32 v19, v7, v0, v6
	.p2align	6
.LBB59_52:                              ; =>This Inner Loop Header: Depth=1
	v_sub_nc_u32_e32 v20, v17, v16
	s_delay_alu instid0(VALU_DEP_1) | instskip(NEXT) | instid1(VALU_DEP_1)
	v_lshrrev_b32_e32 v21, 31, v20
	v_add_nc_u32_e32 v20, v20, v21
	s_delay_alu instid0(VALU_DEP_1) | instskip(NEXT) | instid1(VALU_DEP_1)
	v_ashrrev_i32_e32 v20, 1, v20
	v_add_nc_u32_e32 v20, v20, v16
	s_delay_alu instid0(VALU_DEP_1)
	v_add_nc_u32_e32 v21, v18, v20
	v_xad_u32 v22, v20, -1, v19
	v_add_nc_u32_e32 v23, 1, v20
	ds_load_i8 v21, v21
	ds_load_i8 v22, v22
	s_waitcnt lgkmcnt(0)
	v_cmp_lt_i16_e64 s7, v22, v21
	s_delay_alu instid0(VALU_DEP_1) | instskip(SKIP_1) | instid1(VALU_DEP_1)
	v_cndmask_b32_e64 v17, v17, v20, s7
	v_cndmask_b32_e64 v16, v23, v16, s7
	v_cmp_ge_i32_e64 s7, v16, v17
	s_delay_alu instid0(VALU_DEP_1) | instskip(NEXT) | instid1(SALU_CYCLE_1)
	s_or_b32 s9, s7, s9
	s_and_not1_b32 exec_lo, exec_lo, s9
	s_cbranch_execnz .LBB59_52
; %bb.53:
	s_or_b32 exec_lo, exec_lo, s9
.LBB59_54:
	s_delay_alu instid0(SALU_CYCLE_1) | instskip(SKIP_2) | instid1(VALU_DEP_2)
	s_or_b32 exec_lo, exec_lo, s8
	v_add_nc_u32_e32 v17, v0, v6
	v_add_nc_u32_e32 v6, v16, v15
                                        ; implicit-def: $vgpr20
	v_sub_nc_u32_e32 v15, v17, v16
	s_delay_alu instid0(VALU_DEP_2) | instskip(SKIP_1) | instid1(VALU_DEP_3)
	v_add_nc_u32_e32 v19, v7, v6
	v_cmp_le_i32_e64 s7, v0, v6
	v_add_nc_u32_e32 v18, v7, v15
	v_cmp_gt_i32_e64 s9, v3, v15
	ds_load_u8 v16, v19
	ds_load_u8 v17, v18
	s_waitcnt lgkmcnt(1)
	v_bfe_i32 v16, v16, 0, 8
	s_waitcnt lgkmcnt(0)
	v_bfe_i32 v17, v17, 0, 8
	s_delay_alu instid0(VALU_DEP_1) | instskip(NEXT) | instid1(VALU_DEP_1)
	v_cmp_lt_i16_e64 s8, v17, v16
	s_or_b32 s7, s7, s8
	s_delay_alu instid0(SALU_CYCLE_1) | instskip(NEXT) | instid1(SALU_CYCLE_1)
	s_and_b32 s7, s9, s7
	s_xor_b32 s8, s7, -1
	s_delay_alu instid0(SALU_CYCLE_1) | instskip(NEXT) | instid1(SALU_CYCLE_1)
	s_and_saveexec_b32 s9, s8
	s_xor_b32 s8, exec_lo, s9
	s_cbranch_execz .LBB59_56
; %bb.55:
	ds_load_u8 v20, v19 offset:1
                                        ; implicit-def: $vgpr18
.LBB59_56:
	s_or_saveexec_b32 s8, s8
	v_mov_b32_e32 v21, v17
	s_xor_b32 exec_lo, exec_lo, s8
	s_cbranch_execz .LBB59_58
; %bb.57:
	ds_load_u8 v21, v18 offset:1
	s_waitcnt lgkmcnt(1)
	v_mov_b32_e32 v20, v16
.LBB59_58:
	s_or_b32 exec_lo, exec_lo, s8
	v_add_nc_u32_e32 v18, 1, v6
	v_add_nc_u32_e32 v19, 1, v15
	s_waitcnt lgkmcnt(0)
	v_bfe_i32 v24, v20, 0, 8
	s_delay_alu instid0(VALU_DEP_3) | instskip(SKIP_2) | instid1(VALU_DEP_3)
	v_cndmask_b32_e64 v22, v18, v6, s7
	v_bfe_i32 v18, v21, 0, 8
	v_cndmask_b32_e64 v23, v15, v19, s7
	v_cmp_ge_i32_e64 s8, v22, v0
	s_delay_alu instid0(VALU_DEP_3) | instskip(NEXT) | instid1(VALU_DEP_3)
	v_cmp_lt_i16_e64 s9, v18, v24
	v_cmp_lt_i32_e64 s10, v23, v3
                                        ; implicit-def: $vgpr24
	s_delay_alu instid0(VALU_DEP_2)
	s_or_b32 s8, s8, s9
	s_delay_alu instid0(VALU_DEP_1) | instid1(SALU_CYCLE_1)
	s_and_b32 s9, s10, s8
	s_delay_alu instid0(SALU_CYCLE_1) | instskip(NEXT) | instid1(SALU_CYCLE_1)
	s_xor_b32 s8, s9, -1
	s_and_saveexec_b32 s10, s8
	s_delay_alu instid0(SALU_CYCLE_1)
	s_xor_b32 s8, exec_lo, s10
	s_cbranch_execz .LBB59_60
; %bb.59:
	v_add_nc_u32_e32 v18, v7, v22
	ds_load_u8 v24, v18 offset:1
.LBB59_60:
	s_or_saveexec_b32 s8, s8
	v_mov_b32_e32 v25, v21
	s_xor_b32 exec_lo, exec_lo, s8
	s_cbranch_execz .LBB59_62
; %bb.61:
	v_add_nc_u32_e32 v18, v7, v23
	s_waitcnt lgkmcnt(0)
	v_mov_b32_e32 v24, v20
	ds_load_u8 v25, v18 offset:1
.LBB59_62:
	s_or_b32 exec_lo, exec_lo, s8
	v_add_nc_u32_e32 v18, 1, v22
	v_add_nc_u32_e32 v19, 1, v23
	s_waitcnt lgkmcnt(0)
	v_bfe_i32 v26, v24, 0, 8
	v_bfe_i32 v27, v25, 0, 8
	v_cndmask_b32_e64 v18, v18, v22, s9
	v_cndmask_b32_e64 v19, v23, v19, s9
	s_delay_alu instid0(VALU_DEP_3) | instskip(NEXT) | instid1(VALU_DEP_3)
	v_cmp_lt_i16_e64 s10, v27, v26
                                        ; implicit-def: $vgpr26
	v_cmp_ge_i32_e64 s8, v18, v0
	s_delay_alu instid0(VALU_DEP_3) | instskip(NEXT) | instid1(VALU_DEP_2)
	v_cmp_lt_i32_e64 s11, v19, v3
	s_or_b32 s8, s8, s10
	s_delay_alu instid0(VALU_DEP_1) | instid1(SALU_CYCLE_1)
	s_and_b32 s8, s11, s8
	s_delay_alu instid0(SALU_CYCLE_1) | instskip(NEXT) | instid1(SALU_CYCLE_1)
	s_xor_b32 s10, s8, -1
	s_and_saveexec_b32 s11, s10
	s_delay_alu instid0(SALU_CYCLE_1)
	s_xor_b32 s10, exec_lo, s11
	s_cbranch_execz .LBB59_64
; %bb.63:
	v_add_nc_u32_e32 v26, v7, v18
	ds_load_u8 v26, v26 offset:1
.LBB59_64:
	s_or_saveexec_b32 s10, s10
	v_mov_b32_e32 v27, v25
	s_xor_b32 exec_lo, exec_lo, s10
	s_cbranch_execz .LBB59_66
; %bb.65:
	s_waitcnt lgkmcnt(0)
	v_add_nc_u32_e32 v26, v7, v19
	ds_load_u8 v27, v26 offset:1
	v_mov_b32_e32 v26, v24
.LBB59_66:
	s_or_b32 exec_lo, exec_lo, s10
	v_add_nc_u32_e32 v28, 1, v18
	v_add_nc_u32_e32 v29, 1, v19
	s_waitcnt lgkmcnt(0)
	v_bfe_i32 v30, v26, 0, 8
	v_bfe_i32 v31, v27, 0, 8
	v_cndmask_b32_e64 v28, v28, v18, s8
	v_cndmask_b32_e64 v29, v19, v29, s8
	s_delay_alu instid0(VALU_DEP_3) | instskip(NEXT) | instid1(VALU_DEP_3)
	v_cmp_lt_i16_e64 s11, v31, v30
                                        ; implicit-def: $vgpr30
	v_cmp_ge_i32_e64 s10, v28, v0
	s_delay_alu instid0(VALU_DEP_3) | instskip(NEXT) | instid1(VALU_DEP_2)
	v_cmp_lt_i32_e64 s12, v29, v3
	s_or_b32 s10, s10, s11
	s_delay_alu instid0(VALU_DEP_1) | instid1(SALU_CYCLE_1)
	s_and_b32 s10, s12, s10
	s_delay_alu instid0(SALU_CYCLE_1) | instskip(NEXT) | instid1(SALU_CYCLE_1)
	s_xor_b32 s11, s10, -1
	s_and_saveexec_b32 s12, s11
	s_delay_alu instid0(SALU_CYCLE_1)
	s_xor_b32 s11, exec_lo, s12
	s_cbranch_execz .LBB59_68
; %bb.67:
	v_add_nc_u32_e32 v30, v7, v28
	ds_load_u8 v30, v30 offset:1
.LBB59_68:
	s_or_saveexec_b32 s11, s11
	v_mov_b32_e32 v31, v27
	s_xor_b32 exec_lo, exec_lo, s11
	s_cbranch_execz .LBB59_70
; %bb.69:
	s_waitcnt lgkmcnt(0)
	v_add_nc_u32_e32 v30, v7, v29
	ds_load_u8 v31, v30 offset:1
	v_mov_b32_e32 v30, v26
.LBB59_70:
	s_or_b32 exec_lo, exec_lo, s11
	v_add_nc_u32_e32 v32, 1, v28
	v_add_nc_u32_e32 v33, 1, v29
	s_waitcnt lgkmcnt(0)
	v_bfe_i32 v34, v30, 0, 8
	v_bfe_i32 v35, v31, 0, 8
	v_cndmask_b32_e64 v32, v32, v28, s10
	v_cndmask_b32_e64 v33, v29, v33, s10
	s_delay_alu instid0(VALU_DEP_3) | instskip(NEXT) | instid1(VALU_DEP_3)
	v_cmp_lt_i16_e64 s12, v35, v34
                                        ; implicit-def: $vgpr35
	v_cmp_ge_i32_e64 s11, v32, v0
	s_delay_alu instid0(VALU_DEP_3) | instskip(NEXT) | instid1(VALU_DEP_2)
	v_cmp_lt_i32_e64 s13, v33, v3
	s_or_b32 s11, s11, s12
	s_delay_alu instid0(VALU_DEP_1) | instid1(SALU_CYCLE_1)
	s_and_b32 s11, s13, s11
	s_delay_alu instid0(SALU_CYCLE_1) | instskip(NEXT) | instid1(SALU_CYCLE_1)
	s_xor_b32 s12, s11, -1
	s_and_saveexec_b32 s13, s12
	s_delay_alu instid0(SALU_CYCLE_1)
	s_xor_b32 s12, exec_lo, s13
	s_cbranch_execz .LBB59_72
; %bb.71:
	v_add_nc_u32_e32 v34, v7, v32
	ds_load_u8 v35, v34 offset:1
.LBB59_72:
	s_or_saveexec_b32 s12, s12
	v_mov_b32_e32 v36, v31
	s_xor_b32 exec_lo, exec_lo, s12
	s_cbranch_execz .LBB59_74
; %bb.73:
	s_waitcnt lgkmcnt(0)
	v_dual_mov_b32 v35, v30 :: v_dual_add_nc_u32 v34, v7, v33
	ds_load_u8 v36, v34 offset:1
.LBB59_74:
	s_or_b32 exec_lo, exec_lo, s12
	v_add_nc_u32_e32 v34, 1, v32
	v_add_nc_u32_e32 v37, 1, v33
	s_waitcnt lgkmcnt(0)
	v_bfe_i32 v38, v35, 0, 8
                                        ; implicit-def: $vgpr43
	s_delay_alu instid0(VALU_DEP_3) | instskip(SKIP_2) | instid1(VALU_DEP_3)
	v_cndmask_b32_e64 v40, v34, v32, s11
	v_bfe_i32 v34, v36, 0, 8
	v_cndmask_b32_e64 v41, v33, v37, s11
	v_cmp_ge_i32_e64 s12, v40, v0
	s_delay_alu instid0(VALU_DEP_3) | instskip(NEXT) | instid1(VALU_DEP_3)
	v_cmp_lt_i16_e64 s13, v34, v38
	v_cmp_lt_i32_e64 s14, v41, v3
	s_delay_alu instid0(VALU_DEP_2)
	s_or_b32 s12, s12, s13
	s_delay_alu instid0(VALU_DEP_1) | instid1(SALU_CYCLE_1)
	s_and_b32 s12, s14, s12
	s_delay_alu instid0(SALU_CYCLE_1) | instskip(NEXT) | instid1(SALU_CYCLE_1)
	s_xor_b32 s13, s12, -1
	s_and_saveexec_b32 s14, s13
	s_delay_alu instid0(SALU_CYCLE_1)
	s_xor_b32 s13, exec_lo, s14
	s_cbranch_execz .LBB59_76
; %bb.75:
	v_add_nc_u32_e32 v34, v7, v40
	ds_load_u8 v43, v34 offset:1
.LBB59_76:
	s_or_saveexec_b32 s13, s13
	v_mov_b32_e32 v44, v36
	s_xor_b32 exec_lo, exec_lo, s13
	s_cbranch_execz .LBB59_78
; %bb.77:
	v_add_nc_u32_e32 v34, v7, v41
	s_waitcnt lgkmcnt(0)
	v_mov_b32_e32 v43, v35
	ds_load_u8 v44, v34 offset:1
.LBB59_78:
	s_or_b32 exec_lo, exec_lo, s13
	v_add_nc_u32_e32 v34, 1, v40
	v_add_nc_u32_e32 v37, 1, v41
	s_waitcnt lgkmcnt(0)
	v_bfe_i32 v38, v43, 0, 8
	v_bfe_i32 v39, v44, 0, 8
	v_cndmask_b32_e64 v45, v34, v40, s12
	v_cndmask_b32_e64 v34, v41, v37, s12
                                        ; implicit-def: $vgpr37
	s_delay_alu instid0(VALU_DEP_3) | instskip(NEXT) | instid1(VALU_DEP_3)
	v_cmp_lt_i16_e64 s14, v39, v38
                                        ; implicit-def: $vgpr38
	v_cmp_ge_i32_e64 s13, v45, v0
	s_delay_alu instid0(VALU_DEP_3) | instskip(NEXT) | instid1(VALU_DEP_2)
	v_cmp_lt_i32_e64 s15, v34, v3
	s_or_b32 s13, s13, s14
	s_delay_alu instid0(VALU_DEP_1) | instid1(SALU_CYCLE_1)
	s_and_b32 s13, s15, s13
	s_delay_alu instid0(SALU_CYCLE_1) | instskip(NEXT) | instid1(SALU_CYCLE_1)
	s_xor_b32 s14, s13, -1
	s_and_saveexec_b32 s15, s14
	s_delay_alu instid0(SALU_CYCLE_1)
	s_xor_b32 s14, exec_lo, s15
	s_cbranch_execz .LBB59_80
; %bb.79:
	v_add_nc_u32_e32 v37, v7, v45
	ds_load_u8 v38, v37 offset:1
	v_add_nc_u32_e32 v37, 1, v45
.LBB59_80:
	s_or_saveexec_b32 s14, s14
	v_dual_mov_b32 v39, v45 :: v_dual_mov_b32 v42, v44
	s_xor_b32 exec_lo, exec_lo, s14
	s_cbranch_execz .LBB59_82
; %bb.81:
	s_waitcnt lgkmcnt(0)
	v_dual_mov_b32 v39, v34 :: v_dual_add_nc_u32 v38, 1, v34
	s_delay_alu instid0(VALU_DEP_1)
	v_dual_mov_b32 v34, v38 :: v_dual_add_nc_u32 v37, v7, v34
	v_mov_b32_e32 v38, v43
	ds_load_u8 v42, v37 offset:1
	v_mov_b32_e32 v37, v45
.LBB59_82:
	s_or_b32 exec_lo, exec_lo, s14
	v_lshlrev_b16 v14, 8, v14
	v_and_b32_e32 v12, 0xff, v12
	v_lshlrev_b16 v13, 8, v13
	v_and_b32_e32 v11, 0xff, v11
	;; [unrolled: 2-line block ×4, first 2 shown]
	v_or_b32_e32 v12, v12, v14
	v_or_b32_e32 v11, v11, v13
	;; [unrolled: 1-line block ×3, first 2 shown]
	v_cndmask_b32_e64 v6, v6, v15, s7
	v_or_b32_e32 v1, v1, v9
	v_and_b32_e32 v10, 0xffff, v12
	v_lshlrev_b32_e32 v11, 16, v11
	v_and_b32_e32 v8, 0xffff, v8
	v_cndmask_b32_e64 v16, v16, v17, s7
	v_lshlrev_b32_e32 v12, 16, v1
	v_cndmask_b32_e64 v17, v20, v21, s9
	v_cndmask_b32_e64 v22, v22, v23, s9
	v_cmp_lt_i32_e64 s7, v34, v3
	v_cmp_ge_i32_e64 s9, v37, v0
	v_or_b32_e32 v1, v10, v11
	v_or_b32_e32 v0, v8, v12
	v_add_nc_u32_e32 v3, v7, v6
	; wave barrier
	s_waitcnt lgkmcnt(0)
	v_bfe_i32 v9, v38, 0, 8
	ds_store_b64 v2, v[0:1]
	; wave barrier
	ds_load_u8 v0, v3
	v_bfe_i32 v13, v42, 0, 8
	v_cndmask_b32_e64 v21, v26, v27, s10
	v_cndmask_b32_e64 v28, v28, v29, s10
	;; [unrolled: 1-line block ×4, first 2 shown]
	v_cmp_lt_i16_e64 s10, v13, v9
	v_cndmask_b32_e64 v24, v30, v31, s11
	v_cndmask_b32_e64 v30, v32, v33, s11
	;; [unrolled: 1-line block ×3, first 2 shown]
	v_add_nc_u32_e32 v6, v7, v22
	s_or_b32 s9, s9, s10
	v_add_nc_u32_e32 v1, v7, v1
	s_and_b32 s7, s7, s9
	v_add_nc_u32_e32 v8, v7, v28
	v_cndmask_b32_e64 v3, v37, v34, s7
	v_add_nc_u32_e32 v9, v7, v30
	v_add_nc_u32_e32 v10, v7, v27
	;; [unrolled: 1-line block ×3, first 2 shown]
	v_and_b32_e32 v12, 0xff, v16
	s_waitcnt lgkmcnt(0)
	v_add_nc_u16 v0, v0, v16
	v_add_nc_u32_e32 v3, v7, v3
	ds_load_u8 v6, v6
	ds_load_u8 v1, v1
	ds_load_u8 v7, v8
	ds_load_u8 v8, v9
	ds_load_u8 v9, v10
	ds_load_u8 v10, v11
	ds_load_u8 v3, v3
	v_lshlrev_b16 v11, 8, v17
	v_lshlrev_b16 v13, 8, v21
	v_and_b32_e32 v14, 0xff, v20
	v_and_b32_e32 v0, 0xff, v0
	v_cndmask_b32_e64 v25, v35, v36, s12
	v_cndmask_b32_e64 v26, v43, v44, s13
	;; [unrolled: 1-line block ×3, first 2 shown]
	v_or_b32_e32 v12, v12, v11
	v_or_b32_e32 v13, v14, v13
	v_or_b32_e32 v0, v0, v11
	v_lshlrev_b16 v15, 8, v25
	v_and_b32_e32 v16, 0xff, v24
	v_and_b32_e32 v11, 0xff, v26
	v_lshlrev_b16 v2, 8, v2
	v_and_b32_e32 v12, 0xffff, v12
	v_lshlrev_b32_e32 v13, 16, v13
	v_and_b32_e32 v0, 0xffff, v0
	v_or_b32_e32 v14, v16, v15
	v_or_b32_e32 v2, v11, v2
	v_add_co_u32 v5, s7, s18, v5
	v_or_b32_e32 v11, v12, v13
	v_or_b32_e32 v0, v0, v13
	v_and_b32_e32 v12, 0xffff, v14
	v_lshlrev_b32_e32 v2, 16, v2
	s_waitcnt lgkmcnt(3)
	v_add_nc_u16 v8, v14, v8
	v_cndmask_b32_e32 v0, v11, v0, vcc_lo
	s_delay_alu instid0(VALU_DEP_3) | instskip(NEXT) | instid1(VALU_DEP_2)
	v_or_b32_e32 v2, v12, v2
	v_lshrrev_b32_e32 v11, 8, v0
	s_delay_alu instid0(VALU_DEP_2) | instskip(NEXT) | instid1(VALU_DEP_2)
	v_perm_b32 v8, v8, v2, 0x3020104
	v_add_nc_u16 v6, v11, v6
	s_delay_alu instid0(VALU_DEP_2) | instskip(SKIP_1) | instid1(VALU_DEP_3)
	v_cndmask_b32_e64 v2, v2, v8, s3
	v_and_b32_e32 v8, 0xff, v0
	v_lshlrev_b16 v6, 8, v6
	s_delay_alu instid0(VALU_DEP_3) | instskip(NEXT) | instid1(VALU_DEP_2)
	v_lshrrev_b32_e32 v11, 8, v2
	v_or_b32_e32 v6, v8, v6
	s_waitcnt lgkmcnt(2)
	s_delay_alu instid0(VALU_DEP_2) | instskip(SKIP_1) | instid1(VALU_DEP_3)
	v_add_nc_u16 v8, v11, v9
	v_and_b32_e32 v9, 0xff, v2
	v_and_b32_e32 v6, 0xffff, v6
	s_delay_alu instid0(VALU_DEP_3) | instskip(NEXT) | instid1(VALU_DEP_2)
	v_lshlrev_b16 v8, 8, v8
	v_and_or_b32 v6, 0xffff0000, v0, v6
	s_delay_alu instid0(VALU_DEP_2) | instskip(NEXT) | instid1(VALU_DEP_2)
	v_or_b32_e32 v8, v9, v8
	v_cndmask_b32_e64 v0, v0, v6, s0
	s_delay_alu instid0(VALU_DEP_2) | instskip(NEXT) | instid1(VALU_DEP_2)
	v_and_b32_e32 v6, 0xffff, v8
	v_lshrrev_b32_e32 v8, 16, v0
	s_delay_alu instid0(VALU_DEP_2) | instskip(NEXT) | instid1(VALU_DEP_2)
	v_and_or_b32 v6, 0xffff0000, v2, v6
	v_add_nc_u16 v1, v8, v1
	s_delay_alu instid0(VALU_DEP_2) | instskip(SKIP_1) | instid1(VALU_DEP_3)
	v_cndmask_b32_e64 v2, v2, v6, s4
	v_and_b32_e32 v6, 0xffffff00, v8
	v_and_b32_e32 v1, 0xff, v1
	s_delay_alu instid0(VALU_DEP_3) | instskip(NEXT) | instid1(VALU_DEP_2)
	v_lshrrev_b32_e32 v8, 16, v2
	v_or_b32_e32 v1, v1, v6
	s_waitcnt lgkmcnt(1)
	s_delay_alu instid0(VALU_DEP_2) | instskip(NEXT) | instid1(VALU_DEP_2)
	v_add_nc_u16 v6, v8, v10
	v_lshlrev_b32_e32 v1, 16, v1
	s_delay_alu instid0(VALU_DEP_2) | instskip(NEXT) | instid1(VALU_DEP_2)
	v_perm_b32 v6, v2, v6, 0x7000504
	v_and_or_b32 v1, 0xffff, v0, v1
	s_delay_alu instid0(VALU_DEP_2) | instskip(NEXT) | instid1(VALU_DEP_2)
	v_cndmask_b32_e64 v2, v2, v6, s5
	v_cndmask_b32_e64 v0, v0, v1, s1
	s_delay_alu instid0(VALU_DEP_2) | instskip(SKIP_1) | instid1(VALU_DEP_3)
	v_lshrrev_b32_e32 v1, 24, v2
	v_lshrrev_b32_e32 v8, 16, v2
	;; [unrolled: 1-line block ×3, first 2 shown]
	s_waitcnt lgkmcnt(0)
	s_delay_alu instid0(VALU_DEP_3) | instskip(SKIP_1) | instid1(VALU_DEP_3)
	v_add_nc_u16 v1, v1, v3
	v_lshrrev_b32_e32 v3, 16, v0
	v_add_nc_u16 v6, v6, v7
	v_and_b32_e32 v7, 0xff, v8
	s_delay_alu instid0(VALU_DEP_4) | instskip(NEXT) | instid1(VALU_DEP_4)
	v_lshlrev_b16 v1, 8, v1
	v_and_b32_e32 v3, 0xff, v3
	s_delay_alu instid0(VALU_DEP_4) | instskip(NEXT) | instid1(VALU_DEP_3)
	v_lshlrev_b16 v6, 8, v6
	v_or_b32_e32 v1, v7, v1
	s_delay_alu instid0(VALU_DEP_2) | instskip(SKIP_1) | instid1(VALU_DEP_3)
	v_or_b32_e32 v3, v3, v6
	v_add_co_ci_u32_e64 v6, null, s19, 0, s7
	v_lshlrev_b32_e32 v1, 16, v1
	s_delay_alu instid0(VALU_DEP_3) | instskip(NEXT) | instid1(VALU_DEP_2)
	v_lshlrev_b32_e32 v3, 16, v3
	v_and_or_b32 v1, 0xffff, v2, v1
	s_delay_alu instid0(VALU_DEP_2) | instskip(NEXT) | instid1(VALU_DEP_2)
	v_and_or_b32 v3, 0xffff, v0, v3
	v_cndmask_b32_e64 v2, v2, v1, s6
	s_delay_alu instid0(VALU_DEP_2) | instskip(SKIP_1) | instid1(VALU_DEP_1)
	v_cndmask_b32_e64 v3, v0, v3, s2
	v_add_co_u32 v0, s7, v5, v4
	v_add_co_ci_u32_e64 v1, s7, 0, v6, s7
	s_and_saveexec_b32 s7, vcc_lo
	s_cbranch_execnz .LBB59_91
; %bb.83:
	s_or_b32 exec_lo, exec_lo, s7
	s_and_saveexec_b32 s7, s0
	s_cbranch_execnz .LBB59_92
.LBB59_84:
	s_or_b32 exec_lo, exec_lo, s7
	s_and_saveexec_b32 s0, s1
	s_cbranch_execnz .LBB59_93
.LBB59_85:
	s_or_b32 exec_lo, exec_lo, s0
	s_and_saveexec_b32 s0, s2
	s_cbranch_execnz .LBB59_94
.LBB59_86:
	s_or_b32 exec_lo, exec_lo, s0
	s_and_saveexec_b32 s0, s3
	s_cbranch_execnz .LBB59_95
.LBB59_87:
	s_or_b32 exec_lo, exec_lo, s0
	s_and_saveexec_b32 s0, s4
	s_cbranch_execnz .LBB59_96
.LBB59_88:
	s_or_b32 exec_lo, exec_lo, s0
	s_and_saveexec_b32 s0, s5
	s_cbranch_execnz .LBB59_97
.LBB59_89:
	s_or_b32 exec_lo, exec_lo, s0
	s_and_saveexec_b32 s0, s6
	s_cbranch_execnz .LBB59_98
.LBB59_90:
	s_nop 0
	s_sendmsg sendmsg(MSG_DEALLOC_VGPRS)
	s_endpgm
.LBB59_91:
	global_store_b8 v[0:1], v3, off
	s_or_b32 exec_lo, exec_lo, s7
	s_and_saveexec_b32 s7, s0
	s_cbranch_execz .LBB59_84
.LBB59_92:
	v_lshrrev_b32_e32 v4, 8, v3
	global_store_b8 v[0:1], v4, off offset:1
	s_or_b32 exec_lo, exec_lo, s7
	s_and_saveexec_b32 s0, s1
	s_cbranch_execz .LBB59_85
.LBB59_93:
	global_store_d16_hi_b8 v[0:1], v3, off offset:2
	s_or_b32 exec_lo, exec_lo, s0
	s_and_saveexec_b32 s0, s2
	s_cbranch_execz .LBB59_86
.LBB59_94:
	v_lshrrev_b32_e32 v3, 24, v3
	global_store_b8 v[0:1], v3, off offset:3
	s_or_b32 exec_lo, exec_lo, s0
	s_and_saveexec_b32 s0, s3
	s_cbranch_execz .LBB59_87
.LBB59_95:
	global_store_b8 v[0:1], v2, off offset:4
	s_or_b32 exec_lo, exec_lo, s0
	s_and_saveexec_b32 s0, s4
	s_cbranch_execz .LBB59_88
.LBB59_96:
	v_lshrrev_b32_e32 v3, 8, v2
	global_store_b8 v[0:1], v3, off offset:5
	s_or_b32 exec_lo, exec_lo, s0
	s_and_saveexec_b32 s0, s5
	s_cbranch_execz .LBB59_89
.LBB59_97:
	global_store_d16_hi_b8 v[0:1], v2, off offset:6
	s_or_b32 exec_lo, exec_lo, s0
	s_and_saveexec_b32 s0, s6
	s_cbranch_execz .LBB59_90
.LBB59_98:
	v_lshrrev_b32_e32 v2, 24, v2
	global_store_b8 v[0:1], v2, off offset:7
	s_nop 0
	s_sendmsg sendmsg(MSG_DEALLOC_VGPRS)
	s_endpgm
	.section	.rodata,"a",@progbits
	.p2align	6, 0x0
	.amdhsa_kernel _Z20sort_pairs_segmentedILj256ELj4ELj8EaN10test_utils4lessEEvPKT2_PS2_PKjT3_
		.amdhsa_group_segment_fixed_size 2112
		.amdhsa_private_segment_fixed_size 0
		.amdhsa_kernarg_size 28
		.amdhsa_user_sgpr_count 15
		.amdhsa_user_sgpr_dispatch_ptr 0
		.amdhsa_user_sgpr_queue_ptr 0
		.amdhsa_user_sgpr_kernarg_segment_ptr 1
		.amdhsa_user_sgpr_dispatch_id 0
		.amdhsa_user_sgpr_private_segment_size 0
		.amdhsa_wavefront_size32 1
		.amdhsa_uses_dynamic_stack 0
		.amdhsa_enable_private_segment 0
		.amdhsa_system_sgpr_workgroup_id_x 1
		.amdhsa_system_sgpr_workgroup_id_y 0
		.amdhsa_system_sgpr_workgroup_id_z 0
		.amdhsa_system_sgpr_workgroup_info 0
		.amdhsa_system_vgpr_workitem_id 0
		.amdhsa_next_free_vgpr 46
		.amdhsa_next_free_sgpr 20
		.amdhsa_reserve_vcc 1
		.amdhsa_float_round_mode_32 0
		.amdhsa_float_round_mode_16_64 0
		.amdhsa_float_denorm_mode_32 3
		.amdhsa_float_denorm_mode_16_64 3
		.amdhsa_dx10_clamp 1
		.amdhsa_ieee_mode 1
		.amdhsa_fp16_overflow 0
		.amdhsa_workgroup_processor_mode 1
		.amdhsa_memory_ordered 1
		.amdhsa_forward_progress 0
		.amdhsa_shared_vgpr_count 0
		.amdhsa_exception_fp_ieee_invalid_op 0
		.amdhsa_exception_fp_denorm_src 0
		.amdhsa_exception_fp_ieee_div_zero 0
		.amdhsa_exception_fp_ieee_overflow 0
		.amdhsa_exception_fp_ieee_underflow 0
		.amdhsa_exception_fp_ieee_inexact 0
		.amdhsa_exception_int_div_zero 0
	.end_amdhsa_kernel
	.section	.text._Z20sort_pairs_segmentedILj256ELj4ELj8EaN10test_utils4lessEEvPKT2_PS2_PKjT3_,"axG",@progbits,_Z20sort_pairs_segmentedILj256ELj4ELj8EaN10test_utils4lessEEvPKT2_PS2_PKjT3_,comdat
.Lfunc_end59:
	.size	_Z20sort_pairs_segmentedILj256ELj4ELj8EaN10test_utils4lessEEvPKT2_PS2_PKjT3_, .Lfunc_end59-_Z20sort_pairs_segmentedILj256ELj4ELj8EaN10test_utils4lessEEvPKT2_PS2_PKjT3_
                                        ; -- End function
	.section	.AMDGPU.csdata,"",@progbits
; Kernel info:
; codeLenInByte = 8780
; NumSgprs: 22
; NumVgprs: 46
; ScratchSize: 0
; MemoryBound: 0
; FloatMode: 240
; IeeeMode: 1
; LDSByteSize: 2112 bytes/workgroup (compile time only)
; SGPRBlocks: 2
; VGPRBlocks: 5
; NumSGPRsForWavesPerEU: 22
; NumVGPRsForWavesPerEU: 46
; Occupancy: 16
; WaveLimiterHint : 0
; COMPUTE_PGM_RSRC2:SCRATCH_EN: 0
; COMPUTE_PGM_RSRC2:USER_SGPR: 15
; COMPUTE_PGM_RSRC2:TRAP_HANDLER: 0
; COMPUTE_PGM_RSRC2:TGID_X_EN: 1
; COMPUTE_PGM_RSRC2:TGID_Y_EN: 0
; COMPUTE_PGM_RSRC2:TGID_Z_EN: 0
; COMPUTE_PGM_RSRC2:TIDIG_COMP_CNT: 0
	.section	.text._Z9sort_keysILj256ELj16ELj1EaN10test_utils4lessEEvPKT2_PS2_T3_,"axG",@progbits,_Z9sort_keysILj256ELj16ELj1EaN10test_utils4lessEEvPKT2_PS2_T3_,comdat
	.protected	_Z9sort_keysILj256ELj16ELj1EaN10test_utils4lessEEvPKT2_PS2_T3_ ; -- Begin function _Z9sort_keysILj256ELj16ELj1EaN10test_utils4lessEEvPKT2_PS2_T3_
	.globl	_Z9sort_keysILj256ELj16ELj1EaN10test_utils4lessEEvPKT2_PS2_T3_
	.p2align	8
	.type	_Z9sort_keysILj256ELj16ELj1EaN10test_utils4lessEEvPKT2_PS2_T3_,@function
_Z9sort_keysILj256ELj16ELj1EaN10test_utils4lessEEvPKT2_PS2_T3_: ; @_Z9sort_keysILj256ELj16ELj1EaN10test_utils4lessEEvPKT2_PS2_T3_
; %bb.0:
	s_load_b128 s[0:3], s[0:1], 0x0
	s_lshl_b32 s4, s15, 8
	v_mbcnt_lo_u32_b32 v4, -1, 0
	v_lshrrev_b32_e32 v11, 4, v0
	s_delay_alu instid0(VALU_DEP_2) | instskip(SKIP_1) | instid1(VALU_DEP_2)
	v_and_b32_e32 v7, 14, v4
	v_and_b32_e32 v5, 1, v4
	v_or_b32_e32 v6, 1, v7
	s_delay_alu instid0(VALU_DEP_1)
	v_sub_nc_u32_e32 v1, v7, v6
	v_sub_nc_u32_e32 v3, v6, v7
	s_waitcnt lgkmcnt(0)
	s_add_u32 s0, s0, s4
	s_addc_u32 s1, s1, 0
	v_add_nc_u32_e32 v2, 2, v1
	global_load_u8 v10, v0, s[0:1]
	v_and_b32_e32 v1, 15, v4
	v_min_i32_e32 v8, v5, v3
	s_mov_b32 s0, 0
	v_sub_nc_u32_e32 v9, v5, v2
	v_cmp_ge_i32_e32 vcc_lo, v5, v2
	v_mad_u32_u24 v3, v11, 17, v1
	v_mul_u32_u24_e32 v2, 17, v11
	s_mov_b32 s1, exec_lo
	v_cndmask_b32_e32 v9, 0, v9, vcc_lo
	; wave barrier
	s_waitcnt vmcnt(0)
	ds_store_b8 v3, v10
	; wave barrier
	v_cmpx_lt_i32_e64 v9, v8
	s_cbranch_execz .LBB60_4
; %bb.1:
	v_add_nc_u32_e32 v10, v2, v7
	s_delay_alu instid0(VALU_DEP_1)
	v_add3_u32 v11, v10, v5, 1
	.p2align	6
.LBB60_2:                               ; =>This Inner Loop Header: Depth=1
	v_sub_nc_u32_e32 v12, v8, v9
	s_delay_alu instid0(VALU_DEP_1) | instskip(NEXT) | instid1(VALU_DEP_1)
	v_lshrrev_b32_e32 v13, 31, v12
	v_add_nc_u32_e32 v12, v12, v13
	s_delay_alu instid0(VALU_DEP_1) | instskip(NEXT) | instid1(VALU_DEP_1)
	v_ashrrev_i32_e32 v12, 1, v12
	v_add_nc_u32_e32 v12, v12, v9
	s_delay_alu instid0(VALU_DEP_1)
	v_add_nc_u32_e32 v13, v10, v12
	v_xad_u32 v14, v12, -1, v11
	v_add_nc_u32_e32 v15, 1, v12
	ds_load_i8 v13, v13
	ds_load_i8 v14, v14
	s_waitcnt lgkmcnt(0)
	v_cmp_lt_i16_e32 vcc_lo, v14, v13
	v_dual_cndmask_b32 v8, v8, v12 :: v_dual_cndmask_b32 v9, v15, v9
	s_delay_alu instid0(VALU_DEP_1) | instskip(SKIP_1) | instid1(SALU_CYCLE_1)
	v_cmp_ge_i32_e32 vcc_lo, v9, v8
	s_or_b32 s0, vcc_lo, s0
	s_and_not1_b32 exec_lo, exec_lo, s0
	s_cbranch_execnz .LBB60_2
; %bb.3:
	s_or_b32 exec_lo, exec_lo, s0
.LBB60_4:
	s_delay_alu instid0(SALU_CYCLE_1)
	s_or_b32 exec_lo, exec_lo, s1
	v_add_nc_u32_e32 v8, v7, v5
	v_add3_u32 v7, v2, v9, v7
	v_and_b32_e32 v10, 12, v4
	v_add_nc_u32_e32 v13, v6, v5
	v_cmp_lt_i32_e32 vcc_lo, 0, v9
	v_sub_nc_u32_e32 v8, v8, v9
	s_delay_alu instid0(VALU_DEP_4) | instskip(NEXT) | instid1(VALU_DEP_4)
	v_add_nc_u32_e32 v5, 4, v10
	v_sub_nc_u32_e32 v9, v13, v9
	s_delay_alu instid0(VALU_DEP_3)
	v_add_nc_u32_e32 v8, v2, v8
	ds_load_u8 v11, v7
	ds_load_u8 v12, v8 offset:1
	v_or_b32_e32 v7, 2, v10
	v_and_b32_e32 v8, 3, v4
	v_cmp_ge_i32_e64 s1, v6, v9
	; wave barrier
	s_delay_alu instid0(VALU_DEP_3) | instskip(SKIP_1) | instid1(VALU_DEP_1)
	v_sub_nc_u32_e32 v16, v5, v7
	v_sub_nc_u32_e32 v13, v7, v10
	v_min_i32_e32 v6, v8, v13
	s_waitcnt lgkmcnt(1)
	v_bfe_i32 v14, v11, 0, 8
	s_waitcnt lgkmcnt(0)
	v_bfe_i32 v15, v12, 0, 8
	s_delay_alu instid0(VALU_DEP_1) | instskip(SKIP_1) | instid1(VALU_DEP_2)
	v_cmp_lt_i16_e64 s0, v15, v14
	v_sub_nc_u32_e32 v14, v8, v16
	s_or_b32 s0, vcc_lo, s0
	v_cmp_ge_i32_e32 vcc_lo, v8, v16
	s_delay_alu instid0(VALU_DEP_2)
	v_cndmask_b32_e32 v9, 0, v14, vcc_lo
	s_and_b32 vcc_lo, s1, s0
	s_mov_b32 s0, 0
	v_cndmask_b32_e32 v11, v11, v12, vcc_lo
	s_mov_b32 s1, exec_lo
	ds_store_b8 v3, v11
	; wave barrier
	v_cmpx_lt_i32_e64 v9, v6
	s_cbranch_execz .LBB60_8
; %bb.5:
	v_add_nc_u32_e32 v11, v2, v10
	s_delay_alu instid0(VALU_DEP_1)
	v_add3_u32 v12, v11, v8, 2
	.p2align	6
.LBB60_6:                               ; =>This Inner Loop Header: Depth=1
	v_sub_nc_u32_e32 v13, v6, v9
	s_delay_alu instid0(VALU_DEP_1) | instskip(NEXT) | instid1(VALU_DEP_1)
	v_lshrrev_b32_e32 v14, 31, v13
	v_add_nc_u32_e32 v13, v13, v14
	s_delay_alu instid0(VALU_DEP_1) | instskip(NEXT) | instid1(VALU_DEP_1)
	v_ashrrev_i32_e32 v13, 1, v13
	v_add_nc_u32_e32 v13, v13, v9
	s_delay_alu instid0(VALU_DEP_1)
	v_add_nc_u32_e32 v14, v11, v13
	v_xad_u32 v15, v13, -1, v12
	v_add_nc_u32_e32 v16, 1, v13
	ds_load_i8 v14, v14
	ds_load_i8 v15, v15
	s_waitcnt lgkmcnt(0)
	v_cmp_lt_i16_e32 vcc_lo, v15, v14
	v_cndmask_b32_e32 v6, v6, v13, vcc_lo
	v_cndmask_b32_e32 v9, v16, v9, vcc_lo
	s_delay_alu instid0(VALU_DEP_1) | instskip(SKIP_1) | instid1(SALU_CYCLE_1)
	v_cmp_ge_i32_e32 vcc_lo, v9, v6
	s_or_b32 s0, vcc_lo, s0
	s_and_not1_b32 exec_lo, exec_lo, s0
	s_cbranch_execnz .LBB60_6
; %bb.7:
	s_or_b32 exec_lo, exec_lo, s0
.LBB60_8:
	s_delay_alu instid0(SALU_CYCLE_1) | instskip(SKIP_4) | instid1(VALU_DEP_4)
	s_or_b32 exec_lo, exec_lo, s1
	v_add_nc_u32_e32 v6, v10, v8
	v_add3_u32 v10, v2, v9, v10
	v_add_nc_u32_e32 v8, v7, v8
	v_cmp_lt_i32_e32 vcc_lo, 1, v9
	v_sub_nc_u32_e32 v6, v6, v9
	s_delay_alu instid0(VALU_DEP_3) | instskip(NEXT) | instid1(VALU_DEP_2)
	v_sub_nc_u32_e32 v8, v8, v9
	v_add_nc_u32_e32 v6, v2, v6
	ds_load_u8 v11, v10
	ds_load_u8 v12, v6 offset:2
	v_and_b32_e32 v10, 8, v4
	v_and_b32_e32 v4, 7, v4
	v_cmp_gt_i32_e64 s1, v5, v8
	; wave barrier
	s_delay_alu instid0(VALU_DEP_3) | instskip(SKIP_1) | instid1(VALU_DEP_2)
	v_or_b32_e32 v7, 4, v10
	v_add_nc_u32_e32 v6, 8, v10
	v_sub_nc_u32_e32 v9, v7, v10
	s_delay_alu instid0(VALU_DEP_2) | instskip(NEXT) | instid1(VALU_DEP_2)
	v_sub_nc_u32_e32 v15, v6, v7
	v_min_i32_e32 v8, v4, v9
	s_waitcnt lgkmcnt(1)
	v_bfe_i32 v13, v11, 0, 8
	s_waitcnt lgkmcnt(0)
	v_bfe_i32 v14, v12, 0, 8
	s_delay_alu instid0(VALU_DEP_1) | instskip(SKIP_1) | instid1(VALU_DEP_2)
	v_cmp_lt_i16_e64 s0, v14, v13
	v_sub_nc_u32_e32 v13, v4, v15
	s_or_b32 s0, vcc_lo, s0
	v_cmp_ge_i32_e32 vcc_lo, v4, v15
	s_delay_alu instid0(VALU_DEP_2)
	v_cndmask_b32_e32 v5, 0, v13, vcc_lo
	s_and_b32 vcc_lo, s1, s0
	s_mov_b32 s0, 0
	v_cndmask_b32_e32 v9, v11, v12, vcc_lo
	s_mov_b32 s1, exec_lo
	ds_store_b8 v3, v9
	; wave barrier
	v_cmpx_lt_i32_e64 v5, v8
	s_cbranch_execz .LBB60_12
; %bb.9:
	v_add_nc_u32_e32 v9, v2, v10
	s_delay_alu instid0(VALU_DEP_1)
	v_add3_u32 v11, v9, v4, 4
	.p2align	6
.LBB60_10:                              ; =>This Inner Loop Header: Depth=1
	v_sub_nc_u32_e32 v12, v8, v5
	s_delay_alu instid0(VALU_DEP_1) | instskip(NEXT) | instid1(VALU_DEP_1)
	v_lshrrev_b32_e32 v13, 31, v12
	v_add_nc_u32_e32 v12, v12, v13
	s_delay_alu instid0(VALU_DEP_1) | instskip(NEXT) | instid1(VALU_DEP_1)
	v_ashrrev_i32_e32 v12, 1, v12
	v_add_nc_u32_e32 v12, v12, v5
	s_delay_alu instid0(VALU_DEP_1)
	v_add_nc_u32_e32 v13, v9, v12
	v_xad_u32 v14, v12, -1, v11
	v_add_nc_u32_e32 v15, 1, v12
	ds_load_i8 v13, v13
	ds_load_i8 v14, v14
	s_waitcnt lgkmcnt(0)
	v_cmp_lt_i16_e32 vcc_lo, v14, v13
	v_dual_cndmask_b32 v8, v8, v12 :: v_dual_cndmask_b32 v5, v15, v5
	s_delay_alu instid0(VALU_DEP_1) | instskip(SKIP_1) | instid1(SALU_CYCLE_1)
	v_cmp_ge_i32_e32 vcc_lo, v5, v8
	s_or_b32 s0, vcc_lo, s0
	s_and_not1_b32 exec_lo, exec_lo, s0
	s_cbranch_execnz .LBB60_10
; %bb.11:
	s_or_b32 exec_lo, exec_lo, s0
.LBB60_12:
	s_delay_alu instid0(SALU_CYCLE_1) | instskip(SKIP_4) | instid1(VALU_DEP_4)
	s_or_b32 exec_lo, exec_lo, s1
	v_add_nc_u32_e32 v8, v10, v4
	v_add3_u32 v9, v2, v5, v10
	v_add_nc_u32_e32 v4, v7, v4
	v_cmp_lt_i32_e32 vcc_lo, 3, v5
	v_sub_nc_u32_e32 v8, v8, v5
	s_delay_alu instid0(VALU_DEP_3) | instskip(SKIP_1) | instid1(VALU_DEP_3)
	v_sub_nc_u32_e32 v4, v4, v5
	v_min_i32_e32 v5, 8, v1
	v_add_nc_u32_e32 v8, v2, v8
	ds_load_u8 v9, v9
	ds_load_u8 v8, v8 offset:4
	v_cmp_gt_i32_e64 s1, v6, v4
	v_sub_nc_u32_e64 v4, v1, 8 clamp
	; wave barrier
	s_waitcnt lgkmcnt(1)
	v_bfe_i32 v7, v9, 0, 8
	s_waitcnt lgkmcnt(0)
	v_bfe_i32 v10, v8, 0, 8
	s_delay_alu instid0(VALU_DEP_1) | instskip(NEXT) | instid1(VALU_DEP_1)
	v_cmp_lt_i16_e64 s0, v10, v7
	s_or_b32 s0, vcc_lo, s0
	s_delay_alu instid0(SALU_CYCLE_1)
	s_and_b32 vcc_lo, s1, s0
	v_dual_cndmask_b32 v7, v9, v8 :: v_dual_add_nc_u32 v6, v2, v1
	s_mov_b32 s0, exec_lo
	ds_store_b8 v6, v7
	; wave barrier
	v_cmpx_lt_u32_e64 v4, v5
	s_cbranch_execz .LBB60_16
; %bb.13:
	s_mov_b32 s1, 0
	.p2align	6
.LBB60_14:                              ; =>This Inner Loop Header: Depth=1
	v_sub_nc_u32_e32 v6, v5, v4
	s_delay_alu instid0(VALU_DEP_1) | instskip(NEXT) | instid1(VALU_DEP_1)
	v_lshrrev_b32_e32 v7, 31, v6
	v_add_nc_u32_e32 v6, v6, v7
	s_delay_alu instid0(VALU_DEP_1) | instskip(NEXT) | instid1(VALU_DEP_1)
	v_ashrrev_i32_e32 v6, 1, v6
	v_add_nc_u32_e32 v6, v6, v4
	s_delay_alu instid0(VALU_DEP_1)
	v_add_nc_u32_e32 v9, 1, v6
	v_add_nc_u32_e32 v7, v2, v6
	v_xad_u32 v8, v6, -1, v3
	ds_load_i8 v7, v7
	ds_load_i8 v8, v8 offset:8
	s_waitcnt lgkmcnt(0)
	v_cmp_lt_i16_e32 vcc_lo, v8, v7
	v_cndmask_b32_e32 v4, v9, v4, vcc_lo
	v_cndmask_b32_e32 v5, v5, v6, vcc_lo
	s_delay_alu instid0(VALU_DEP_1) | instskip(SKIP_1) | instid1(SALU_CYCLE_1)
	v_cmp_ge_i32_e32 vcc_lo, v4, v5
	s_or_b32 s1, vcc_lo, s1
	s_and_not1_b32 exec_lo, exec_lo, s1
	s_cbranch_execnz .LBB60_14
; %bb.15:
	s_or_b32 exec_lo, exec_lo, s1
.LBB60_16:
	s_delay_alu instid0(SALU_CYCLE_1) | instskip(SKIP_3) | instid1(VALU_DEP_3)
	s_or_b32 exec_lo, exec_lo, s0
	v_sub_nc_u32_e32 v1, v1, v4
	v_add_nc_u32_e32 v3, v2, v4
	v_cmp_lt_i32_e32 vcc_lo, 7, v4
	v_add_nc_u32_e32 v2, v2, v1
	ds_load_u8 v3, v3
	ds_load_u8 v2, v2 offset:8
	v_add_nc_u32_e32 v1, 8, v1
	s_delay_alu instid0(VALU_DEP_1) | instskip(SKIP_4) | instid1(VALU_DEP_1)
	v_cmp_gt_i32_e64 s1, 16, v1
	s_waitcnt lgkmcnt(1)
	v_bfe_i32 v5, v3, 0, 8
	s_waitcnt lgkmcnt(0)
	v_bfe_i32 v6, v2, 0, 8
	v_cmp_lt_i16_e64 s0, v6, v5
	s_delay_alu instid0(VALU_DEP_1) | instskip(NEXT) | instid1(SALU_CYCLE_1)
	s_or_b32 s0, vcc_lo, s0
	s_and_b32 vcc_lo, s1, s0
	s_add_u32 s0, s2, s4
	v_cndmask_b32_e32 v2, v3, v2, vcc_lo
	s_addc_u32 s1, s3, 0
	v_add_co_u32 v0, s0, s0, v0
	s_delay_alu instid0(VALU_DEP_1)
	v_add_co_ci_u32_e64 v1, null, s1, 0, s0
	global_store_b8 v[0:1], v2, off
	s_nop 0
	s_sendmsg sendmsg(MSG_DEALLOC_VGPRS)
	s_endpgm
	.section	.rodata,"a",@progbits
	.p2align	6, 0x0
	.amdhsa_kernel _Z9sort_keysILj256ELj16ELj1EaN10test_utils4lessEEvPKT2_PS2_T3_
		.amdhsa_group_segment_fixed_size 272
		.amdhsa_private_segment_fixed_size 0
		.amdhsa_kernarg_size 20
		.amdhsa_user_sgpr_count 15
		.amdhsa_user_sgpr_dispatch_ptr 0
		.amdhsa_user_sgpr_queue_ptr 0
		.amdhsa_user_sgpr_kernarg_segment_ptr 1
		.amdhsa_user_sgpr_dispatch_id 0
		.amdhsa_user_sgpr_private_segment_size 0
		.amdhsa_wavefront_size32 1
		.amdhsa_uses_dynamic_stack 0
		.amdhsa_enable_private_segment 0
		.amdhsa_system_sgpr_workgroup_id_x 1
		.amdhsa_system_sgpr_workgroup_id_y 0
		.amdhsa_system_sgpr_workgroup_id_z 0
		.amdhsa_system_sgpr_workgroup_info 0
		.amdhsa_system_vgpr_workitem_id 0
		.amdhsa_next_free_vgpr 17
		.amdhsa_next_free_sgpr 16
		.amdhsa_reserve_vcc 1
		.amdhsa_float_round_mode_32 0
		.amdhsa_float_round_mode_16_64 0
		.amdhsa_float_denorm_mode_32 3
		.amdhsa_float_denorm_mode_16_64 3
		.amdhsa_dx10_clamp 1
		.amdhsa_ieee_mode 1
		.amdhsa_fp16_overflow 0
		.amdhsa_workgroup_processor_mode 1
		.amdhsa_memory_ordered 1
		.amdhsa_forward_progress 0
		.amdhsa_shared_vgpr_count 0
		.amdhsa_exception_fp_ieee_invalid_op 0
		.amdhsa_exception_fp_denorm_src 0
		.amdhsa_exception_fp_ieee_div_zero 0
		.amdhsa_exception_fp_ieee_overflow 0
		.amdhsa_exception_fp_ieee_underflow 0
		.amdhsa_exception_fp_ieee_inexact 0
		.amdhsa_exception_int_div_zero 0
	.end_amdhsa_kernel
	.section	.text._Z9sort_keysILj256ELj16ELj1EaN10test_utils4lessEEvPKT2_PS2_T3_,"axG",@progbits,_Z9sort_keysILj256ELj16ELj1EaN10test_utils4lessEEvPKT2_PS2_T3_,comdat
.Lfunc_end60:
	.size	_Z9sort_keysILj256ELj16ELj1EaN10test_utils4lessEEvPKT2_PS2_T3_, .Lfunc_end60-_Z9sort_keysILj256ELj16ELj1EaN10test_utils4lessEEvPKT2_PS2_T3_
                                        ; -- End function
	.section	.AMDGPU.csdata,"",@progbits
; Kernel info:
; codeLenInByte = 1312
; NumSgprs: 18
; NumVgprs: 17
; ScratchSize: 0
; MemoryBound: 0
; FloatMode: 240
; IeeeMode: 1
; LDSByteSize: 272 bytes/workgroup (compile time only)
; SGPRBlocks: 2
; VGPRBlocks: 2
; NumSGPRsForWavesPerEU: 18
; NumVGPRsForWavesPerEU: 17
; Occupancy: 16
; WaveLimiterHint : 0
; COMPUTE_PGM_RSRC2:SCRATCH_EN: 0
; COMPUTE_PGM_RSRC2:USER_SGPR: 15
; COMPUTE_PGM_RSRC2:TRAP_HANDLER: 0
; COMPUTE_PGM_RSRC2:TGID_X_EN: 1
; COMPUTE_PGM_RSRC2:TGID_Y_EN: 0
; COMPUTE_PGM_RSRC2:TGID_Z_EN: 0
; COMPUTE_PGM_RSRC2:TIDIG_COMP_CNT: 0
	.section	.text._Z10sort_pairsILj256ELj16ELj1EaN10test_utils4lessEEvPKT2_PS2_T3_,"axG",@progbits,_Z10sort_pairsILj256ELj16ELj1EaN10test_utils4lessEEvPKT2_PS2_T3_,comdat
	.protected	_Z10sort_pairsILj256ELj16ELj1EaN10test_utils4lessEEvPKT2_PS2_T3_ ; -- Begin function _Z10sort_pairsILj256ELj16ELj1EaN10test_utils4lessEEvPKT2_PS2_T3_
	.globl	_Z10sort_pairsILj256ELj16ELj1EaN10test_utils4lessEEvPKT2_PS2_T3_
	.p2align	8
	.type	_Z10sort_pairsILj256ELj16ELj1EaN10test_utils4lessEEvPKT2_PS2_T3_,@function
_Z10sort_pairsILj256ELj16ELj1EaN10test_utils4lessEEvPKT2_PS2_T3_: ; @_Z10sort_pairsILj256ELj16ELj1EaN10test_utils4lessEEvPKT2_PS2_T3_
; %bb.0:
	s_load_b128 s[0:3], s[0:1], 0x0
	s_lshl_b32 s4, s15, 8
	v_mbcnt_lo_u32_b32 v4, -1, 0
	v_lshrrev_b32_e32 v11, 4, v0
	s_delay_alu instid0(VALU_DEP_2) | instskip(SKIP_2) | instid1(VALU_DEP_3)
	v_and_b32_e32 v8, 14, v4
	v_and_b32_e32 v7, 1, v4
	;; [unrolled: 1-line block ×3, first 2 shown]
	v_or_b32_e32 v6, 1, v8
	s_delay_alu instid0(VALU_DEP_1) | instskip(SKIP_3) | instid1(VALU_DEP_1)
	v_sub_nc_u32_e32 v1, v8, v6
	s_waitcnt lgkmcnt(0)
	s_add_u32 s0, s0, s4
	s_addc_u32 s1, s1, 0
	v_add_nc_u32_e32 v1, 2, v1
	global_load_u8 v5, v0, s[0:1]
	s_mov_b32 s0, 0
	s_mov_b32 s1, exec_lo
	v_sub_nc_u32_e32 v9, v7, v1
	v_cmp_ge_i32_e32 vcc_lo, v7, v1
	v_mul_u32_u24_e32 v1, 17, v11
	; wave barrier
	s_delay_alu instid0(VALU_DEP_3) | instskip(SKIP_1) | instid1(VALU_DEP_1)
	v_cndmask_b32_e32 v9, 0, v9, vcc_lo
	v_sub_nc_u32_e32 v3, v6, v8
	v_min_i32_e32 v10, v7, v3
	v_mad_u32_u24 v3, v11, 17, v2
	s_waitcnt vmcnt(0)
	ds_store_b8 v3, v5
	; wave barrier
	v_cmpx_lt_i32_e64 v9, v10
	s_cbranch_execz .LBB61_4
; %bb.1:
	v_add_nc_u32_e32 v11, v1, v8
	s_delay_alu instid0(VALU_DEP_1)
	v_add3_u32 v12, v11, v7, 1
	.p2align	6
.LBB61_2:                               ; =>This Inner Loop Header: Depth=1
	v_sub_nc_u32_e32 v13, v10, v9
	s_delay_alu instid0(VALU_DEP_1) | instskip(NEXT) | instid1(VALU_DEP_1)
	v_lshrrev_b32_e32 v14, 31, v13
	v_add_nc_u32_e32 v13, v13, v14
	s_delay_alu instid0(VALU_DEP_1) | instskip(NEXT) | instid1(VALU_DEP_1)
	v_ashrrev_i32_e32 v13, 1, v13
	v_add_nc_u32_e32 v13, v13, v9
	s_delay_alu instid0(VALU_DEP_1)
	v_add_nc_u32_e32 v14, v11, v13
	v_xad_u32 v15, v13, -1, v12
	v_add_nc_u32_e32 v16, 1, v13
	ds_load_i8 v14, v14
	ds_load_i8 v15, v15
	s_waitcnt lgkmcnt(0)
	v_cmp_lt_i16_e32 vcc_lo, v15, v14
	v_cndmask_b32_e32 v10, v10, v13, vcc_lo
	v_cndmask_b32_e32 v9, v16, v9, vcc_lo
	s_delay_alu instid0(VALU_DEP_1) | instskip(SKIP_1) | instid1(SALU_CYCLE_1)
	v_cmp_ge_i32_e32 vcc_lo, v9, v10
	s_or_b32 s0, vcc_lo, s0
	s_and_not1_b32 exec_lo, exec_lo, s0
	s_cbranch_execnz .LBB61_2
; %bb.3:
	s_or_b32 exec_lo, exec_lo, s0
.LBB61_4:
	s_delay_alu instid0(SALU_CYCLE_1) | instskip(SKIP_4) | instid1(VALU_DEP_4)
	s_or_b32 exec_lo, exec_lo, s1
	v_add_nc_u32_e32 v10, v8, v7
	v_add_nc_u32_e32 v8, v9, v8
	v_cmp_lt_i32_e32 vcc_lo, 0, v9
	v_add_nc_u16 v5, v5, 1
	v_sub_nc_u32_e32 v10, v10, v9
	s_delay_alu instid0(VALU_DEP_4) | instskip(NEXT) | instid1(VALU_DEP_2)
	v_add_nc_u32_e32 v11, v1, v8
	v_add_nc_u32_e32 v10, v1, v10
	ds_load_u8 v11, v11
	ds_load_u8 v10, v10 offset:1
	v_add_nc_u32_e32 v7, v6, v7
	; wave barrier
	ds_store_b8 v3, v5
	v_sub_nc_u32_e32 v14, v7, v9
	v_and_b32_e32 v7, 12, v4
	; wave barrier
	s_delay_alu instid0(VALU_DEP_2) | instskip(NEXT) | instid1(VALU_DEP_2)
	v_cmp_ge_i32_e64 s1, v6, v14
	v_add_nc_u32_e32 v6, 4, v7
	s_waitcnt lgkmcnt(2)
	v_bfe_i32 v12, v11, 0, 8
	s_waitcnt lgkmcnt(1)
	v_bfe_i32 v13, v10, 0, 8
	s_delay_alu instid0(VALU_DEP_1) | instskip(NEXT) | instid1(VALU_DEP_1)
	v_cmp_lt_i16_e64 s0, v13, v12
	s_or_b32 s0, vcc_lo, s0
	s_delay_alu instid0(SALU_CYCLE_1)
	s_and_b32 vcc_lo, s1, s0
	s_mov_b32 s0, 0
	v_cndmask_b32_e32 v9, v8, v14, vcc_lo
	v_or_b32_e32 v8, 2, v7
	v_cndmask_b32_e32 v12, v11, v10, vcc_lo
	s_mov_b32 s1, exec_lo
	s_delay_alu instid0(VALU_DEP_3)
	v_add_nc_u32_e32 v5, v1, v9
	v_and_b32_e32 v9, 3, v4
	v_sub_nc_u32_e32 v10, v6, v8
	ds_load_u8 v5, v5
	v_sub_nc_u32_e32 v11, v9, v10
	v_cmp_ge_i32_e32 vcc_lo, v9, v10
	; wave barrier
	ds_store_b8 v3, v12
	; wave barrier
	v_cndmask_b32_e32 v10, 0, v11, vcc_lo
	v_sub_nc_u32_e32 v13, v8, v7
	s_delay_alu instid0(VALU_DEP_1) | instskip(NEXT) | instid1(VALU_DEP_1)
	v_min_i32_e32 v11, v9, v13
	v_cmpx_lt_i32_e64 v10, v11
	s_cbranch_execz .LBB61_8
; %bb.5:
	v_add_nc_u32_e32 v12, v1, v7
	s_delay_alu instid0(VALU_DEP_1)
	v_add3_u32 v13, v12, v9, 2
	.p2align	6
.LBB61_6:                               ; =>This Inner Loop Header: Depth=1
	v_sub_nc_u32_e32 v14, v11, v10
	s_delay_alu instid0(VALU_DEP_1) | instskip(NEXT) | instid1(VALU_DEP_1)
	v_lshrrev_b32_e32 v15, 31, v14
	v_add_nc_u32_e32 v14, v14, v15
	s_delay_alu instid0(VALU_DEP_1) | instskip(NEXT) | instid1(VALU_DEP_1)
	v_ashrrev_i32_e32 v14, 1, v14
	v_add_nc_u32_e32 v14, v14, v10
	s_delay_alu instid0(VALU_DEP_1)
	v_add_nc_u32_e32 v15, v12, v14
	v_xad_u32 v16, v14, -1, v13
	v_add_nc_u32_e32 v17, 1, v14
	ds_load_i8 v15, v15
	ds_load_i8 v16, v16
	s_waitcnt lgkmcnt(0)
	v_cmp_lt_i16_e32 vcc_lo, v16, v15
	v_cndmask_b32_e32 v11, v11, v14, vcc_lo
	v_cndmask_b32_e32 v10, v17, v10, vcc_lo
	s_delay_alu instid0(VALU_DEP_1) | instskip(SKIP_1) | instid1(SALU_CYCLE_1)
	v_cmp_ge_i32_e32 vcc_lo, v10, v11
	s_or_b32 s0, vcc_lo, s0
	s_and_not1_b32 exec_lo, exec_lo, s0
	s_cbranch_execnz .LBB61_6
; %bb.7:
	s_or_b32 exec_lo, exec_lo, s0
.LBB61_8:
	s_delay_alu instid0(SALU_CYCLE_1) | instskip(SKIP_3) | instid1(VALU_DEP_3)
	s_or_b32 exec_lo, exec_lo, s1
	v_add_nc_u32_e32 v11, v7, v9
	v_add_nc_u32_e32 v12, v10, v7
	v_cmp_lt_i32_e32 vcc_lo, 1, v10
	v_sub_nc_u32_e32 v7, v11, v10
	s_delay_alu instid0(VALU_DEP_3) | instskip(NEXT) | instid1(VALU_DEP_2)
	v_add_nc_u32_e32 v11, v1, v12
	v_add_nc_u32_e32 v7, v1, v7
	ds_load_u8 v11, v11
	ds_load_u8 v13, v7 offset:2
	v_add_nc_u32_e32 v7, v8, v9
	; wave barrier
	s_waitcnt lgkmcnt(3)
	ds_store_b8 v3, v5
	v_sub_nc_u32_e32 v14, v7, v10
	v_and_b32_e32 v7, 8, v4
	; wave barrier
	v_and_b32_e32 v4, 7, v4
	s_delay_alu instid0(VALU_DEP_3) | instskip(NEXT) | instid1(VALU_DEP_3)
	v_cmp_gt_i32_e64 s1, v6, v14
	v_add_nc_u32_e32 v6, 8, v7
	s_waitcnt lgkmcnt(2)
	v_bfe_i32 v8, v11, 0, 8
	s_waitcnt lgkmcnt(1)
	v_bfe_i32 v9, v13, 0, 8
	s_delay_alu instid0(VALU_DEP_1) | instskip(SKIP_1) | instid1(VALU_DEP_2)
	v_cmp_lt_i16_e64 s0, v9, v8
	v_or_b32_e32 v8, 4, v7
	s_or_b32 s0, vcc_lo, s0
	s_delay_alu instid0(SALU_CYCLE_1)
	s_and_b32 vcc_lo, s1, s0
	s_mov_b32 s1, 0
	v_cndmask_b32_e32 v11, v11, v13, vcc_lo
	v_cndmask_b32_e32 v9, v12, v14, vcc_lo
	v_sub_nc_u32_e32 v12, v8, v7
	s_mov_b32 s0, exec_lo
	s_delay_alu instid0(VALU_DEP_2)
	v_add_nc_u32_e32 v5, v1, v9
	v_sub_nc_u32_e32 v9, v6, v8
	ds_load_u8 v5, v5
	v_sub_nc_u32_e32 v10, v4, v9
	v_cmp_ge_i32_e32 vcc_lo, v4, v9
	; wave barrier
	ds_store_b8 v3, v11
	v_cndmask_b32_e32 v9, 0, v10, vcc_lo
	v_min_i32_e32 v10, v4, v12
	; wave barrier
	s_delay_alu instid0(VALU_DEP_1)
	v_cmpx_lt_i32_e64 v9, v10
	s_cbranch_execz .LBB61_12
; %bb.9:
	v_add_nc_u32_e32 v11, v1, v7
	s_delay_alu instid0(VALU_DEP_1)
	v_add3_u32 v12, v11, v4, 4
	.p2align	6
.LBB61_10:                              ; =>This Inner Loop Header: Depth=1
	v_sub_nc_u32_e32 v13, v10, v9
	s_delay_alu instid0(VALU_DEP_1) | instskip(NEXT) | instid1(VALU_DEP_1)
	v_lshrrev_b32_e32 v14, 31, v13
	v_add_nc_u32_e32 v13, v13, v14
	s_delay_alu instid0(VALU_DEP_1) | instskip(NEXT) | instid1(VALU_DEP_1)
	v_ashrrev_i32_e32 v13, 1, v13
	v_add_nc_u32_e32 v13, v13, v9
	s_delay_alu instid0(VALU_DEP_1)
	v_add_nc_u32_e32 v14, v11, v13
	v_xad_u32 v15, v13, -1, v12
	v_add_nc_u32_e32 v16, 1, v13
	ds_load_i8 v14, v14
	ds_load_i8 v15, v15
	s_waitcnt lgkmcnt(0)
	v_cmp_lt_i16_e32 vcc_lo, v15, v14
	v_cndmask_b32_e32 v10, v10, v13, vcc_lo
	v_cndmask_b32_e32 v9, v16, v9, vcc_lo
	s_delay_alu instid0(VALU_DEP_1) | instskip(SKIP_1) | instid1(SALU_CYCLE_1)
	v_cmp_ge_i32_e32 vcc_lo, v9, v10
	s_or_b32 s1, vcc_lo, s1
	s_and_not1_b32 exec_lo, exec_lo, s1
	s_cbranch_execnz .LBB61_10
; %bb.11:
	s_or_b32 exec_lo, exec_lo, s1
.LBB61_12:
	s_delay_alu instid0(SALU_CYCLE_1) | instskip(SKIP_4) | instid1(VALU_DEP_4)
	s_or_b32 exec_lo, exec_lo, s0
	v_add_nc_u32_e32 v10, v7, v4
	v_add_nc_u32_e32 v7, v9, v7
	;; [unrolled: 1-line block ×3, first 2 shown]
	v_cmp_lt_i32_e32 vcc_lo, 3, v9
	v_sub_nc_u32_e32 v10, v10, v9
	s_delay_alu instid0(VALU_DEP_3) | instskip(SKIP_1) | instid1(VALU_DEP_3)
	v_sub_nc_u32_e32 v4, v4, v9
	v_add_nc_u32_e32 v11, v1, v7
	v_add_nc_u32_e32 v10, v1, v10
	ds_load_u8 v11, v11
	ds_load_u8 v10, v10 offset:4
	v_cmp_gt_i32_e64 s1, v6, v4
	; wave barrier
	s_waitcnt lgkmcnt(1)
	v_bfe_i32 v8, v11, 0, 8
	s_waitcnt lgkmcnt(0)
	v_bfe_i32 v12, v10, 0, 8
	s_delay_alu instid0(VALU_DEP_1) | instskip(NEXT) | instid1(VALU_DEP_1)
	v_cmp_lt_i16_e64 s0, v12, v8
	s_or_b32 s0, vcc_lo, s0
	s_delay_alu instid0(SALU_CYCLE_1)
	s_and_b32 vcc_lo, s1, s0
	s_mov_b32 s0, exec_lo
	v_cndmask_b32_e32 v8, v11, v10, vcc_lo
	v_cndmask_b32_e32 v6, v7, v4, vcc_lo
	v_add_nc_u32_e32 v4, v1, v2
	v_min_i32_e32 v7, 8, v2
	s_delay_alu instid0(VALU_DEP_3)
	v_add_nc_u32_e32 v6, v1, v6
	ds_store_b8 v4, v5
	; wave barrier
	ds_load_u8 v5, v6
	v_sub_nc_u32_e64 v6, v2, 8 clamp
	; wave barrier
	ds_store_b8 v4, v8
	; wave barrier
	v_cmpx_lt_u32_e64 v6, v7
	s_cbranch_execz .LBB61_16
; %bb.13:
	s_mov_b32 s1, 0
	.p2align	6
.LBB61_14:                              ; =>This Inner Loop Header: Depth=1
	v_sub_nc_u32_e32 v8, v7, v6
	s_delay_alu instid0(VALU_DEP_1) | instskip(NEXT) | instid1(VALU_DEP_1)
	v_lshrrev_b32_e32 v9, 31, v8
	v_add_nc_u32_e32 v8, v8, v9
	s_delay_alu instid0(VALU_DEP_1) | instskip(NEXT) | instid1(VALU_DEP_1)
	v_ashrrev_i32_e32 v8, 1, v8
	v_add_nc_u32_e32 v8, v8, v6
	s_delay_alu instid0(VALU_DEP_1)
	v_add_nc_u32_e32 v11, 1, v8
	v_add_nc_u32_e32 v9, v1, v8
	v_xad_u32 v10, v8, -1, v3
	ds_load_i8 v9, v9
	ds_load_i8 v10, v10 offset:8
	s_waitcnt lgkmcnt(0)
	v_cmp_lt_i16_e32 vcc_lo, v10, v9
	v_cndmask_b32_e32 v6, v11, v6, vcc_lo
	v_cndmask_b32_e32 v7, v7, v8, vcc_lo
	s_delay_alu instid0(VALU_DEP_1) | instskip(SKIP_1) | instid1(SALU_CYCLE_1)
	v_cmp_ge_i32_e32 vcc_lo, v6, v7
	s_or_b32 s1, vcc_lo, s1
	s_and_not1_b32 exec_lo, exec_lo, s1
	s_cbranch_execnz .LBB61_14
; %bb.15:
	s_or_b32 exec_lo, exec_lo, s1
.LBB61_16:
	s_delay_alu instid0(SALU_CYCLE_1) | instskip(SKIP_3) | instid1(VALU_DEP_3)
	s_or_b32 exec_lo, exec_lo, s0
	v_sub_nc_u32_e32 v2, v2, v6
	v_add_nc_u32_e32 v3, v1, v6
	v_cmp_lt_i32_e32 vcc_lo, 7, v6
	v_add_nc_u32_e32 v7, v1, v2
	ds_load_u8 v3, v3
	ds_load_u8 v7, v7 offset:8
	v_add_nc_u32_e32 v2, 8, v2
	; wave barrier
	s_waitcnt lgkmcnt(3)
	ds_store_b8 v4, v5
	v_cmp_gt_i32_e64 s1, 16, v2
	; wave barrier
	s_waitcnt lgkmcnt(2)
	v_bfe_i32 v8, v3, 0, 8
	s_waitcnt lgkmcnt(1)
	v_bfe_i32 v9, v7, 0, 8
	s_delay_alu instid0(VALU_DEP_1) | instskip(NEXT) | instid1(VALU_DEP_1)
	v_cmp_lt_i16_e64 s0, v9, v8
	s_or_b32 s0, vcc_lo, s0
	s_delay_alu instid0(SALU_CYCLE_1) | instskip(SKIP_4) | instid1(VALU_DEP_2)
	s_and_b32 vcc_lo, s1, s0
	s_add_u32 s0, s2, s4
	v_dual_cndmask_b32 v3, v3, v7 :: v_dual_cndmask_b32 v2, v6, v2
	s_addc_u32 s1, s3, 0
	v_add_co_u32 v0, s0, s0, v0
	v_add_nc_u32_e32 v1, v1, v2
	ds_load_u8 v1, v1
	s_waitcnt lgkmcnt(0)
	v_add_nc_u16 v2, v1, v3
	v_add_co_ci_u32_e64 v1, null, s1, 0, s0
	global_store_b8 v[0:1], v2, off
	s_nop 0
	s_sendmsg sendmsg(MSG_DEALLOC_VGPRS)
	s_endpgm
	.section	.rodata,"a",@progbits
	.p2align	6, 0x0
	.amdhsa_kernel _Z10sort_pairsILj256ELj16ELj1EaN10test_utils4lessEEvPKT2_PS2_T3_
		.amdhsa_group_segment_fixed_size 272
		.amdhsa_private_segment_fixed_size 0
		.amdhsa_kernarg_size 20
		.amdhsa_user_sgpr_count 15
		.amdhsa_user_sgpr_dispatch_ptr 0
		.amdhsa_user_sgpr_queue_ptr 0
		.amdhsa_user_sgpr_kernarg_segment_ptr 1
		.amdhsa_user_sgpr_dispatch_id 0
		.amdhsa_user_sgpr_private_segment_size 0
		.amdhsa_wavefront_size32 1
		.amdhsa_uses_dynamic_stack 0
		.amdhsa_enable_private_segment 0
		.amdhsa_system_sgpr_workgroup_id_x 1
		.amdhsa_system_sgpr_workgroup_id_y 0
		.amdhsa_system_sgpr_workgroup_id_z 0
		.amdhsa_system_sgpr_workgroup_info 0
		.amdhsa_system_vgpr_workitem_id 0
		.amdhsa_next_free_vgpr 18
		.amdhsa_next_free_sgpr 16
		.amdhsa_reserve_vcc 1
		.amdhsa_float_round_mode_32 0
		.amdhsa_float_round_mode_16_64 0
		.amdhsa_float_denorm_mode_32 3
		.amdhsa_float_denorm_mode_16_64 3
		.amdhsa_dx10_clamp 1
		.amdhsa_ieee_mode 1
		.amdhsa_fp16_overflow 0
		.amdhsa_workgroup_processor_mode 1
		.amdhsa_memory_ordered 1
		.amdhsa_forward_progress 0
		.amdhsa_shared_vgpr_count 0
		.amdhsa_exception_fp_ieee_invalid_op 0
		.amdhsa_exception_fp_denorm_src 0
		.amdhsa_exception_fp_ieee_div_zero 0
		.amdhsa_exception_fp_ieee_overflow 0
		.amdhsa_exception_fp_ieee_underflow 0
		.amdhsa_exception_fp_ieee_inexact 0
		.amdhsa_exception_int_div_zero 0
	.end_amdhsa_kernel
	.section	.text._Z10sort_pairsILj256ELj16ELj1EaN10test_utils4lessEEvPKT2_PS2_T3_,"axG",@progbits,_Z10sort_pairsILj256ELj16ELj1EaN10test_utils4lessEEvPKT2_PS2_T3_,comdat
.Lfunc_end61:
	.size	_Z10sort_pairsILj256ELj16ELj1EaN10test_utils4lessEEvPKT2_PS2_T3_, .Lfunc_end61-_Z10sort_pairsILj256ELj16ELj1EaN10test_utils4lessEEvPKT2_PS2_T3_
                                        ; -- End function
	.section	.AMDGPU.csdata,"",@progbits
; Kernel info:
; codeLenInByte = 1448
; NumSgprs: 18
; NumVgprs: 18
; ScratchSize: 0
; MemoryBound: 0
; FloatMode: 240
; IeeeMode: 1
; LDSByteSize: 272 bytes/workgroup (compile time only)
; SGPRBlocks: 2
; VGPRBlocks: 2
; NumSGPRsForWavesPerEU: 18
; NumVGPRsForWavesPerEU: 18
; Occupancy: 16
; WaveLimiterHint : 0
; COMPUTE_PGM_RSRC2:SCRATCH_EN: 0
; COMPUTE_PGM_RSRC2:USER_SGPR: 15
; COMPUTE_PGM_RSRC2:TRAP_HANDLER: 0
; COMPUTE_PGM_RSRC2:TGID_X_EN: 1
; COMPUTE_PGM_RSRC2:TGID_Y_EN: 0
; COMPUTE_PGM_RSRC2:TGID_Z_EN: 0
; COMPUTE_PGM_RSRC2:TIDIG_COMP_CNT: 0
	.section	.text._Z19sort_keys_segmentedILj256ELj16ELj1EaN10test_utils4lessEEvPKT2_PS2_PKjT3_,"axG",@progbits,_Z19sort_keys_segmentedILj256ELj16ELj1EaN10test_utils4lessEEvPKT2_PS2_PKjT3_,comdat
	.protected	_Z19sort_keys_segmentedILj256ELj16ELj1EaN10test_utils4lessEEvPKT2_PS2_PKjT3_ ; -- Begin function _Z19sort_keys_segmentedILj256ELj16ELj1EaN10test_utils4lessEEvPKT2_PS2_PKjT3_
	.globl	_Z19sort_keys_segmentedILj256ELj16ELj1EaN10test_utils4lessEEvPKT2_PS2_PKjT3_
	.p2align	8
	.type	_Z19sort_keys_segmentedILj256ELj16ELj1EaN10test_utils4lessEEvPKT2_PS2_PKjT3_,@function
_Z19sort_keys_segmentedILj256ELj16ELj1EaN10test_utils4lessEEvPKT2_PS2_PKjT3_: ; @_Z19sort_keys_segmentedILj256ELj16ELj1EaN10test_utils4lessEEvPKT2_PS2_PKjT3_
; %bb.0:
	s_clause 0x1
	s_load_b64 s[2:3], s[0:1], 0x10
	s_load_b128 s[4:7], s[0:1], 0x0
	v_lshrrev_b32_e32 v7, 4, v0
	v_mbcnt_lo_u32_b32 v6, -1, 0
	v_mov_b32_e32 v2, 0
	s_delay_alu instid0(VALU_DEP_3) | instskip(NEXT) | instid1(VALU_DEP_1)
	v_lshl_or_b32 v1, s15, 4, v7
	v_lshlrev_b64 v[3:4], 2, v[1:2]
	s_waitcnt lgkmcnt(0)
	s_delay_alu instid0(VALU_DEP_1) | instskip(NEXT) | instid1(VALU_DEP_2)
	v_add_co_u32 v3, vcc_lo, s2, v3
	v_add_co_ci_u32_e32 v4, vcc_lo, s3, v4, vcc_lo
	global_load_b32 v5, v[3:4], off
	v_and_b32_e32 v3, 15, v6
	v_lshlrev_b32_e32 v4, 4, v1
	s_waitcnt vmcnt(0)
	s_delay_alu instid0(VALU_DEP_2) | instskip(SKIP_1) | instid1(VALU_DEP_1)
	v_cmp_lt_u32_e32 vcc_lo, v3, v5
	v_cmp_ge_u32_e64 s0, v3, v5
	s_and_saveexec_b32 s1, s0
	s_delay_alu instid0(SALU_CYCLE_1)
	s_xor_b32 s0, exec_lo, s1
                                        ; implicit-def: $vgpr0_vgpr1
; %bb.1:
	v_mov_b32_e32 v1, v2
; %bb.2:
	s_or_saveexec_b32 s1, s0
                                        ; implicit-def: $vgpr13
	s_delay_alu instid0(SALU_CYCLE_1)
	s_xor_b32 exec_lo, exec_lo, s1
	s_cbranch_execz .LBB62_4
; %bb.3:
	v_add_co_u32 v0, s0, s4, v4
	s_delay_alu instid0(VALU_DEP_1) | instskip(NEXT) | instid1(VALU_DEP_2)
	v_add_co_ci_u32_e64 v1, null, s5, 0, s0
	v_add_co_u32 v0, s0, v0, v3
	s_delay_alu instid0(VALU_DEP_1)
	v_add_co_ci_u32_e64 v1, s0, 0, v1, s0
	global_load_u8 v13, v[0:1], off
	v_mov_b32_e32 v1, 0
.LBB62_4:
	s_or_b32 exec_lo, exec_lo, s1
	v_and_b32_e32 v0, 14, v6
	v_and_b32_e32 v10, 1, v6
	v_mad_u32_u24 v14, v7, 17, v3
	s_mov_b32 s2, 0
	s_mov_b32 s1, exec_lo
	v_min_i32_e32 v8, v5, v0
	v_min_i32_e32 v10, v5, v10
	; wave barrier
	s_waitcnt vmcnt(0)
	ds_store_b8 v14, v13
	v_add_nc_u32_e32 v0, 1, v8
	; wave barrier
	s_delay_alu instid0(VALU_DEP_1) | instskip(NEXT) | instid1(VALU_DEP_1)
	v_min_i32_e32 v2, v5, v0
	v_add_nc_u32_e32 v0, 1, v2
	v_sub_nc_u32_e32 v12, v2, v8
	s_delay_alu instid0(VALU_DEP_2) | instskip(NEXT) | instid1(VALU_DEP_2)
	v_min_i32_e32 v9, v5, v0
	v_min_i32_e32 v12, v10, v12
	s_delay_alu instid0(VALU_DEP_2) | instskip(NEXT) | instid1(VALU_DEP_1)
	v_sub_nc_u32_e32 v0, v9, v2
	v_sub_nc_u32_e32 v11, v10, v0
	v_cmp_ge_i32_e64 s0, v10, v0
	v_mul_u32_u24_e32 v0, 17, v7
	s_delay_alu instid0(VALU_DEP_2) | instskip(NEXT) | instid1(VALU_DEP_1)
	v_cndmask_b32_e64 v11, 0, v11, s0
	v_cmpx_lt_i32_e64 v11, v12
	s_cbranch_execz .LBB62_8
; %bb.5:
	s_delay_alu instid0(VALU_DEP_3)
	v_add_nc_u32_e32 v7, v0, v8
	v_add3_u32 v13, v0, v2, v10
	.p2align	6
.LBB62_6:                               ; =>This Inner Loop Header: Depth=1
	v_sub_nc_u32_e32 v14, v12, v11
	s_delay_alu instid0(VALU_DEP_1) | instskip(NEXT) | instid1(VALU_DEP_1)
	v_lshrrev_b32_e32 v15, 31, v14
	v_add_nc_u32_e32 v14, v14, v15
	s_delay_alu instid0(VALU_DEP_1) | instskip(NEXT) | instid1(VALU_DEP_1)
	v_ashrrev_i32_e32 v14, 1, v14
	v_add_nc_u32_e32 v14, v14, v11
	s_delay_alu instid0(VALU_DEP_1)
	v_add_nc_u32_e32 v15, v7, v14
	v_xad_u32 v16, v14, -1, v13
	v_add_nc_u32_e32 v17, 1, v14
	ds_load_i8 v15, v15
	ds_load_i8 v16, v16
	s_waitcnt lgkmcnt(0)
	v_cmp_lt_i16_e64 s0, v16, v15
	s_delay_alu instid0(VALU_DEP_1) | instskip(SKIP_1) | instid1(VALU_DEP_1)
	v_cndmask_b32_e64 v12, v12, v14, s0
	v_cndmask_b32_e64 v11, v17, v11, s0
	v_cmp_ge_i32_e64 s0, v11, v12
	s_delay_alu instid0(VALU_DEP_1) | instskip(NEXT) | instid1(SALU_CYCLE_1)
	s_or_b32 s2, s0, s2
	s_and_not1_b32 exec_lo, exec_lo, s2
	s_cbranch_execnz .LBB62_6
; %bb.7:
	s_or_b32 exec_lo, exec_lo, s2
.LBB62_8:
	s_delay_alu instid0(SALU_CYCLE_1) | instskip(SKIP_2) | instid1(VALU_DEP_2)
	s_or_b32 exec_lo, exec_lo, s1
	v_add_nc_u32_e32 v7, v2, v10
	v_add_nc_u32_e32 v12, v11, v8
	v_sub_nc_u32_e32 v13, v7, v11
	v_and_b32_e32 v7, 12, v6
	s_delay_alu instid0(VALU_DEP_3)
	v_add_nc_u32_e32 v8, v0, v12
	v_cmp_le_i32_e64 s0, v2, v12
	v_add_nc_u32_e32 v2, v0, v3
	v_add_nc_u32_e32 v11, v0, v13
	v_min_i32_e32 v10, v5, v7
	v_cmp_gt_i32_e64 s2, v9, v13
	ds_load_u8 v14, v8
	ds_load_u8 v15, v11
	v_and_b32_e32 v11, 3, v6
	v_add_nc_u32_e32 v7, 2, v10
	; wave barrier
	s_delay_alu instid0(VALU_DEP_2) | instskip(NEXT) | instid1(VALU_DEP_2)
	v_min_i32_e32 v11, v5, v11
	v_min_i32_e32 v8, v5, v7
	s_delay_alu instid0(VALU_DEP_1) | instskip(SKIP_1) | instid1(VALU_DEP_2)
	v_add_nc_u32_e32 v7, 2, v8
	v_sub_nc_u32_e32 v12, v8, v10
	v_min_i32_e32 v7, v5, v7
	s_delay_alu instid0(VALU_DEP_2)
	v_min_i32_e32 v12, v11, v12
	s_waitcnt lgkmcnt(1)
	v_bfe_i32 v16, v14, 0, 8
	s_waitcnt lgkmcnt(0)
	v_bfe_i32 v17, v15, 0, 8
	v_sub_nc_u32_e32 v18, v7, v8
	s_delay_alu instid0(VALU_DEP_2) | instskip(NEXT) | instid1(VALU_DEP_2)
	v_cmp_lt_i16_e64 s1, v17, v16
	v_sub_nc_u32_e32 v16, v11, v18
	s_delay_alu instid0(VALU_DEP_2) | instskip(SKIP_1) | instid1(VALU_DEP_1)
	s_or_b32 s1, s0, s1
	v_cmp_ge_i32_e64 s0, v11, v18
	v_cndmask_b32_e64 v9, 0, v16, s0
	s_and_b32 s0, s2, s1
	s_mov_b32 s1, 0
	v_cndmask_b32_e64 v13, v14, v15, s0
	s_mov_b32 s2, exec_lo
	ds_store_b8 v2, v13
	; wave barrier
	v_cmpx_lt_i32_e64 v9, v12
	s_cbranch_execz .LBB62_12
; %bb.9:
	v_add_nc_u32_e32 v13, v0, v10
	v_add3_u32 v14, v0, v8, v11
	.p2align	6
.LBB62_10:                              ; =>This Inner Loop Header: Depth=1
	v_sub_nc_u32_e32 v15, v12, v9
	s_delay_alu instid0(VALU_DEP_1) | instskip(NEXT) | instid1(VALU_DEP_1)
	v_lshrrev_b32_e32 v16, 31, v15
	v_add_nc_u32_e32 v15, v15, v16
	s_delay_alu instid0(VALU_DEP_1) | instskip(NEXT) | instid1(VALU_DEP_1)
	v_ashrrev_i32_e32 v15, 1, v15
	v_add_nc_u32_e32 v15, v15, v9
	s_delay_alu instid0(VALU_DEP_1)
	v_add_nc_u32_e32 v16, v13, v15
	v_xad_u32 v17, v15, -1, v14
	v_add_nc_u32_e32 v18, 1, v15
	ds_load_i8 v16, v16
	ds_load_i8 v17, v17
	s_waitcnt lgkmcnt(0)
	v_cmp_lt_i16_e64 s0, v17, v16
	s_delay_alu instid0(VALU_DEP_1) | instskip(SKIP_1) | instid1(VALU_DEP_1)
	v_cndmask_b32_e64 v12, v12, v15, s0
	v_cndmask_b32_e64 v9, v18, v9, s0
	v_cmp_ge_i32_e64 s0, v9, v12
	s_delay_alu instid0(VALU_DEP_1) | instskip(NEXT) | instid1(SALU_CYCLE_1)
	s_or_b32 s1, s0, s1
	s_and_not1_b32 exec_lo, exec_lo, s1
	s_cbranch_execnz .LBB62_10
; %bb.11:
	s_or_b32 exec_lo, exec_lo, s1
.LBB62_12:
	s_delay_alu instid0(SALU_CYCLE_1) | instskip(SKIP_3) | instid1(VALU_DEP_3)
	s_or_b32 exec_lo, exec_lo, s2
	v_add_nc_u32_e32 v11, v8, v11
	v_add_nc_u32_e32 v12, v9, v10
	v_and_b32_e32 v16, 7, v6
	v_sub_nc_u32_e32 v13, v11, v9
	v_and_b32_e32 v9, 8, v6
	s_delay_alu instid0(VALU_DEP_4) | instskip(SKIP_1) | instid1(VALU_DEP_4)
	v_add_nc_u32_e32 v11, v0, v12
	v_cmp_le_i32_e64 s0, v8, v12
	v_add_nc_u32_e32 v14, v0, v13
	s_delay_alu instid0(VALU_DEP_4) | instskip(SKIP_4) | instid1(VALU_DEP_1)
	v_min_i32_e32 v10, v5, v9
	v_cmp_gt_i32_e64 s2, v7, v13
	ds_load_u8 v15, v11
	ds_load_u8 v14, v14
	v_add_nc_u32_e32 v9, 4, v10
	; wave barrier
	v_min_i32_e32 v9, v5, v9
	s_delay_alu instid0(VALU_DEP_1) | instskip(SKIP_1) | instid1(VALU_DEP_2)
	v_add_nc_u32_e32 v11, 4, v9
	v_sub_nc_u32_e32 v8, v9, v10
	v_min_i32_e32 v6, v5, v11
	v_min_i32_e32 v11, v5, v16
	s_waitcnt lgkmcnt(1)
	v_bfe_i32 v17, v15, 0, 8
	s_waitcnt lgkmcnt(0)
	v_bfe_i32 v18, v14, 0, 8
	v_sub_nc_u32_e32 v16, v6, v9
	v_min_i32_e32 v8, v11, v8
	s_delay_alu instid0(VALU_DEP_3) | instskip(NEXT) | instid1(VALU_DEP_3)
	v_cmp_lt_i16_e64 s1, v18, v17
	v_sub_nc_u32_e32 v12, v11, v16
	s_delay_alu instid0(VALU_DEP_2) | instskip(SKIP_1) | instid1(VALU_DEP_1)
	s_or_b32 s1, s0, s1
	v_cmp_ge_i32_e64 s0, v11, v16
	v_cndmask_b32_e64 v7, 0, v12, s0
	s_and_b32 s0, s2, s1
	s_mov_b32 s1, 0
	v_cndmask_b32_e64 v12, v15, v14, s0
	s_mov_b32 s2, exec_lo
	ds_store_b8 v2, v12
	; wave barrier
	v_cmpx_lt_i32_e64 v7, v8
	s_cbranch_execz .LBB62_16
; %bb.13:
	v_add_nc_u32_e32 v12, v0, v10
	v_add3_u32 v13, v0, v9, v11
	.p2align	6
.LBB62_14:                              ; =>This Inner Loop Header: Depth=1
	v_sub_nc_u32_e32 v14, v8, v7
	s_delay_alu instid0(VALU_DEP_1) | instskip(NEXT) | instid1(VALU_DEP_1)
	v_lshrrev_b32_e32 v15, 31, v14
	v_add_nc_u32_e32 v14, v14, v15
	s_delay_alu instid0(VALU_DEP_1) | instskip(NEXT) | instid1(VALU_DEP_1)
	v_ashrrev_i32_e32 v14, 1, v14
	v_add_nc_u32_e32 v14, v14, v7
	s_delay_alu instid0(VALU_DEP_1)
	v_add_nc_u32_e32 v15, v12, v14
	v_xad_u32 v16, v14, -1, v13
	v_add_nc_u32_e32 v17, 1, v14
	ds_load_i8 v15, v15
	ds_load_i8 v16, v16
	s_waitcnt lgkmcnt(0)
	v_cmp_lt_i16_e64 s0, v16, v15
	s_delay_alu instid0(VALU_DEP_1) | instskip(SKIP_1) | instid1(VALU_DEP_1)
	v_cndmask_b32_e64 v8, v8, v14, s0
	v_cndmask_b32_e64 v7, v17, v7, s0
	v_cmp_ge_i32_e64 s0, v7, v8
	s_delay_alu instid0(VALU_DEP_1) | instskip(NEXT) | instid1(SALU_CYCLE_1)
	s_or_b32 s1, s0, s1
	s_and_not1_b32 exec_lo, exec_lo, s1
	s_cbranch_execnz .LBB62_14
; %bb.15:
	s_or_b32 exec_lo, exec_lo, s1
.LBB62_16:
	s_delay_alu instid0(SALU_CYCLE_1) | instskip(SKIP_3) | instid1(VALU_DEP_3)
	s_or_b32 exec_lo, exec_lo, s2
	v_add_nc_u32_e32 v8, v9, v11
	v_add_nc_u32_e32 v11, v7, v10
	v_min_i32_e32 v10, 0, v5
	v_sub_nc_u32_e32 v12, v8, v7
	s_delay_alu instid0(VALU_DEP_3) | instskip(SKIP_1) | instid1(VALU_DEP_3)
	v_add_nc_u32_e32 v7, v0, v11
	v_cmp_le_i32_e64 s0, v9, v11
	v_add_nc_u32_e32 v8, v0, v12
	v_cmp_gt_i32_e64 s2, v6, v12
	ds_load_u8 v13, v7
	ds_load_u8 v14, v8
	v_add_nc_u32_e32 v7, 8, v10
	; wave barrier
	s_delay_alu instid0(VALU_DEP_1) | instskip(NEXT) | instid1(VALU_DEP_1)
	v_min_i32_e32 v8, v5, v7
	v_add_nc_u32_e32 v7, 8, v8
	v_sub_nc_u32_e32 v9, v8, v10
	s_delay_alu instid0(VALU_DEP_2)
	v_min_i32_e32 v7, v5, v7
	v_min_i32_e32 v5, v5, v3
	s_waitcnt lgkmcnt(1)
	v_bfe_i32 v15, v13, 0, 8
	s_waitcnt lgkmcnt(0)
	v_bfe_i32 v16, v14, 0, 8
	v_sub_nc_u32_e32 v17, v7, v8
	v_min_i32_e32 v9, v5, v9
	s_delay_alu instid0(VALU_DEP_3) | instskip(NEXT) | instid1(VALU_DEP_3)
	v_cmp_lt_i16_e64 s1, v16, v15
	v_sub_nc_u32_e32 v11, v5, v17
	s_delay_alu instid0(VALU_DEP_2) | instskip(SKIP_1) | instid1(VALU_DEP_1)
	s_or_b32 s1, s0, s1
	v_cmp_ge_i32_e64 s0, v5, v17
	v_cndmask_b32_e64 v6, 0, v11, s0
	s_and_b32 s0, s2, s1
	s_mov_b32 s1, 0
	v_cndmask_b32_e64 v11, v13, v14, s0
	s_mov_b32 s2, exec_lo
	ds_store_b8 v2, v11
	; wave barrier
	v_cmpx_lt_i32_e64 v6, v9
	s_cbranch_execnz .LBB62_19
; %bb.17:
	s_or_b32 exec_lo, exec_lo, s2
	s_and_saveexec_b32 s0, vcc_lo
	s_cbranch_execnz .LBB62_22
.LBB62_18:
	s_endpgm
.LBB62_19:
	v_add_nc_u32_e32 v2, v0, v10
	v_add3_u32 v11, v0, v8, v5
	.p2align	6
.LBB62_20:                              ; =>This Inner Loop Header: Depth=1
	v_sub_nc_u32_e32 v12, v9, v6
	s_delay_alu instid0(VALU_DEP_1) | instskip(NEXT) | instid1(VALU_DEP_1)
	v_lshrrev_b32_e32 v13, 31, v12
	v_add_nc_u32_e32 v12, v12, v13
	s_delay_alu instid0(VALU_DEP_1) | instskip(NEXT) | instid1(VALU_DEP_1)
	v_ashrrev_i32_e32 v12, 1, v12
	v_add_nc_u32_e32 v12, v12, v6
	s_delay_alu instid0(VALU_DEP_1)
	v_add_nc_u32_e32 v13, v2, v12
	v_xad_u32 v14, v12, -1, v11
	v_add_nc_u32_e32 v15, 1, v12
	ds_load_i8 v13, v13
	ds_load_i8 v14, v14
	s_waitcnt lgkmcnt(0)
	v_cmp_lt_i16_e64 s0, v14, v13
	s_delay_alu instid0(VALU_DEP_1) | instskip(SKIP_1) | instid1(VALU_DEP_1)
	v_cndmask_b32_e64 v9, v9, v12, s0
	v_cndmask_b32_e64 v6, v15, v6, s0
	v_cmp_ge_i32_e64 s0, v6, v9
	s_delay_alu instid0(VALU_DEP_1) | instskip(NEXT) | instid1(SALU_CYCLE_1)
	s_or_b32 s1, s0, s1
	s_and_not1_b32 exec_lo, exec_lo, s1
	s_cbranch_execnz .LBB62_20
; %bb.21:
	s_or_b32 exec_lo, exec_lo, s1
	s_delay_alu instid0(SALU_CYCLE_1)
	s_or_b32 exec_lo, exec_lo, s2
	s_and_saveexec_b32 s0, vcc_lo
	s_cbranch_execz .LBB62_18
.LBB62_22:
	v_add_nc_u32_e32 v2, v8, v5
	v_add_nc_u32_e32 v5, v6, v10
	s_delay_alu instid0(VALU_DEP_2) | instskip(NEXT) | instid1(VALU_DEP_2)
	v_sub_nc_u32_e32 v2, v2, v6
	v_cmp_le_i32_e32 vcc_lo, v8, v5
	s_delay_alu instid0(VALU_DEP_2)
	v_add_nc_u32_e32 v6, v0, v2
	v_add_nc_u32_e32 v0, v0, v5
	ds_load_u8 v6, v6
	ds_load_u8 v9, v0
	s_waitcnt lgkmcnt(1)
	v_bfe_i32 v0, v6, 0, 8
	s_waitcnt lgkmcnt(0)
	v_bfe_i32 v10, v9, 0, 8
	s_delay_alu instid0(VALU_DEP_1) | instskip(SKIP_1) | instid1(VALU_DEP_1)
	v_cmp_lt_i16_e64 s0, v0, v10
	v_add_co_u32 v0, s1, s6, v4
	v_add_co_ci_u32_e64 v4, null, s7, 0, s1
	v_cmp_gt_i32_e64 s1, v7, v2
	s_delay_alu instid0(VALU_DEP_4) | instskip(NEXT) | instid1(VALU_DEP_3)
	s_or_b32 s0, vcc_lo, s0
	v_add_co_u32 v0, vcc_lo, v0, v3
	s_delay_alu instid0(VALU_DEP_3) | instskip(NEXT) | instid1(VALU_DEP_3)
	v_add_co_ci_u32_e32 v1, vcc_lo, v4, v1, vcc_lo
	s_and_b32 vcc_lo, s1, s0
	v_cndmask_b32_e32 v2, v9, v6, vcc_lo
	global_store_b8 v[0:1], v2, off
	s_nop 0
	s_sendmsg sendmsg(MSG_DEALLOC_VGPRS)
	s_endpgm
	.section	.rodata,"a",@progbits
	.p2align	6, 0x0
	.amdhsa_kernel _Z19sort_keys_segmentedILj256ELj16ELj1EaN10test_utils4lessEEvPKT2_PS2_PKjT3_
		.amdhsa_group_segment_fixed_size 272
		.amdhsa_private_segment_fixed_size 0
		.amdhsa_kernarg_size 28
		.amdhsa_user_sgpr_count 15
		.amdhsa_user_sgpr_dispatch_ptr 0
		.amdhsa_user_sgpr_queue_ptr 0
		.amdhsa_user_sgpr_kernarg_segment_ptr 1
		.amdhsa_user_sgpr_dispatch_id 0
		.amdhsa_user_sgpr_private_segment_size 0
		.amdhsa_wavefront_size32 1
		.amdhsa_uses_dynamic_stack 0
		.amdhsa_enable_private_segment 0
		.amdhsa_system_sgpr_workgroup_id_x 1
		.amdhsa_system_sgpr_workgroup_id_y 0
		.amdhsa_system_sgpr_workgroup_id_z 0
		.amdhsa_system_sgpr_workgroup_info 0
		.amdhsa_system_vgpr_workitem_id 0
		.amdhsa_next_free_vgpr 19
		.amdhsa_next_free_sgpr 16
		.amdhsa_reserve_vcc 1
		.amdhsa_float_round_mode_32 0
		.amdhsa_float_round_mode_16_64 0
		.amdhsa_float_denorm_mode_32 3
		.amdhsa_float_denorm_mode_16_64 3
		.amdhsa_dx10_clamp 1
		.amdhsa_ieee_mode 1
		.amdhsa_fp16_overflow 0
		.amdhsa_workgroup_processor_mode 1
		.amdhsa_memory_ordered 1
		.amdhsa_forward_progress 0
		.amdhsa_shared_vgpr_count 0
		.amdhsa_exception_fp_ieee_invalid_op 0
		.amdhsa_exception_fp_denorm_src 0
		.amdhsa_exception_fp_ieee_div_zero 0
		.amdhsa_exception_fp_ieee_overflow 0
		.amdhsa_exception_fp_ieee_underflow 0
		.amdhsa_exception_fp_ieee_inexact 0
		.amdhsa_exception_int_div_zero 0
	.end_amdhsa_kernel
	.section	.text._Z19sort_keys_segmentedILj256ELj16ELj1EaN10test_utils4lessEEvPKT2_PS2_PKjT3_,"axG",@progbits,_Z19sort_keys_segmentedILj256ELj16ELj1EaN10test_utils4lessEEvPKT2_PS2_PKjT3_,comdat
.Lfunc_end62:
	.size	_Z19sort_keys_segmentedILj256ELj16ELj1EaN10test_utils4lessEEvPKT2_PS2_PKjT3_, .Lfunc_end62-_Z19sort_keys_segmentedILj256ELj16ELj1EaN10test_utils4lessEEvPKT2_PS2_PKjT3_
                                        ; -- End function
	.section	.AMDGPU.csdata,"",@progbits
; Kernel info:
; codeLenInByte = 1724
; NumSgprs: 18
; NumVgprs: 19
; ScratchSize: 0
; MemoryBound: 0
; FloatMode: 240
; IeeeMode: 1
; LDSByteSize: 272 bytes/workgroup (compile time only)
; SGPRBlocks: 2
; VGPRBlocks: 2
; NumSGPRsForWavesPerEU: 18
; NumVGPRsForWavesPerEU: 19
; Occupancy: 16
; WaveLimiterHint : 0
; COMPUTE_PGM_RSRC2:SCRATCH_EN: 0
; COMPUTE_PGM_RSRC2:USER_SGPR: 15
; COMPUTE_PGM_RSRC2:TRAP_HANDLER: 0
; COMPUTE_PGM_RSRC2:TGID_X_EN: 1
; COMPUTE_PGM_RSRC2:TGID_Y_EN: 0
; COMPUTE_PGM_RSRC2:TGID_Z_EN: 0
; COMPUTE_PGM_RSRC2:TIDIG_COMP_CNT: 0
	.section	.text._Z20sort_pairs_segmentedILj256ELj16ELj1EaN10test_utils4lessEEvPKT2_PS2_PKjT3_,"axG",@progbits,_Z20sort_pairs_segmentedILj256ELj16ELj1EaN10test_utils4lessEEvPKT2_PS2_PKjT3_,comdat
	.protected	_Z20sort_pairs_segmentedILj256ELj16ELj1EaN10test_utils4lessEEvPKT2_PS2_PKjT3_ ; -- Begin function _Z20sort_pairs_segmentedILj256ELj16ELj1EaN10test_utils4lessEEvPKT2_PS2_PKjT3_
	.globl	_Z20sort_pairs_segmentedILj256ELj16ELj1EaN10test_utils4lessEEvPKT2_PS2_PKjT3_
	.p2align	8
	.type	_Z20sort_pairs_segmentedILj256ELj16ELj1EaN10test_utils4lessEEvPKT2_PS2_PKjT3_,@function
_Z20sort_pairs_segmentedILj256ELj16ELj1EaN10test_utils4lessEEvPKT2_PS2_PKjT3_: ; @_Z20sort_pairs_segmentedILj256ELj16ELj1EaN10test_utils4lessEEvPKT2_PS2_PKjT3_
; %bb.0:
	s_clause 0x1
	s_load_b64 s[2:3], s[0:1], 0x10
	s_load_b128 s[4:7], s[0:1], 0x0
	v_lshrrev_b32_e32 v9, 4, v0
	v_mbcnt_lo_u32_b32 v6, -1, 0
	v_mov_b32_e32 v2, 0
	s_delay_alu instid0(VALU_DEP_3) | instskip(NEXT) | instid1(VALU_DEP_1)
	v_lshl_or_b32 v1, s15, 4, v9
	v_lshlrev_b64 v[3:4], 2, v[1:2]
	s_waitcnt lgkmcnt(0)
	s_delay_alu instid0(VALU_DEP_1) | instskip(NEXT) | instid1(VALU_DEP_2)
	v_add_co_u32 v3, vcc_lo, s2, v3
	v_add_co_ci_u32_e32 v4, vcc_lo, s3, v4, vcc_lo
	global_load_b32 v5, v[3:4], off
	v_and_b32_e32 v3, 15, v6
	v_lshlrev_b32_e32 v4, 4, v1
	s_waitcnt vmcnt(0)
	s_delay_alu instid0(VALU_DEP_2) | instskip(SKIP_1) | instid1(VALU_DEP_1)
	v_cmp_lt_u32_e32 vcc_lo, v3, v5
	v_cmp_ge_u32_e64 s0, v3, v5
	s_and_saveexec_b32 s1, s0
	s_delay_alu instid0(SALU_CYCLE_1)
	s_xor_b32 s0, exec_lo, s1
                                        ; implicit-def: $vgpr0_vgpr1
; %bb.1:
	v_mov_b32_e32 v1, v2
; %bb.2:
	s_or_saveexec_b32 s1, s0
                                        ; implicit-def: $vgpr2
	s_delay_alu instid0(SALU_CYCLE_1)
	s_xor_b32 exec_lo, exec_lo, s1
	s_cbranch_execz .LBB63_4
; %bb.3:
	v_add_co_u32 v0, s0, s4, v4
	s_delay_alu instid0(VALU_DEP_1) | instskip(NEXT) | instid1(VALU_DEP_2)
	v_add_co_ci_u32_e64 v1, null, s5, 0, s0
	v_add_co_u32 v0, s0, v0, v3
	s_delay_alu instid0(VALU_DEP_1)
	v_add_co_ci_u32_e64 v1, s0, 0, v1, s0
	global_load_u8 v2, v[0:1], off
	v_mov_b32_e32 v1, 0
.LBB63_4:
	s_or_b32 exec_lo, exec_lo, s1
	v_and_b32_e32 v0, 14, v6
	v_and_b32_e32 v11, 1, v6
	v_mad_u32_u24 v14, v9, 17, v3
	s_mov_b32 s2, 0
	s_mov_b32 s1, exec_lo
	v_min_i32_e32 v10, v5, v0
	v_min_i32_e32 v11, v5, v11
	; wave barrier
	s_waitcnt vmcnt(0)
	ds_store_b8 v14, v2
	v_add_nc_u32_e32 v0, 1, v10
	; wave barrier
	s_delay_alu instid0(VALU_DEP_1) | instskip(NEXT) | instid1(VALU_DEP_1)
	v_min_i32_e32 v7, v5, v0
	v_add_nc_u32_e32 v0, 1, v7
	v_sub_nc_u32_e32 v13, v7, v10
	s_delay_alu instid0(VALU_DEP_2) | instskip(NEXT) | instid1(VALU_DEP_2)
	v_min_i32_e32 v8, v5, v0
	v_min_i32_e32 v13, v11, v13
	s_delay_alu instid0(VALU_DEP_2) | instskip(NEXT) | instid1(VALU_DEP_1)
	v_sub_nc_u32_e32 v0, v8, v7
	v_sub_nc_u32_e32 v12, v11, v0
	v_cmp_ge_i32_e64 s0, v11, v0
	v_mul_u32_u24_e32 v0, 17, v9
	s_delay_alu instid0(VALU_DEP_2) | instskip(NEXT) | instid1(VALU_DEP_1)
	v_cndmask_b32_e64 v12, 0, v12, s0
	v_cmpx_lt_i32_e64 v12, v13
	s_cbranch_execz .LBB63_8
; %bb.5:
	s_delay_alu instid0(VALU_DEP_3)
	v_add_nc_u32_e32 v9, v0, v10
	v_add3_u32 v14, v0, v7, v11
	.p2align	6
.LBB63_6:                               ; =>This Inner Loop Header: Depth=1
	v_sub_nc_u32_e32 v15, v13, v12
	s_delay_alu instid0(VALU_DEP_1) | instskip(NEXT) | instid1(VALU_DEP_1)
	v_lshrrev_b32_e32 v16, 31, v15
	v_add_nc_u32_e32 v15, v15, v16
	s_delay_alu instid0(VALU_DEP_1) | instskip(NEXT) | instid1(VALU_DEP_1)
	v_ashrrev_i32_e32 v15, 1, v15
	v_add_nc_u32_e32 v15, v15, v12
	s_delay_alu instid0(VALU_DEP_1)
	v_add_nc_u32_e32 v16, v9, v15
	v_xad_u32 v17, v15, -1, v14
	v_add_nc_u32_e32 v18, 1, v15
	ds_load_i8 v16, v16
	ds_load_i8 v17, v17
	s_waitcnt lgkmcnt(0)
	v_cmp_lt_i16_e64 s0, v17, v16
	s_delay_alu instid0(VALU_DEP_1) | instskip(SKIP_1) | instid1(VALU_DEP_1)
	v_cndmask_b32_e64 v13, v13, v15, s0
	v_cndmask_b32_e64 v12, v18, v12, s0
	v_cmp_ge_i32_e64 s0, v12, v13
	s_delay_alu instid0(VALU_DEP_1) | instskip(NEXT) | instid1(SALU_CYCLE_1)
	s_or_b32 s2, s0, s2
	s_and_not1_b32 exec_lo, exec_lo, s2
	s_cbranch_execnz .LBB63_6
; %bb.7:
	s_or_b32 exec_lo, exec_lo, s2
.LBB63_8:
	s_delay_alu instid0(SALU_CYCLE_1) | instskip(SKIP_2) | instid1(VALU_DEP_2)
	s_or_b32 exec_lo, exec_lo, s1
	v_add_nc_u32_e32 v9, v7, v11
	v_add_nc_u32_e32 v11, v12, v10
	v_sub_nc_u32_e32 v9, v9, v12
	s_delay_alu instid0(VALU_DEP_2) | instskip(SKIP_1) | instid1(VALU_DEP_3)
	v_add_nc_u32_e32 v10, v0, v11
	v_cmp_le_i32_e64 s0, v7, v11
	v_add_nc_u32_e32 v12, v0, v9
	v_cmp_gt_i32_e64 s2, v8, v9
	v_add_nc_u16 v8, v2, 1
	v_add_nc_u32_e32 v2, v0, v3
	ds_load_u8 v13, v10
	ds_load_u8 v12, v12
	v_and_b32_e32 v10, 12, v6
	; wave barrier
	ds_store_b8 v2, v8
	v_and_b32_e32 v8, 3, v6
	v_min_i32_e32 v10, v5, v10
	; wave barrier
	s_delay_alu instid0(VALU_DEP_1) | instskip(NEXT) | instid1(VALU_DEP_1)
	v_add_nc_u32_e32 v16, 2, v10
	v_min_i32_e32 v7, v5, v16
	s_waitcnt lgkmcnt(2)
	v_bfe_i32 v14, v13, 0, 8
	s_waitcnt lgkmcnt(1)
	v_bfe_i32 v15, v12, 0, 8
	s_delay_alu instid0(VALU_DEP_1) | instskip(SKIP_1) | instid1(VALU_DEP_2)
	v_cmp_lt_i16_e64 s1, v15, v14
	v_add_nc_u32_e32 v14, 2, v7
	s_or_b32 s0, s0, s1
	s_mov_b32 s1, exec_lo
	s_and_b32 s0, s2, s0
	s_mov_b32 s2, 0
	v_cndmask_b32_e64 v11, v11, v9, s0
	v_cndmask_b32_e64 v15, v13, v12, s0
	v_min_i32_e32 v9, v5, v14
	v_sub_nc_u32_e32 v14, v7, v10
	s_delay_alu instid0(VALU_DEP_4) | instskip(SKIP_1) | instid1(VALU_DEP_4)
	v_add_nc_u32_e32 v12, v0, v11
	v_min_i32_e32 v11, v5, v8
	v_sub_nc_u32_e32 v13, v9, v7
	ds_load_u8 v8, v12
	v_sub_nc_u32_e32 v12, v11, v13
	v_cmp_ge_i32_e64 s0, v11, v13
	v_min_i32_e32 v13, v11, v14
	; wave barrier
	ds_store_b8 v2, v15
	v_cndmask_b32_e64 v12, 0, v12, s0
	; wave barrier
	s_delay_alu instid0(VALU_DEP_1)
	v_cmpx_lt_i32_e64 v12, v13
	s_cbranch_execz .LBB63_12
; %bb.9:
	v_add_nc_u32_e32 v14, v0, v10
	v_add3_u32 v15, v0, v7, v11
	.p2align	6
.LBB63_10:                              ; =>This Inner Loop Header: Depth=1
	v_sub_nc_u32_e32 v16, v13, v12
	s_delay_alu instid0(VALU_DEP_1) | instskip(NEXT) | instid1(VALU_DEP_1)
	v_lshrrev_b32_e32 v17, 31, v16
	v_add_nc_u32_e32 v16, v16, v17
	s_delay_alu instid0(VALU_DEP_1) | instskip(NEXT) | instid1(VALU_DEP_1)
	v_ashrrev_i32_e32 v16, 1, v16
	v_add_nc_u32_e32 v16, v16, v12
	s_delay_alu instid0(VALU_DEP_1)
	v_add_nc_u32_e32 v17, v14, v16
	v_xad_u32 v18, v16, -1, v15
	v_add_nc_u32_e32 v19, 1, v16
	ds_load_i8 v17, v17
	ds_load_i8 v18, v18
	s_waitcnt lgkmcnt(0)
	v_cmp_lt_i16_e64 s0, v18, v17
	s_delay_alu instid0(VALU_DEP_1) | instskip(SKIP_1) | instid1(VALU_DEP_1)
	v_cndmask_b32_e64 v13, v13, v16, s0
	v_cndmask_b32_e64 v12, v19, v12, s0
	v_cmp_ge_i32_e64 s0, v12, v13
	s_delay_alu instid0(VALU_DEP_1) | instskip(NEXT) | instid1(SALU_CYCLE_1)
	s_or_b32 s2, s0, s2
	s_and_not1_b32 exec_lo, exec_lo, s2
	s_cbranch_execnz .LBB63_10
; %bb.11:
	s_or_b32 exec_lo, exec_lo, s2
.LBB63_12:
	s_delay_alu instid0(SALU_CYCLE_1) | instskip(SKIP_2) | instid1(VALU_DEP_2)
	s_or_b32 exec_lo, exec_lo, s1
	v_add_nc_u32_e32 v11, v7, v11
	v_add_nc_u32_e32 v13, v12, v10
	v_sub_nc_u32_e32 v11, v11, v12
	s_delay_alu instid0(VALU_DEP_2) | instskip(SKIP_1) | instid1(VALU_DEP_3)
	v_add_nc_u32_e32 v10, v0, v13
	v_cmp_le_i32_e64 s0, v7, v13
	v_add_nc_u32_e32 v12, v0, v11
	v_cmp_gt_i32_e64 s2, v9, v11
	ds_load_u8 v14, v10
	ds_load_u8 v12, v12
	v_and_b32_e32 v10, 8, v6
	v_and_b32_e32 v6, 7, v6
	; wave barrier
	s_waitcnt lgkmcnt(3)
	ds_store_b8 v2, v8
	v_min_i32_e32 v10, v5, v10
	; wave barrier
	s_delay_alu instid0(VALU_DEP_1) | instskip(NEXT) | instid1(VALU_DEP_1)
	v_add_nc_u32_e32 v17, 4, v10
	v_min_i32_e32 v7, v5, v17
	s_waitcnt lgkmcnt(2)
	v_bfe_i32 v15, v14, 0, 8
	s_waitcnt lgkmcnt(1)
	v_bfe_i32 v16, v12, 0, 8
	v_add_nc_u32_e32 v9, 4, v7
	s_delay_alu instid0(VALU_DEP_2) | instskip(NEXT) | instid1(VALU_DEP_2)
	v_cmp_lt_i16_e64 s1, v16, v15
	v_min_i32_e32 v8, v5, v9
	v_min_i32_e32 v9, v5, v6
	s_delay_alu instid0(VALU_DEP_3)
	s_or_b32 s0, s0, s1
	s_mov_b32 s1, exec_lo
	s_and_b32 s0, s2, s0
	s_mov_b32 s2, 0
	v_cndmask_b32_e64 v11, v13, v11, s0
	v_cndmask_b32_e64 v14, v14, v12, s0
	v_sub_nc_u32_e32 v12, v8, v7
	v_sub_nc_u32_e32 v13, v7, v10
	s_delay_alu instid0(VALU_DEP_4) | instskip(NEXT) | instid1(VALU_DEP_3)
	v_add_nc_u32_e32 v11, v0, v11
	v_cmp_ge_i32_e64 s0, v9, v12
	ds_load_u8 v6, v11
	v_sub_nc_u32_e32 v11, v9, v12
	v_min_i32_e32 v12, v9, v13
	; wave barrier
	ds_store_b8 v2, v14
	v_cndmask_b32_e64 v11, 0, v11, s0
	; wave barrier
	s_delay_alu instid0(VALU_DEP_1)
	v_cmpx_lt_i32_e64 v11, v12
	s_cbranch_execz .LBB63_16
; %bb.13:
	v_add_nc_u32_e32 v13, v0, v10
	v_add3_u32 v14, v0, v7, v9
	.p2align	6
.LBB63_14:                              ; =>This Inner Loop Header: Depth=1
	v_sub_nc_u32_e32 v15, v12, v11
	s_delay_alu instid0(VALU_DEP_1) | instskip(NEXT) | instid1(VALU_DEP_1)
	v_lshrrev_b32_e32 v16, 31, v15
	v_add_nc_u32_e32 v15, v15, v16
	s_delay_alu instid0(VALU_DEP_1) | instskip(NEXT) | instid1(VALU_DEP_1)
	v_ashrrev_i32_e32 v15, 1, v15
	v_add_nc_u32_e32 v15, v15, v11
	s_delay_alu instid0(VALU_DEP_1)
	v_add_nc_u32_e32 v16, v13, v15
	v_xad_u32 v17, v15, -1, v14
	v_add_nc_u32_e32 v18, 1, v15
	ds_load_i8 v16, v16
	ds_load_i8 v17, v17
	s_waitcnt lgkmcnt(0)
	v_cmp_lt_i16_e64 s0, v17, v16
	s_delay_alu instid0(VALU_DEP_1) | instskip(SKIP_1) | instid1(VALU_DEP_1)
	v_cndmask_b32_e64 v12, v12, v15, s0
	v_cndmask_b32_e64 v11, v18, v11, s0
	v_cmp_ge_i32_e64 s0, v11, v12
	s_delay_alu instid0(VALU_DEP_1) | instskip(NEXT) | instid1(SALU_CYCLE_1)
	s_or_b32 s2, s0, s2
	s_and_not1_b32 exec_lo, exec_lo, s2
	s_cbranch_execnz .LBB63_14
; %bb.15:
	s_or_b32 exec_lo, exec_lo, s2
.LBB63_16:
	s_delay_alu instid0(SALU_CYCLE_1) | instskip(SKIP_2) | instid1(VALU_DEP_2)
	s_or_b32 exec_lo, exec_lo, s1
	v_add_nc_u32_e32 v9, v7, v9
	v_add_nc_u32_e32 v10, v11, v10
	v_sub_nc_u32_e32 v11, v9, v11
	s_delay_alu instid0(VALU_DEP_2) | instskip(SKIP_1) | instid1(VALU_DEP_3)
	v_add_nc_u32_e32 v9, v0, v10
	v_cmp_le_i32_e64 s0, v7, v10
	v_add_nc_u32_e32 v12, v0, v11
	v_cmp_gt_i32_e64 s2, v8, v11
	ds_load_u8 v13, v9
	ds_load_u8 v12, v12
	v_min_i32_e32 v9, 0, v5
	; wave barrier
	s_waitcnt lgkmcnt(3)
	ds_store_b8 v2, v6
	v_add_nc_u32_e32 v7, 8, v9
	; wave barrier
	s_delay_alu instid0(VALU_DEP_1) | instskip(NEXT) | instid1(VALU_DEP_1)
	v_min_i32_e32 v7, v5, v7
	v_add_nc_u32_e32 v8, 8, v7
	s_waitcnt lgkmcnt(2)
	v_bfe_i32 v14, v13, 0, 8
	s_waitcnt lgkmcnt(1)
	v_bfe_i32 v15, v12, 0, 8
	v_min_i32_e32 v6, v5, v8
	v_min_i32_e32 v8, v5, v3
	s_delay_alu instid0(VALU_DEP_3) | instskip(NEXT) | instid1(VALU_DEP_1)
	v_cmp_lt_i16_e64 s1, v15, v14
	s_or_b32 s0, s0, s1
	s_mov_b32 s1, exec_lo
	s_and_b32 s0, s2, s0
	s_mov_b32 s2, 0
	v_cndmask_b32_e64 v10, v10, v11, s0
	v_sub_nc_u32_e32 v11, v6, v7
	v_cndmask_b32_e64 v12, v13, v12, s0
	v_sub_nc_u32_e32 v13, v7, v9
	s_delay_alu instid0(VALU_DEP_4) | instskip(NEXT) | instid1(VALU_DEP_4)
	v_add_nc_u32_e32 v10, v0, v10
	v_cmp_ge_i32_e64 s0, v8, v11
	ds_load_u8 v5, v10
	v_sub_nc_u32_e32 v10, v8, v11
	v_min_i32_e32 v11, v8, v13
	; wave barrier
	ds_store_b8 v2, v12
	v_cndmask_b32_e64 v10, 0, v10, s0
	; wave barrier
	s_delay_alu instid0(VALU_DEP_1)
	v_cmpx_lt_i32_e64 v10, v11
	s_cbranch_execz .LBB63_20
; %bb.17:
	v_add_nc_u32_e32 v12, v0, v9
	v_add3_u32 v13, v0, v7, v8
	.p2align	6
.LBB63_18:                              ; =>This Inner Loop Header: Depth=1
	v_sub_nc_u32_e32 v14, v11, v10
	s_delay_alu instid0(VALU_DEP_1) | instskip(NEXT) | instid1(VALU_DEP_1)
	v_lshrrev_b32_e32 v15, 31, v14
	v_add_nc_u32_e32 v14, v14, v15
	s_delay_alu instid0(VALU_DEP_1) | instskip(NEXT) | instid1(VALU_DEP_1)
	v_ashrrev_i32_e32 v14, 1, v14
	v_add_nc_u32_e32 v14, v14, v10
	s_delay_alu instid0(VALU_DEP_1)
	v_add_nc_u32_e32 v15, v12, v14
	v_xad_u32 v16, v14, -1, v13
	v_add_nc_u32_e32 v17, 1, v14
	ds_load_i8 v15, v15
	ds_load_i8 v16, v16
	s_waitcnt lgkmcnt(0)
	v_cmp_lt_i16_e64 s0, v16, v15
	s_delay_alu instid0(VALU_DEP_1) | instskip(SKIP_1) | instid1(VALU_DEP_1)
	v_cndmask_b32_e64 v11, v11, v14, s0
	v_cndmask_b32_e64 v10, v17, v10, s0
	v_cmp_ge_i32_e64 s0, v10, v11
	s_delay_alu instid0(VALU_DEP_1) | instskip(NEXT) | instid1(SALU_CYCLE_1)
	s_or_b32 s2, s0, s2
	s_and_not1_b32 exec_lo, exec_lo, s2
	s_cbranch_execnz .LBB63_18
; %bb.19:
	s_or_b32 exec_lo, exec_lo, s2
.LBB63_20:
	s_delay_alu instid0(SALU_CYCLE_1) | instskip(SKIP_2) | instid1(VALU_DEP_2)
	s_or_b32 exec_lo, exec_lo, s1
	v_add_nc_u32_e32 v11, v7, v8
	v_add_nc_u32_e32 v8, v10, v9
	v_sub_nc_u32_e32 v9, v11, v10
	s_delay_alu instid0(VALU_DEP_2) | instskip(NEXT) | instid1(VALU_DEP_2)
	v_add_nc_u32_e32 v10, v0, v8
	v_add_nc_u32_e32 v11, v0, v9
	ds_load_i8 v10, v10
	ds_load_i8 v11, v11
	; wave barrier
	s_waitcnt lgkmcnt(3)
	ds_store_b8 v2, v5
	; wave barrier
	s_and_saveexec_b32 s0, vcc_lo
	s_cbranch_execz .LBB63_22
; %bb.21:
	s_waitcnt lgkmcnt(2)
	v_bfe_i32 v2, v10, 0, 8
	s_waitcnt lgkmcnt(1)
	v_bfe_i32 v5, v11, 0, 8
	v_cmp_le_i32_e32 vcc_lo, v7, v8
	v_cmp_gt_i32_e64 s1, v6, v9
	s_delay_alu instid0(VALU_DEP_3) | instskip(NEXT) | instid1(VALU_DEP_1)
	v_cmp_lt_i16_e64 s0, v5, v2
	s_or_b32 s0, vcc_lo, s0
	s_delay_alu instid0(VALU_DEP_2) | instid1(SALU_CYCLE_1)
	s_and_b32 vcc_lo, s1, s0
	v_dual_cndmask_b32 v2, v10, v11 :: v_dual_cndmask_b32 v5, v8, v9
	s_delay_alu instid0(VALU_DEP_1) | instskip(SKIP_2) | instid1(VALU_DEP_1)
	v_add_nc_u32_e32 v0, v0, v5
	ds_load_u8 v5, v0
	v_add_co_u32 v0, s0, s6, v4
	v_add_co_ci_u32_e64 v4, null, s7, 0, s0
	s_delay_alu instid0(VALU_DEP_2) | instskip(NEXT) | instid1(VALU_DEP_2)
	v_add_co_u32 v0, vcc_lo, v0, v3
	v_add_co_ci_u32_e32 v1, vcc_lo, v4, v1, vcc_lo
	s_waitcnt lgkmcnt(0)
	v_add_nc_u16 v2, v5, v2
	global_store_b8 v[0:1], v2, off
.LBB63_22:
	s_nop 0
	s_sendmsg sendmsg(MSG_DEALLOC_VGPRS)
	s_endpgm
	.section	.rodata,"a",@progbits
	.p2align	6, 0x0
	.amdhsa_kernel _Z20sort_pairs_segmentedILj256ELj16ELj1EaN10test_utils4lessEEvPKT2_PS2_PKjT3_
		.amdhsa_group_segment_fixed_size 272
		.amdhsa_private_segment_fixed_size 0
		.amdhsa_kernarg_size 28
		.amdhsa_user_sgpr_count 15
		.amdhsa_user_sgpr_dispatch_ptr 0
		.amdhsa_user_sgpr_queue_ptr 0
		.amdhsa_user_sgpr_kernarg_segment_ptr 1
		.amdhsa_user_sgpr_dispatch_id 0
		.amdhsa_user_sgpr_private_segment_size 0
		.amdhsa_wavefront_size32 1
		.amdhsa_uses_dynamic_stack 0
		.amdhsa_enable_private_segment 0
		.amdhsa_system_sgpr_workgroup_id_x 1
		.amdhsa_system_sgpr_workgroup_id_y 0
		.amdhsa_system_sgpr_workgroup_id_z 0
		.amdhsa_system_sgpr_workgroup_info 0
		.amdhsa_system_vgpr_workitem_id 0
		.amdhsa_next_free_vgpr 20
		.amdhsa_next_free_sgpr 16
		.amdhsa_reserve_vcc 1
		.amdhsa_float_round_mode_32 0
		.amdhsa_float_round_mode_16_64 0
		.amdhsa_float_denorm_mode_32 3
		.amdhsa_float_denorm_mode_16_64 3
		.amdhsa_dx10_clamp 1
		.amdhsa_ieee_mode 1
		.amdhsa_fp16_overflow 0
		.amdhsa_workgroup_processor_mode 1
		.amdhsa_memory_ordered 1
		.amdhsa_forward_progress 0
		.amdhsa_shared_vgpr_count 0
		.amdhsa_exception_fp_ieee_invalid_op 0
		.amdhsa_exception_fp_denorm_src 0
		.amdhsa_exception_fp_ieee_div_zero 0
		.amdhsa_exception_fp_ieee_overflow 0
		.amdhsa_exception_fp_ieee_underflow 0
		.amdhsa_exception_fp_ieee_inexact 0
		.amdhsa_exception_int_div_zero 0
	.end_amdhsa_kernel
	.section	.text._Z20sort_pairs_segmentedILj256ELj16ELj1EaN10test_utils4lessEEvPKT2_PS2_PKjT3_,"axG",@progbits,_Z20sort_pairs_segmentedILj256ELj16ELj1EaN10test_utils4lessEEvPKT2_PS2_PKjT3_,comdat
.Lfunc_end63:
	.size	_Z20sort_pairs_segmentedILj256ELj16ELj1EaN10test_utils4lessEEvPKT2_PS2_PKjT3_, .Lfunc_end63-_Z20sort_pairs_segmentedILj256ELj16ELj1EaN10test_utils4lessEEvPKT2_PS2_PKjT3_
                                        ; -- End function
	.section	.AMDGPU.csdata,"",@progbits
; Kernel info:
; codeLenInByte = 1848
; NumSgprs: 18
; NumVgprs: 20
; ScratchSize: 0
; MemoryBound: 0
; FloatMode: 240
; IeeeMode: 1
; LDSByteSize: 272 bytes/workgroup (compile time only)
; SGPRBlocks: 2
; VGPRBlocks: 2
; NumSGPRsForWavesPerEU: 18
; NumVGPRsForWavesPerEU: 20
; Occupancy: 16
; WaveLimiterHint : 0
; COMPUTE_PGM_RSRC2:SCRATCH_EN: 0
; COMPUTE_PGM_RSRC2:USER_SGPR: 15
; COMPUTE_PGM_RSRC2:TRAP_HANDLER: 0
; COMPUTE_PGM_RSRC2:TGID_X_EN: 1
; COMPUTE_PGM_RSRC2:TGID_Y_EN: 0
; COMPUTE_PGM_RSRC2:TGID_Z_EN: 0
; COMPUTE_PGM_RSRC2:TIDIG_COMP_CNT: 0
	.section	.text._Z9sort_keysILj256ELj16ELj4EaN10test_utils4lessEEvPKT2_PS2_T3_,"axG",@progbits,_Z9sort_keysILj256ELj16ELj4EaN10test_utils4lessEEvPKT2_PS2_T3_,comdat
	.protected	_Z9sort_keysILj256ELj16ELj4EaN10test_utils4lessEEvPKT2_PS2_T3_ ; -- Begin function _Z9sort_keysILj256ELj16ELj4EaN10test_utils4lessEEvPKT2_PS2_T3_
	.globl	_Z9sort_keysILj256ELj16ELj4EaN10test_utils4lessEEvPKT2_PS2_T3_
	.p2align	8
	.type	_Z9sort_keysILj256ELj16ELj4EaN10test_utils4lessEEvPKT2_PS2_T3_,@function
_Z9sort_keysILj256ELj16ELj4EaN10test_utils4lessEEvPKT2_PS2_T3_: ; @_Z9sort_keysILj256ELj16ELj4EaN10test_utils4lessEEvPKT2_PS2_T3_
; %bb.0:
	s_load_b128 s[4:7], s[0:1], 0x0
	s_lshl_b32 s8, s15, 10
	v_lshlrev_b32_e32 v1, 2, v0
	v_lshrrev_b32_e32 v0, 4, v0
	s_waitcnt lgkmcnt(0)
	s_add_u32 s0, s4, s8
	s_addc_u32 s1, s5, 0
	global_load_b32 v2, v1, s[0:1]
	s_mov_b32 s1, exec_lo
	; wave barrier
	s_waitcnt vmcnt(0)
	v_lshrrev_b32_e32 v3, 8, v2
	v_bfe_i32 v4, v2, 0, 8
	v_perm_b32 v5, v2, v2, 0x7060405
	s_delay_alu instid0(VALU_DEP_3) | instskip(NEXT) | instid1(VALU_DEP_1)
	v_bfe_i32 v3, v3, 0, 8
	v_cmp_lt_i16_e32 vcc_lo, v3, v4
	s_delay_alu instid0(VALU_DEP_3) | instskip(NEXT) | instid1(VALU_DEP_1)
	v_cndmask_b32_e32 v2, v2, v5, vcc_lo
	v_lshrrev_b32_e32 v5, 16, v2
	v_lshrrev_b32_e32 v7, 24, v2
	s_delay_alu instid0(VALU_DEP_2) | instskip(NEXT) | instid1(VALU_DEP_2)
	v_perm_b32 v6, 0, v5, 0xc0c0001
	v_bfe_i32 v7, v7, 0, 8
	v_bfe_i32 v5, v5, 0, 8
	s_delay_alu instid0(VALU_DEP_3) | instskip(NEXT) | instid1(VALU_DEP_2)
	v_lshlrev_b32_e32 v6, 16, v6
	v_cmp_lt_i16_e32 vcc_lo, v7, v5
	v_min_i16 v8, v7, v5
	v_max_i16 v5, v7, v5
	s_delay_alu instid0(VALU_DEP_4) | instskip(NEXT) | instid1(VALU_DEP_3)
	v_and_or_b32 v6, 0xffff, v2, v6
	v_lshlrev_b16 v11, 8, v8
	s_delay_alu instid0(VALU_DEP_2) | instskip(SKIP_2) | instid1(VALU_DEP_3)
	v_cndmask_b32_e32 v2, v2, v6, vcc_lo
	v_max_i16 v6, v3, v4
	v_min_i16 v3, v3, v4
	v_lshrrev_b32_e32 v9, 16, v2
	s_delay_alu instid0(VALU_DEP_3)
	v_and_b32_e32 v10, 0xff, v6
	v_min_i16 v13, v8, v6
	v_cmp_lt_i16_e32 vcc_lo, v8, v6
	v_max_i16 v7, v8, v6
	v_and_b32_e32 v9, 0xffffff00, v9
	v_and_b32_e32 v12, 0xff, v2
	v_cmp_gt_i16_e64 s0, v6, v5
	s_delay_alu instid0(VALU_DEP_3) | instskip(NEXT) | instid1(VALU_DEP_3)
	v_or_b32_e32 v9, v10, v9
	v_or_b32_e32 v4, v12, v11
	v_lshlrev_b16 v10, 8, v3
	s_delay_alu instid0(VALU_DEP_3) | instskip(NEXT) | instid1(VALU_DEP_3)
	v_lshlrev_b32_e32 v9, 16, v9
	v_and_b32_e32 v4, 0xffff, v4
	s_delay_alu instid0(VALU_DEP_1) | instskip(SKIP_1) | instid1(VALU_DEP_2)
	v_or_b32_e32 v4, v4, v9
	v_and_b32_e32 v11, 0xff, v13
	v_dual_cndmask_b32 v2, v2, v4 :: v_dual_and_b32 v9, 0xff, v5
	s_delay_alu instid0(VALU_DEP_2) | instskip(SKIP_3) | instid1(VALU_DEP_4)
	v_or_b32_e32 v10, v11, v10
	v_lshlrev_b16 v11, 8, v7
	v_cmp_lt_i16_e32 vcc_lo, v8, v3
	v_mbcnt_lo_u32_b32 v8, -1, 0
	v_and_b32_e32 v10, 0xffff, v10
	s_delay_alu instid0(VALU_DEP_4) | instskip(SKIP_2) | instid1(VALU_DEP_4)
	v_or_b32_e32 v4, v9, v11
	v_cndmask_b32_e32 v12, v13, v3, vcc_lo
	v_cndmask_b32_e64 v13, v7, v5, s0
	v_and_or_b32 v9, 0xffff0000, v2, v10
	s_delay_alu instid0(VALU_DEP_4) | instskip(NEXT) | instid1(VALU_DEP_2)
	v_lshlrev_b32_e32 v4, 16, v4
	v_dual_cndmask_b32 v2, v2, v9 :: v_dual_and_b32 v3, 0xff, v12
	s_delay_alu instid0(VALU_DEP_4) | instskip(NEXT) | instid1(VALU_DEP_2)
	v_lshlrev_b16 v9, 8, v13
	v_and_or_b32 v4, 0xffff, v2, v4
	s_delay_alu instid0(VALU_DEP_1) | instskip(SKIP_2) | instid1(VALU_DEP_2)
	v_cndmask_b32_e64 v10, v2, v4, s0
	v_lshlrev_b32_e32 v4, 2, v8
	s_mov_b32 s0, 0
	v_lshrrev_b32_e32 v2, 16, v10
	s_delay_alu instid0(VALU_DEP_2) | instskip(SKIP_1) | instid1(VALU_DEP_3)
	v_and_b32_e32 v5, 56, v4
	v_and_b32_e32 v7, 0xff, v10
	;; [unrolled: 1-line block ×3, first 2 shown]
	s_delay_alu instid0(VALU_DEP_3) | instskip(SKIP_1) | instid1(VALU_DEP_4)
	v_or_b32_e32 v8, 4, v5
	v_add_nc_u32_e32 v6, 8, v5
	v_or_b32_e32 v9, v7, v9
	v_and_b32_e32 v7, 4, v4
	v_or_b32_e32 v3, v3, v2
	v_and_b32_e32 v2, 60, v4
	v_sub_nc_u32_e32 v11, v6, v8
	v_and_b32_e32 v9, 0xffff, v9
	v_sub_nc_u32_e32 v15, v8, v5
	v_lshlrev_b32_e32 v14, 16, v3
	v_mad_u32_u24 v3, 0x41, v0, v2
	v_sub_nc_u32_e32 v16, v7, v11
	v_cmp_ge_i32_e32 vcc_lo, v7, v11
	v_mul_u32_u24_e32 v0, 0x41, v0
	v_or_b32_e32 v14, v9, v14
	v_min_i32_e32 v9, v7, v15
	v_cndmask_b32_e32 v11, 0, v16, vcc_lo
	v_cmp_lt_i16_e32 vcc_lo, v13, v12
	s_delay_alu instid0(VALU_DEP_4)
	v_cndmask_b32_e32 v10, v10, v14, vcc_lo
	ds_store_b32 v3, v10
	; wave barrier
	v_cmpx_lt_i32_e64 v11, v9
	s_cbranch_execz .LBB64_4
; %bb.1:
	v_add_nc_u32_e32 v10, v0, v5
	s_delay_alu instid0(VALU_DEP_1)
	v_add3_u32 v12, v10, v7, 4
	.p2align	6
.LBB64_2:                               ; =>This Inner Loop Header: Depth=1
	v_sub_nc_u32_e32 v13, v9, v11
	s_delay_alu instid0(VALU_DEP_1) | instskip(NEXT) | instid1(VALU_DEP_1)
	v_lshrrev_b32_e32 v14, 31, v13
	v_add_nc_u32_e32 v13, v13, v14
	s_delay_alu instid0(VALU_DEP_1) | instskip(NEXT) | instid1(VALU_DEP_1)
	v_ashrrev_i32_e32 v13, 1, v13
	v_add_nc_u32_e32 v13, v13, v11
	s_delay_alu instid0(VALU_DEP_1)
	v_add_nc_u32_e32 v16, 1, v13
	v_add_nc_u32_e32 v14, v10, v13
	v_xad_u32 v15, v13, -1, v12
	ds_load_i8 v14, v14
	ds_load_i8 v15, v15
	s_waitcnt lgkmcnt(0)
	v_cmp_lt_i16_e32 vcc_lo, v15, v14
	v_cndmask_b32_e32 v11, v16, v11, vcc_lo
	v_cndmask_b32_e32 v9, v9, v13, vcc_lo
	s_delay_alu instid0(VALU_DEP_1) | instskip(SKIP_1) | instid1(SALU_CYCLE_1)
	v_cmp_ge_i32_e32 vcc_lo, v11, v9
	s_or_b32 s0, vcc_lo, s0
	s_and_not1_b32 exec_lo, exec_lo, s0
	s_cbranch_execnz .LBB64_2
; %bb.3:
	s_or_b32 exec_lo, exec_lo, s0
.LBB64_4:
	s_delay_alu instid0(SALU_CYCLE_1) | instskip(SKIP_4) | instid1(VALU_DEP_4)
	s_or_b32 exec_lo, exec_lo, s1
	v_add_nc_u32_e32 v9, v5, v7
	v_add_nc_u32_e32 v5, v11, v5
	;; [unrolled: 1-line block ×3, first 2 shown]
	v_cmp_lt_i32_e32 vcc_lo, 3, v11
	v_sub_nc_u32_e32 v9, v9, v11
	s_delay_alu instid0(VALU_DEP_4) | instskip(NEXT) | instid1(VALU_DEP_4)
	v_add_nc_u32_e32 v12, v0, v5
	v_sub_nc_u32_e32 v7, v7, v11
                                        ; implicit-def: $vgpr11
	s_delay_alu instid0(VALU_DEP_3)
	v_add_nc_u32_e32 v13, v0, v9
	ds_load_u8 v9, v12
	ds_load_u8 v10, v13 offset:4
	v_cmp_gt_i32_e64 s1, v6, v7
	s_waitcnt lgkmcnt(1)
	v_bfe_i32 v9, v9, 0, 8
	s_waitcnt lgkmcnt(0)
	v_bfe_i32 v10, v10, 0, 8
	s_delay_alu instid0(VALU_DEP_1) | instskip(NEXT) | instid1(VALU_DEP_1)
	v_cmp_lt_i16_e64 s0, v10, v9
	s_or_b32 s0, vcc_lo, s0
	s_delay_alu instid0(SALU_CYCLE_1) | instskip(NEXT) | instid1(SALU_CYCLE_1)
	s_and_b32 vcc_lo, s1, s0
	s_xor_b32 s0, vcc_lo, -1
	s_delay_alu instid0(SALU_CYCLE_1) | instskip(NEXT) | instid1(SALU_CYCLE_1)
	s_and_saveexec_b32 s1, s0
	s_xor_b32 s0, exec_lo, s1
	s_cbranch_execz .LBB64_6
; %bb.5:
	ds_load_u8 v11, v12 offset:1
                                        ; implicit-def: $vgpr13
.LBB64_6:
	s_or_saveexec_b32 s0, s0
	v_mov_b32_e32 v12, v10
	s_xor_b32 exec_lo, exec_lo, s0
	s_cbranch_execz .LBB64_8
; %bb.7:
	ds_load_u8 v12, v13 offset:5
	s_waitcnt lgkmcnt(1)
	v_mov_b32_e32 v11, v9
.LBB64_8:
	s_or_b32 exec_lo, exec_lo, s0
	v_add_nc_u32_e32 v13, 1, v5
	v_add_nc_u32_e32 v15, 1, v7
	s_waitcnt lgkmcnt(0)
	v_bfe_i32 v16, v11, 0, 8
	s_delay_alu instid0(VALU_DEP_3) | instskip(SKIP_2) | instid1(VALU_DEP_3)
	v_cndmask_b32_e32 v14, v13, v5, vcc_lo
	v_bfe_i32 v5, v12, 0, 8
	v_cndmask_b32_e32 v13, v7, v15, vcc_lo
	v_cmp_ge_i32_e64 s0, v14, v8
	s_delay_alu instid0(VALU_DEP_3) | instskip(NEXT) | instid1(VALU_DEP_3)
	v_cmp_lt_i16_e64 s1, v5, v16
	v_cmp_lt_i32_e64 s2, v13, v6
                                        ; implicit-def: $vgpr5
	s_delay_alu instid0(VALU_DEP_2)
	s_or_b32 s0, s0, s1
	s_delay_alu instid0(VALU_DEP_1) | instid1(SALU_CYCLE_1)
	s_and_b32 s0, s2, s0
	s_delay_alu instid0(SALU_CYCLE_1) | instskip(NEXT) | instid1(SALU_CYCLE_1)
	s_xor_b32 s1, s0, -1
	s_and_saveexec_b32 s2, s1
	s_delay_alu instid0(SALU_CYCLE_1)
	s_xor_b32 s1, exec_lo, s2
	s_cbranch_execz .LBB64_10
; %bb.9:
	v_add_nc_u32_e32 v5, v0, v14
	ds_load_u8 v5, v5 offset:1
.LBB64_10:
	s_or_saveexec_b32 s1, s1
	v_mov_b32_e32 v7, v12
	s_xor_b32 exec_lo, exec_lo, s1
	s_cbranch_execz .LBB64_12
; %bb.11:
	s_waitcnt lgkmcnt(0)
	v_add_nc_u32_e32 v5, v0, v13
	ds_load_u8 v7, v5 offset:1
	v_mov_b32_e32 v5, v11
.LBB64_12:
	s_or_b32 exec_lo, exec_lo, s1
	v_add_nc_u32_e32 v15, 1, v14
	v_add_nc_u32_e32 v16, 1, v13
	s_waitcnt lgkmcnt(0)
	v_bfe_i32 v17, v5, 0, 8
	s_delay_alu instid0(VALU_DEP_3) | instskip(SKIP_2) | instid1(VALU_DEP_3)
	v_cndmask_b32_e64 v14, v15, v14, s0
	v_bfe_i32 v15, v7, 0, 8
	v_cndmask_b32_e64 v16, v13, v16, s0
	v_cmp_ge_i32_e64 s1, v14, v8
	s_delay_alu instid0(VALU_DEP_3) | instskip(NEXT) | instid1(VALU_DEP_3)
	v_cmp_lt_i16_e64 s2, v15, v17
	v_cmp_lt_i32_e64 s3, v16, v6
                                        ; implicit-def: $vgpr15
	s_delay_alu instid0(VALU_DEP_2)
	s_or_b32 s1, s1, s2
	s_delay_alu instid0(VALU_DEP_1) | instid1(SALU_CYCLE_1)
	s_and_b32 s1, s3, s1
	s_delay_alu instid0(SALU_CYCLE_1) | instskip(NEXT) | instid1(SALU_CYCLE_1)
	s_xor_b32 s2, s1, -1
	s_and_saveexec_b32 s3, s2
	s_delay_alu instid0(SALU_CYCLE_1)
	s_xor_b32 s2, exec_lo, s3
	s_cbranch_execz .LBB64_14
; %bb.13:
	v_add_nc_u32_e32 v13, v0, v14
	ds_load_u8 v15, v13 offset:1
.LBB64_14:
	s_or_saveexec_b32 s2, s2
	v_mov_b32_e32 v17, v7
	s_xor_b32 exec_lo, exec_lo, s2
	s_cbranch_execz .LBB64_16
; %bb.15:
	v_add_nc_u32_e32 v13, v0, v16
	s_waitcnt lgkmcnt(0)
	v_mov_b32_e32 v15, v5
	ds_load_u8 v17, v13 offset:1
.LBB64_16:
	s_or_b32 exec_lo, exec_lo, s2
	v_dual_cndmask_b32 v9, v9, v10 :: v_dual_add_nc_u32 v18, 1, v16
	v_add_nc_u32_e32 v19, 1, v14
	s_waitcnt lgkmcnt(0)
	v_bfe_i32 v21, v17, 0, 8
	v_cndmask_b32_e64 v20, v5, v7, s1
	v_cndmask_b32_e64 v16, v16, v18, s1
	;; [unrolled: 1-line block ×4, first 2 shown]
	v_bfe_i32 v19, v15, 0, 8
	v_and_b32_e32 v14, 12, v4
	v_cmp_lt_i32_e32 vcc_lo, v16, v6
	s_delay_alu instid0(VALU_DEP_4) | instskip(NEXT) | instid1(VALU_DEP_4)
	v_cmp_ge_i32_e64 s0, v18, v8
	v_cmp_lt_i16_e64 s1, v21, v19
	; wave barrier
	s_delay_alu instid0(VALU_DEP_1) | instskip(NEXT) | instid1(SALU_CYCLE_1)
	s_or_b32 s1, s0, s1
	s_and_b32 vcc_lo, vcc_lo, s1
	v_and_b32_e32 v13, 48, v4
	s_mov_b32 s1, 0
	s_delay_alu instid0(VALU_DEP_1) | instskip(SKIP_1) | instid1(VALU_DEP_2)
	v_or_b32_e32 v7, 8, v13
	v_add_nc_u32_e32 v5, 16, v13
	v_sub_nc_u32_e32 v10, v7, v13
	s_delay_alu instid0(VALU_DEP_2) | instskip(NEXT) | instid1(VALU_DEP_1)
	v_sub_nc_u32_e32 v22, v5, v7
	v_sub_nc_u32_e32 v8, v14, v22
	v_cmp_ge_i32_e64 s0, v14, v22
	s_delay_alu instid0(VALU_DEP_1)
	v_cndmask_b32_e64 v6, 0, v8, s0
	v_min_i32_e32 v8, v14, v10
	v_cndmask_b32_e32 v10, v15, v17, vcc_lo
	s_mov_b32 s0, exec_lo
	ds_store_b8 v3, v9
	ds_store_b8 v3, v11 offset:1
	ds_store_b8 v3, v20 offset:2
	;; [unrolled: 1-line block ×3, first 2 shown]
	; wave barrier
	v_cmpx_lt_i32_e64 v6, v8
	s_cbranch_execz .LBB64_20
; %bb.17:
	v_add_nc_u32_e32 v9, v0, v13
	s_delay_alu instid0(VALU_DEP_1)
	v_add3_u32 v10, v9, v14, 8
	.p2align	6
.LBB64_18:                              ; =>This Inner Loop Header: Depth=1
	v_sub_nc_u32_e32 v11, v8, v6
	s_delay_alu instid0(VALU_DEP_1) | instskip(NEXT) | instid1(VALU_DEP_1)
	v_lshrrev_b32_e32 v12, 31, v11
	v_add_nc_u32_e32 v11, v11, v12
	s_delay_alu instid0(VALU_DEP_1) | instskip(NEXT) | instid1(VALU_DEP_1)
	v_ashrrev_i32_e32 v11, 1, v11
	v_add_nc_u32_e32 v11, v11, v6
	s_delay_alu instid0(VALU_DEP_1)
	v_add_nc_u32_e32 v12, v9, v11
	v_xad_u32 v15, v11, -1, v10
	v_add_nc_u32_e32 v16, 1, v11
	ds_load_i8 v12, v12
	ds_load_i8 v15, v15
	s_waitcnt lgkmcnt(0)
	v_cmp_lt_i16_e32 vcc_lo, v15, v12
	v_cndmask_b32_e32 v6, v16, v6, vcc_lo
	v_cndmask_b32_e32 v8, v8, v11, vcc_lo
	s_delay_alu instid0(VALU_DEP_1) | instskip(SKIP_1) | instid1(SALU_CYCLE_1)
	v_cmp_ge_i32_e32 vcc_lo, v6, v8
	s_or_b32 s1, vcc_lo, s1
	s_and_not1_b32 exec_lo, exec_lo, s1
	s_cbranch_execnz .LBB64_18
; %bb.19:
	s_or_b32 exec_lo, exec_lo, s1
.LBB64_20:
	s_delay_alu instid0(SALU_CYCLE_1) | instskip(SKIP_4) | instid1(VALU_DEP_4)
	s_or_b32 exec_lo, exec_lo, s0
	v_add_nc_u32_e32 v9, v13, v14
	v_add_nc_u32_e32 v8, v6, v13
	v_add_nc_u32_e32 v11, v7, v14
	v_cmp_lt_i32_e32 vcc_lo, 7, v6
	v_sub_nc_u32_e32 v9, v9, v6
	s_delay_alu instid0(VALU_DEP_4) | instskip(NEXT) | instid1(VALU_DEP_4)
	v_add_nc_u32_e32 v12, v0, v8
	v_sub_nc_u32_e32 v13, v11, v6
                                        ; implicit-def: $vgpr11
	s_delay_alu instid0(VALU_DEP_3)
	v_add_nc_u32_e32 v15, v0, v9
	ds_load_u8 v9, v12
	ds_load_u8 v10, v15 offset:8
	v_cmp_gt_i32_e64 s1, v5, v13
	s_waitcnt lgkmcnt(1)
	v_bfe_i32 v9, v9, 0, 8
	s_waitcnt lgkmcnt(0)
	v_bfe_i32 v10, v10, 0, 8
	s_delay_alu instid0(VALU_DEP_1) | instskip(NEXT) | instid1(VALU_DEP_1)
	v_cmp_lt_i16_e64 s0, v10, v9
	s_or_b32 s0, vcc_lo, s0
	s_delay_alu instid0(SALU_CYCLE_1) | instskip(NEXT) | instid1(SALU_CYCLE_1)
	s_and_b32 vcc_lo, s1, s0
	s_xor_b32 s0, vcc_lo, -1
	s_delay_alu instid0(SALU_CYCLE_1) | instskip(NEXT) | instid1(SALU_CYCLE_1)
	s_and_saveexec_b32 s1, s0
	s_xor_b32 s0, exec_lo, s1
	s_cbranch_execz .LBB64_22
; %bb.21:
	ds_load_u8 v11, v12 offset:1
                                        ; implicit-def: $vgpr15
.LBB64_22:
	s_or_saveexec_b32 s0, s0
	v_mov_b32_e32 v12, v10
	s_xor_b32 exec_lo, exec_lo, s0
	s_cbranch_execz .LBB64_24
; %bb.23:
	ds_load_u8 v12, v15 offset:9
	s_waitcnt lgkmcnt(1)
	v_mov_b32_e32 v11, v9
.LBB64_24:
	s_or_b32 exec_lo, exec_lo, s0
	v_add_nc_u32_e32 v15, 1, v13
	v_add_nc_u32_e32 v6, 1, v8
	s_waitcnt lgkmcnt(0)
	v_bfe_i32 v16, v11, 0, 8
	s_delay_alu instid0(VALU_DEP_2) | instskip(SKIP_1) | instid1(VALU_DEP_2)
	v_dual_cndmask_b32 v13, v13, v15 :: v_dual_cndmask_b32 v14, v6, v8
	v_bfe_i32 v6, v12, 0, 8
	v_cmp_lt_i32_e64 s2, v13, v5
	s_delay_alu instid0(VALU_DEP_3) | instskip(NEXT) | instid1(VALU_DEP_3)
	v_cmp_ge_i32_e64 s0, v14, v7
	v_cmp_lt_i16_e64 s1, v6, v16
                                        ; implicit-def: $vgpr6
	s_delay_alu instid0(VALU_DEP_1)
	s_or_b32 s0, s0, s1
	s_delay_alu instid0(VALU_DEP_3) | instid1(SALU_CYCLE_1)
	s_and_b32 s0, s2, s0
	s_delay_alu instid0(SALU_CYCLE_1) | instskip(NEXT) | instid1(SALU_CYCLE_1)
	s_xor_b32 s1, s0, -1
	s_and_saveexec_b32 s2, s1
	s_delay_alu instid0(SALU_CYCLE_1)
	s_xor_b32 s1, exec_lo, s2
	s_cbranch_execz .LBB64_26
; %bb.25:
	v_add_nc_u32_e32 v6, v0, v14
	ds_load_u8 v6, v6 offset:1
.LBB64_26:
	s_or_saveexec_b32 s1, s1
	v_mov_b32_e32 v8, v12
	s_xor_b32 exec_lo, exec_lo, s1
	s_cbranch_execz .LBB64_28
; %bb.27:
	s_waitcnt lgkmcnt(0)
	v_add_nc_u32_e32 v6, v0, v13
	ds_load_u8 v8, v6 offset:1
	v_mov_b32_e32 v6, v11
.LBB64_28:
	s_or_b32 exec_lo, exec_lo, s1
	v_add_nc_u32_e32 v15, 1, v14
	v_add_nc_u32_e32 v16, 1, v13
	s_waitcnt lgkmcnt(0)
	v_bfe_i32 v17, v6, 0, 8
	s_delay_alu instid0(VALU_DEP_3) | instskip(SKIP_2) | instid1(VALU_DEP_3)
	v_cndmask_b32_e64 v15, v15, v14, s0
	v_bfe_i32 v14, v8, 0, 8
	v_cndmask_b32_e64 v16, v13, v16, s0
	v_cmp_ge_i32_e64 s1, v15, v7
	s_delay_alu instid0(VALU_DEP_3) | instskip(NEXT) | instid1(VALU_DEP_3)
	v_cmp_lt_i16_e64 s2, v14, v17
	v_cmp_lt_i32_e64 s3, v16, v5
                                        ; implicit-def: $vgpr14
	s_delay_alu instid0(VALU_DEP_2)
	s_or_b32 s1, s1, s2
	s_delay_alu instid0(VALU_DEP_1) | instid1(SALU_CYCLE_1)
	s_and_b32 s1, s3, s1
	s_delay_alu instid0(SALU_CYCLE_1) | instskip(NEXT) | instid1(SALU_CYCLE_1)
	s_xor_b32 s2, s1, -1
	s_and_saveexec_b32 s3, s2
	s_delay_alu instid0(SALU_CYCLE_1)
	s_xor_b32 s2, exec_lo, s3
	s_cbranch_execz .LBB64_30
; %bb.29:
	v_add_nc_u32_e32 v13, v0, v15
	ds_load_u8 v14, v13 offset:1
.LBB64_30:
	s_or_saveexec_b32 s2, s2
	v_mov_b32_e32 v17, v8
	s_xor_b32 exec_lo, exec_lo, s2
	s_cbranch_execz .LBB64_32
; %bb.31:
	s_waitcnt lgkmcnt(0)
	v_dual_mov_b32 v14, v6 :: v_dual_add_nc_u32 v13, v0, v16
	ds_load_u8 v17, v13 offset:1
.LBB64_32:
	s_or_b32 exec_lo, exec_lo, s2
	v_dual_cndmask_b32 v9, v9, v10 :: v_dual_add_nc_u32 v18, 1, v16
	v_add_nc_u32_e32 v19, 1, v15
	v_cndmask_b32_e64 v20, v6, v8, s1
	v_cndmask_b32_e64 v11, v11, v12, s0
	s_delay_alu instid0(VALU_DEP_4)
	v_cndmask_b32_e64 v16, v16, v18, s1
	s_waitcnt lgkmcnt(0)
	v_bfe_i32 v18, v14, 0, 8
	v_cndmask_b32_e64 v15, v19, v15, s1
	v_bfe_i32 v19, v17, 0, 8
	v_cmp_lt_i32_e32 vcc_lo, v16, v5
	; wave barrier
	s_delay_alu instid0(VALU_DEP_3) | instskip(NEXT) | instid1(VALU_DEP_3)
	v_cmp_ge_i32_e64 s0, v15, v7
	v_cmp_lt_i16_e64 s1, v19, v18
	s_delay_alu instid0(VALU_DEP_1) | instskip(NEXT) | instid1(SALU_CYCLE_1)
	s_or_b32 s1, s0, s1
	s_and_b32 vcc_lo, vcc_lo, s1
	v_and_b32_e32 v13, 32, v4
	v_and_b32_e32 v4, 28, v4
	s_mov_b32 s1, 0
	s_delay_alu instid0(VALU_DEP_2) | instskip(NEXT) | instid1(VALU_DEP_1)
	v_or_b32_e32 v8, 16, v13
	v_sub_nc_u32_e32 v10, v8, v13
	s_delay_alu instid0(VALU_DEP_1)
	v_min_i32_e32 v5, v4, v10
	v_cndmask_b32_e32 v10, v14, v17, vcc_lo
	v_add_nc_u32_e32 v6, 32, v13
	ds_store_b8 v3, v9
	ds_store_b8 v3, v11 offset:1
	ds_store_b8 v3, v20 offset:2
	;; [unrolled: 1-line block ×3, first 2 shown]
	; wave barrier
	v_sub_nc_u32_e32 v21, v6, v8
	s_delay_alu instid0(VALU_DEP_1) | instskip(SKIP_1) | instid1(VALU_DEP_1)
	v_sub_nc_u32_e32 v7, v4, v21
	v_cmp_ge_i32_e64 s0, v4, v21
	v_cndmask_b32_e64 v7, 0, v7, s0
	s_mov_b32 s0, exec_lo
	s_delay_alu instid0(VALU_DEP_1)
	v_cmpx_lt_i32_e64 v7, v5
	s_cbranch_execz .LBB64_36
; %bb.33:
	v_add_nc_u32_e32 v9, v0, v13
	s_delay_alu instid0(VALU_DEP_1)
	v_add3_u32 v10, v9, v4, 16
	.p2align	6
.LBB64_34:                              ; =>This Inner Loop Header: Depth=1
	v_sub_nc_u32_e32 v11, v5, v7
	s_delay_alu instid0(VALU_DEP_1) | instskip(NEXT) | instid1(VALU_DEP_1)
	v_lshrrev_b32_e32 v12, 31, v11
	v_add_nc_u32_e32 v11, v11, v12
	s_delay_alu instid0(VALU_DEP_1) | instskip(NEXT) | instid1(VALU_DEP_1)
	v_ashrrev_i32_e32 v11, 1, v11
	v_add_nc_u32_e32 v11, v11, v7
	s_delay_alu instid0(VALU_DEP_1)
	v_add_nc_u32_e32 v12, v9, v11
	v_xad_u32 v14, v11, -1, v10
	v_add_nc_u32_e32 v15, 1, v11
	ds_load_i8 v12, v12
	ds_load_i8 v14, v14
	s_waitcnt lgkmcnt(0)
	v_cmp_lt_i16_e32 vcc_lo, v14, v12
	v_cndmask_b32_e32 v5, v5, v11, vcc_lo
	v_cndmask_b32_e32 v7, v15, v7, vcc_lo
	s_delay_alu instid0(VALU_DEP_1) | instskip(SKIP_1) | instid1(SALU_CYCLE_1)
	v_cmp_ge_i32_e32 vcc_lo, v7, v5
	s_or_b32 s1, vcc_lo, s1
	s_and_not1_b32 exec_lo, exec_lo, s1
	s_cbranch_execnz .LBB64_34
; %bb.35:
	s_or_b32 exec_lo, exec_lo, s1
.LBB64_36:
	s_delay_alu instid0(SALU_CYCLE_1) | instskip(SKIP_4) | instid1(VALU_DEP_4)
	s_or_b32 exec_lo, exec_lo, s0
	v_add_nc_u32_e32 v5, v13, v4
	v_add_nc_u32_e32 v10, v7, v13
	;; [unrolled: 1-line block ×3, first 2 shown]
	v_cmp_lt_i32_e32 vcc_lo, 15, v7
	v_sub_nc_u32_e32 v5, v5, v7
	s_delay_alu instid0(VALU_DEP_4) | instskip(NEXT) | instid1(VALU_DEP_2)
	v_add_nc_u32_e32 v9, v0, v10
	v_add_nc_u32_e32 v12, v0, v5
	ds_load_u8 v5, v9
	ds_load_u8 v11, v12 offset:16
	s_waitcnt lgkmcnt(1)
	v_bfe_i32 v4, v5, 0, 8
	s_waitcnt lgkmcnt(0)
	v_bfe_i32 v5, v11, 0, 8
	v_sub_nc_u32_e32 v11, v13, v7
                                        ; implicit-def: $vgpr7
	s_delay_alu instid0(VALU_DEP_2) | instskip(NEXT) | instid1(VALU_DEP_2)
	v_cmp_lt_i16_e64 s0, v5, v4
	v_cmp_gt_i32_e64 s1, v6, v11
	s_delay_alu instid0(VALU_DEP_2)
	s_or_b32 s0, vcc_lo, s0
	s_delay_alu instid0(VALU_DEP_1) | instid1(SALU_CYCLE_1)
	s_and_b32 vcc_lo, s1, s0
	s_delay_alu instid0(SALU_CYCLE_1) | instskip(NEXT) | instid1(SALU_CYCLE_1)
	s_xor_b32 s0, vcc_lo, -1
	s_and_saveexec_b32 s1, s0
	s_delay_alu instid0(SALU_CYCLE_1)
	s_xor_b32 s0, exec_lo, s1
	s_cbranch_execz .LBB64_38
; %bb.37:
	ds_load_u8 v7, v9 offset:1
                                        ; implicit-def: $vgpr12
.LBB64_38:
	s_or_saveexec_b32 s0, s0
	v_mov_b32_e32 v9, v5
	s_xor_b32 exec_lo, exec_lo, s0
	s_cbranch_execz .LBB64_40
; %bb.39:
	ds_load_u8 v9, v12 offset:17
	s_waitcnt lgkmcnt(1)
	v_mov_b32_e32 v7, v4
.LBB64_40:
	s_or_b32 exec_lo, exec_lo, s0
	v_add_nc_u32_e32 v12, 1, v10
	v_add_nc_u32_e32 v14, 1, v11
	s_waitcnt lgkmcnt(0)
	v_bfe_i32 v15, v7, 0, 8
	s_delay_alu instid0(VALU_DEP_3) | instskip(SKIP_2) | instid1(VALU_DEP_3)
	v_cndmask_b32_e32 v13, v12, v10, vcc_lo
	v_bfe_i32 v10, v9, 0, 8
	v_cndmask_b32_e32 v12, v11, v14, vcc_lo
	v_cmp_ge_i32_e64 s0, v13, v8
	s_delay_alu instid0(VALU_DEP_3) | instskip(NEXT) | instid1(VALU_DEP_3)
	v_cmp_lt_i16_e64 s1, v10, v15
	v_cmp_lt_i32_e64 s2, v12, v6
                                        ; implicit-def: $vgpr10
	s_delay_alu instid0(VALU_DEP_2)
	s_or_b32 s0, s0, s1
	s_delay_alu instid0(VALU_DEP_1) | instid1(SALU_CYCLE_1)
	s_and_b32 s0, s2, s0
	s_delay_alu instid0(SALU_CYCLE_1) | instskip(NEXT) | instid1(SALU_CYCLE_1)
	s_xor_b32 s1, s0, -1
	s_and_saveexec_b32 s2, s1
	s_delay_alu instid0(SALU_CYCLE_1)
	s_xor_b32 s1, exec_lo, s2
	s_cbranch_execz .LBB64_42
; %bb.41:
	v_add_nc_u32_e32 v10, v0, v13
	ds_load_u8 v10, v10 offset:1
.LBB64_42:
	s_or_saveexec_b32 s1, s1
	v_mov_b32_e32 v11, v9
	s_xor_b32 exec_lo, exec_lo, s1
	s_cbranch_execz .LBB64_44
; %bb.43:
	s_waitcnt lgkmcnt(0)
	v_add_nc_u32_e32 v10, v0, v12
	ds_load_u8 v11, v10 offset:1
	v_mov_b32_e32 v10, v7
.LBB64_44:
	s_or_b32 exec_lo, exec_lo, s1
	v_add_nc_u32_e32 v14, 1, v13
	v_add_nc_u32_e32 v15, 1, v12
	s_waitcnt lgkmcnt(0)
	v_bfe_i32 v16, v10, 0, 8
	v_bfe_i32 v17, v11, 0, 8
	v_cndmask_b32_e64 v14, v14, v13, s0
	v_cndmask_b32_e64 v13, v12, v15, s0
                                        ; implicit-def: $vgpr12
	s_delay_alu instid0(VALU_DEP_3) | instskip(NEXT) | instid1(VALU_DEP_3)
	v_cmp_lt_i16_e64 s2, v17, v16
	v_cmp_ge_i32_e64 s1, v14, v8
	s_delay_alu instid0(VALU_DEP_3) | instskip(NEXT) | instid1(VALU_DEP_2)
	v_cmp_lt_i32_e64 s3, v13, v6
	s_or_b32 s1, s1, s2
	s_delay_alu instid0(VALU_DEP_1) | instid1(SALU_CYCLE_1)
	s_and_b32 s1, s3, s1
	s_delay_alu instid0(SALU_CYCLE_1) | instskip(NEXT) | instid1(SALU_CYCLE_1)
	s_xor_b32 s2, s1, -1
	s_and_saveexec_b32 s3, s2
	s_delay_alu instid0(SALU_CYCLE_1)
	s_xor_b32 s2, exec_lo, s3
	s_cbranch_execz .LBB64_46
; %bb.45:
	v_add_nc_u32_e32 v12, v0, v14
	ds_load_u8 v12, v12 offset:1
.LBB64_46:
	s_or_saveexec_b32 s2, s2
	v_mov_b32_e32 v15, v11
	s_xor_b32 exec_lo, exec_lo, s2
	s_cbranch_execz .LBB64_48
; %bb.47:
	s_waitcnt lgkmcnt(0)
	v_add_nc_u32_e32 v12, v0, v13
	ds_load_u8 v15, v12 offset:1
	v_mov_b32_e32 v12, v10
.LBB64_48:
	s_or_b32 exec_lo, exec_lo, s2
	v_dual_cndmask_b32 v5, v4, v5 :: v_dual_add_nc_u32 v16, 1, v14
	v_add_nc_u32_e32 v17, 1, v13
	s_waitcnt lgkmcnt(0)
	v_bfe_i32 v18, v12, 0, 8
	v_bfe_i32 v19, v15, 0, 8
	v_cndmask_b32_e64 v14, v16, v14, s1
	v_cndmask_b32_e64 v10, v10, v11, s1
	;; [unrolled: 1-line block ×4, first 2 shown]
	v_cmp_lt_i16_e64 s0, v19, v18
	v_cmp_ge_i32_e64 s1, v14, v8
	v_min_i32_e32 v4, 32, v2
	v_cmp_lt_i32_e32 vcc_lo, v11, v6
	v_sub_nc_u32_e64 v6, v2, 32 clamp
	s_delay_alu instid0(VALU_DEP_4) | instskip(NEXT) | instid1(SALU_CYCLE_1)
	s_or_b32 s0, s1, s0
	; wave barrier
	s_and_b32 vcc_lo, vcc_lo, s0
	s_mov_b32 s0, exec_lo
	v_cndmask_b32_e32 v8, v12, v15, vcc_lo
	ds_store_b8 v3, v5
	ds_store_b8 v3, v7 offset:1
	ds_store_b8 v3, v10 offset:2
	;; [unrolled: 1-line block ×3, first 2 shown]
	; wave barrier
	v_cmpx_lt_u32_e64 v6, v4
	s_cbranch_execz .LBB64_52
; %bb.49:
	s_mov_b32 s1, 0
	.p2align	6
.LBB64_50:                              ; =>This Inner Loop Header: Depth=1
	v_sub_nc_u32_e32 v5, v4, v6
	s_delay_alu instid0(VALU_DEP_1) | instskip(NEXT) | instid1(VALU_DEP_1)
	v_lshrrev_b32_e32 v7, 31, v5
	v_add_nc_u32_e32 v5, v5, v7
	s_delay_alu instid0(VALU_DEP_1) | instskip(NEXT) | instid1(VALU_DEP_1)
	v_ashrrev_i32_e32 v5, 1, v5
	v_add_nc_u32_e32 v5, v5, v6
	s_delay_alu instid0(VALU_DEP_1)
	v_add_nc_u32_e32 v9, 1, v5
	v_add_nc_u32_e32 v7, v0, v5
	v_xad_u32 v8, v5, -1, v3
	ds_load_i8 v7, v7
	ds_load_i8 v8, v8 offset:32
	s_waitcnt lgkmcnt(0)
	v_cmp_lt_i16_e32 vcc_lo, v8, v7
	v_cndmask_b32_e32 v6, v9, v6, vcc_lo
	v_cndmask_b32_e32 v4, v4, v5, vcc_lo
	s_delay_alu instid0(VALU_DEP_1) | instskip(SKIP_1) | instid1(SALU_CYCLE_1)
	v_cmp_ge_i32_e32 vcc_lo, v6, v4
	s_or_b32 s1, vcc_lo, s1
	s_and_not1_b32 exec_lo, exec_lo, s1
	s_cbranch_execnz .LBB64_50
; %bb.51:
	s_or_b32 exec_lo, exec_lo, s1
.LBB64_52:
	s_delay_alu instid0(SALU_CYCLE_1) | instskip(SKIP_3) | instid1(VALU_DEP_3)
	s_or_b32 exec_lo, exec_lo, s0
	v_sub_nc_u32_e32 v4, v2, v6
	v_add_nc_u32_e32 v5, v0, v6
	v_cmp_lt_i32_e32 vcc_lo, 31, v6
	v_add_nc_u32_e32 v8, v0, v4
	v_add_nc_u32_e32 v7, 32, v4
                                        ; implicit-def: $vgpr4
	ds_load_u8 v2, v5
	ds_load_u8 v3, v8 offset:32
	v_cmp_gt_i32_e64 s1, 64, v7
	s_waitcnt lgkmcnt(1)
	v_bfe_i32 v2, v2, 0, 8
	s_waitcnt lgkmcnt(0)
	v_bfe_i32 v3, v3, 0, 8
	s_delay_alu instid0(VALU_DEP_1) | instskip(NEXT) | instid1(VALU_DEP_1)
	v_cmp_lt_i16_e64 s0, v3, v2
	s_or_b32 s0, vcc_lo, s0
	s_delay_alu instid0(SALU_CYCLE_1) | instskip(NEXT) | instid1(SALU_CYCLE_1)
	s_and_b32 vcc_lo, s1, s0
	s_xor_b32 s0, vcc_lo, -1
	s_delay_alu instid0(SALU_CYCLE_1) | instskip(NEXT) | instid1(SALU_CYCLE_1)
	s_and_saveexec_b32 s1, s0
	s_xor_b32 s0, exec_lo, s1
	s_cbranch_execz .LBB64_54
; %bb.53:
	ds_load_u8 v4, v5 offset:1
                                        ; implicit-def: $vgpr8
.LBB64_54:
	s_or_saveexec_b32 s0, s0
	v_mov_b32_e32 v5, v3
	s_xor_b32 exec_lo, exec_lo, s0
	s_cbranch_execz .LBB64_56
; %bb.55:
	ds_load_u8 v5, v8 offset:33
	s_waitcnt lgkmcnt(1)
	v_mov_b32_e32 v4, v2
.LBB64_56:
	s_or_b32 exec_lo, exec_lo, s0
	v_add_nc_u32_e32 v8, 1, v6
	v_add_nc_u32_e32 v10, 1, v7
	s_waitcnt lgkmcnt(0)
	v_bfe_i32 v11, v4, 0, 8
	s_delay_alu instid0(VALU_DEP_3) | instskip(SKIP_2) | instid1(VALU_DEP_3)
	v_cndmask_b32_e32 v9, v8, v6, vcc_lo
	v_bfe_i32 v6, v5, 0, 8
	v_cndmask_b32_e32 v8, v7, v10, vcc_lo
                                        ; implicit-def: $vgpr7
	v_cmp_lt_i32_e64 s0, 31, v9
	s_delay_alu instid0(VALU_DEP_3) | instskip(NEXT) | instid1(VALU_DEP_3)
	v_cmp_lt_i16_e64 s1, v6, v11
	v_cmp_gt_i32_e64 s2, 64, v8
	s_delay_alu instid0(VALU_DEP_2)
	s_or_b32 s0, s0, s1
	s_delay_alu instid0(VALU_DEP_1) | instid1(SALU_CYCLE_1)
	s_and_b32 s0, s2, s0
	s_delay_alu instid0(SALU_CYCLE_1) | instskip(NEXT) | instid1(SALU_CYCLE_1)
	s_xor_b32 s1, s0, -1
	s_and_saveexec_b32 s2, s1
	s_delay_alu instid0(SALU_CYCLE_1)
	s_xor_b32 s1, exec_lo, s2
	s_cbranch_execz .LBB64_58
; %bb.57:
	v_add_nc_u32_e32 v6, v0, v9
	ds_load_u8 v7, v6 offset:1
.LBB64_58:
	s_or_saveexec_b32 s1, s1
	v_mov_b32_e32 v6, v5
	s_xor_b32 exec_lo, exec_lo, s1
	s_cbranch_execz .LBB64_60
; %bb.59:
	v_add_nc_u32_e32 v6, v0, v8
	s_waitcnt lgkmcnt(0)
	v_mov_b32_e32 v7, v4
	ds_load_u8 v6, v6 offset:1
.LBB64_60:
	s_or_b32 exec_lo, exec_lo, s1
	v_add_nc_u32_e32 v10, 1, v9
	v_add_nc_u32_e32 v12, 1, v8
	s_waitcnt lgkmcnt(0)
	v_bfe_i32 v13, v7, 0, 8
	s_delay_alu instid0(VALU_DEP_3) | instskip(SKIP_2) | instid1(VALU_DEP_3)
	v_cndmask_b32_e64 v11, v10, v9, s0
	v_bfe_i32 v9, v6, 0, 8
	v_cndmask_b32_e64 v8, v8, v12, s0
                                        ; implicit-def: $vgpr10
	v_cmp_gt_i32_e64 s1, 32, v11
	s_delay_alu instid0(VALU_DEP_3) | instskip(NEXT) | instid1(VALU_DEP_3)
	v_cmp_ge_i16_e64 s2, v9, v13
	v_cmp_lt_i32_e64 s3, 63, v8
                                        ; implicit-def: $vgpr9
	s_delay_alu instid0(VALU_DEP_2)
	s_and_b32 s1, s1, s2
	s_delay_alu instid0(VALU_DEP_1) | instid1(SALU_CYCLE_1)
	s_or_b32 s1, s3, s1
	s_delay_alu instid0(SALU_CYCLE_1) | instskip(NEXT) | instid1(SALU_CYCLE_1)
	s_and_saveexec_b32 s2, s1
	s_xor_b32 s1, exec_lo, s2
	s_cbranch_execz .LBB64_62
; %bb.61:
	v_add_nc_u32_e32 v0, v0, v11
	v_add_nc_u32_e32 v10, 1, v11
                                        ; implicit-def: $vgpr11
	ds_load_u8 v9, v0 offset:1
                                        ; implicit-def: $vgpr0
.LBB64_62:
	s_or_saveexec_b32 s1, s1
	v_mov_b32_e32 v12, v7
	s_xor_b32 exec_lo, exec_lo, s1
	s_cbranch_execz .LBB64_64
; %bb.63:
	s_waitcnt lgkmcnt(0)
	v_dual_mov_b32 v9, v7 :: v_dual_add_nc_u32 v0, v0, v8
	v_add_nc_u32_e32 v8, 1, v8
	v_mov_b32_e32 v12, v6
	v_mov_b32_e32 v10, v11
	ds_load_u8 v0, v0 offset:1
	s_waitcnt lgkmcnt(0)
	v_mov_b32_e32 v6, v0
.LBB64_64:
	s_or_b32 exec_lo, exec_lo, s1
	s_waitcnt lgkmcnt(0)
	v_bfe_i32 v0, v9, 0, 8
	s_delay_alu instid0(VALU_DEP_2) | instskip(SKIP_3) | instid1(VALU_DEP_4)
	v_bfe_i32 v7, v6, 0, 8
	v_cmp_lt_i32_e64 s1, 31, v10
	v_cmp_gt_i32_e64 s3, 64, v8
	v_cndmask_b32_e32 v2, v2, v3, vcc_lo
	v_cmp_lt_i16_e64 s2, v7, v0
	v_cndmask_b32_e64 v0, v4, v5, s0
	v_and_b32_e32 v4, 0xff, v12
	s_delay_alu instid0(VALU_DEP_3) | instskip(NEXT) | instid1(VALU_DEP_2)
	s_or_b32 s0, s1, s2
	v_lshlrev_b16 v0, 8, v0
	s_and_b32 vcc_lo, s3, s0
	s_add_u32 s0, s6, s8
	v_cndmask_b32_e32 v3, v9, v6, vcc_lo
	v_and_b32_e32 v2, 0xff, v2
	s_addc_u32 s1, s7, 0
	s_delay_alu instid0(VALU_DEP_2) | instskip(NEXT) | instid1(VALU_DEP_2)
	v_lshlrev_b16 v3, 8, v3
	v_or_b32_e32 v0, v2, v0
	s_delay_alu instid0(VALU_DEP_2) | instskip(NEXT) | instid1(VALU_DEP_2)
	v_or_b32_e32 v2, v4, v3
	v_and_b32_e32 v3, 0xffff, v0
	v_add_co_u32 v0, s0, s0, v1
	s_delay_alu instid0(VALU_DEP_1) | instskip(NEXT) | instid1(VALU_DEP_4)
	v_add_co_ci_u32_e64 v1, null, s1, 0, s0
	v_lshlrev_b32_e32 v2, 16, v2
	s_delay_alu instid0(VALU_DEP_1)
	v_or_b32_e32 v2, v3, v2
	global_store_b32 v[0:1], v2, off
	s_nop 0
	s_sendmsg sendmsg(MSG_DEALLOC_VGPRS)
	s_endpgm
	.section	.rodata,"a",@progbits
	.p2align	6, 0x0
	.amdhsa_kernel _Z9sort_keysILj256ELj16ELj4EaN10test_utils4lessEEvPKT2_PS2_T3_
		.amdhsa_group_segment_fixed_size 1040
		.amdhsa_private_segment_fixed_size 0
		.amdhsa_kernarg_size 20
		.amdhsa_user_sgpr_count 15
		.amdhsa_user_sgpr_dispatch_ptr 0
		.amdhsa_user_sgpr_queue_ptr 0
		.amdhsa_user_sgpr_kernarg_segment_ptr 1
		.amdhsa_user_sgpr_dispatch_id 0
		.amdhsa_user_sgpr_private_segment_size 0
		.amdhsa_wavefront_size32 1
		.amdhsa_uses_dynamic_stack 0
		.amdhsa_enable_private_segment 0
		.amdhsa_system_sgpr_workgroup_id_x 1
		.amdhsa_system_sgpr_workgroup_id_y 0
		.amdhsa_system_sgpr_workgroup_id_z 0
		.amdhsa_system_sgpr_workgroup_info 0
		.amdhsa_system_vgpr_workitem_id 0
		.amdhsa_next_free_vgpr 23
		.amdhsa_next_free_sgpr 16
		.amdhsa_reserve_vcc 1
		.amdhsa_float_round_mode_32 0
		.amdhsa_float_round_mode_16_64 0
		.amdhsa_float_denorm_mode_32 3
		.amdhsa_float_denorm_mode_16_64 3
		.amdhsa_dx10_clamp 1
		.amdhsa_ieee_mode 1
		.amdhsa_fp16_overflow 0
		.amdhsa_workgroup_processor_mode 1
		.amdhsa_memory_ordered 1
		.amdhsa_forward_progress 0
		.amdhsa_shared_vgpr_count 0
		.amdhsa_exception_fp_ieee_invalid_op 0
		.amdhsa_exception_fp_denorm_src 0
		.amdhsa_exception_fp_ieee_div_zero 0
		.amdhsa_exception_fp_ieee_overflow 0
		.amdhsa_exception_fp_ieee_underflow 0
		.amdhsa_exception_fp_ieee_inexact 0
		.amdhsa_exception_int_div_zero 0
	.end_amdhsa_kernel
	.section	.text._Z9sort_keysILj256ELj16ELj4EaN10test_utils4lessEEvPKT2_PS2_T3_,"axG",@progbits,_Z9sort_keysILj256ELj16ELj4EaN10test_utils4lessEEvPKT2_PS2_T3_,comdat
.Lfunc_end64:
	.size	_Z9sort_keysILj256ELj16ELj4EaN10test_utils4lessEEvPKT2_PS2_T3_, .Lfunc_end64-_Z9sort_keysILj256ELj16ELj4EaN10test_utils4lessEEvPKT2_PS2_T3_
                                        ; -- End function
	.section	.AMDGPU.csdata,"",@progbits
; Kernel info:
; codeLenInByte = 3920
; NumSgprs: 18
; NumVgprs: 23
; ScratchSize: 0
; MemoryBound: 0
; FloatMode: 240
; IeeeMode: 1
; LDSByteSize: 1040 bytes/workgroup (compile time only)
; SGPRBlocks: 2
; VGPRBlocks: 2
; NumSGPRsForWavesPerEU: 18
; NumVGPRsForWavesPerEU: 23
; Occupancy: 16
; WaveLimiterHint : 0
; COMPUTE_PGM_RSRC2:SCRATCH_EN: 0
; COMPUTE_PGM_RSRC2:USER_SGPR: 15
; COMPUTE_PGM_RSRC2:TRAP_HANDLER: 0
; COMPUTE_PGM_RSRC2:TGID_X_EN: 1
; COMPUTE_PGM_RSRC2:TGID_Y_EN: 0
; COMPUTE_PGM_RSRC2:TGID_Z_EN: 0
; COMPUTE_PGM_RSRC2:TIDIG_COMP_CNT: 0
	.section	.text._Z10sort_pairsILj256ELj16ELj4EaN10test_utils4lessEEvPKT2_PS2_T3_,"axG",@progbits,_Z10sort_pairsILj256ELj16ELj4EaN10test_utils4lessEEvPKT2_PS2_T3_,comdat
	.protected	_Z10sort_pairsILj256ELj16ELj4EaN10test_utils4lessEEvPKT2_PS2_T3_ ; -- Begin function _Z10sort_pairsILj256ELj16ELj4EaN10test_utils4lessEEvPKT2_PS2_T3_
	.globl	_Z10sort_pairsILj256ELj16ELj4EaN10test_utils4lessEEvPKT2_PS2_T3_
	.p2align	8
	.type	_Z10sort_pairsILj256ELj16ELj4EaN10test_utils4lessEEvPKT2_PS2_T3_,@function
_Z10sort_pairsILj256ELj16ELj4EaN10test_utils4lessEEvPKT2_PS2_T3_: ; @_Z10sort_pairsILj256ELj16ELj4EaN10test_utils4lessEEvPKT2_PS2_T3_
; %bb.0:
	s_load_b128 s[8:11], s[0:1], 0x0
	s_lshl_b32 s12, s15, 10
	v_lshlrev_b32_e32 v1, 2, v0
	v_lshrrev_b32_e32 v0, 4, v0
	s_mov_b32 s6, 0
	s_mov_b32 s7, exec_lo
	s_waitcnt lgkmcnt(0)
	s_add_u32 s0, s8, s12
	s_addc_u32 s1, s9, 0
	global_load_b32 v9, v1, s[0:1]
	; wave barrier
	s_waitcnt vmcnt(0)
	v_lshrrev_b32_e32 v2, 8, v9
	v_bfe_i32 v5, v9, 0, 8
	s_delay_alu instid0(VALU_DEP_2) | instskip(SKIP_1) | instid1(VALU_DEP_2)
	v_bfe_i32 v6, v2, 0, 8
	v_perm_b32 v2, v9, v9, 0x7060405
	v_cmp_lt_i16_e64 s0, v6, v5
	s_delay_alu instid0(VALU_DEP_1) | instskip(NEXT) | instid1(VALU_DEP_1)
	v_cndmask_b32_e64 v2, v9, v2, s0
	v_lshrrev_b32_e32 v3, 16, v2
	v_lshrrev_b32_e32 v7, 24, v2
	s_delay_alu instid0(VALU_DEP_2) | instskip(NEXT) | instid1(VALU_DEP_2)
	v_perm_b32 v4, 0, v3, 0xc0c0001
	v_bfe_i32 v7, v7, 0, 8
	v_bfe_i32 v3, v3, 0, 8
	s_delay_alu instid0(VALU_DEP_3) | instskip(NEXT) | instid1(VALU_DEP_2)
	v_lshlrev_b32_e32 v4, 16, v4
	v_cmp_lt_i16_e64 s1, v7, v3
	v_min_i16 v3, v7, v3
	s_delay_alu instid0(VALU_DEP_3) | instskip(NEXT) | instid1(VALU_DEP_2)
	v_and_or_b32 v4, 0xffff, v2, v4
	v_lshlrev_b16 v7, 8, v3
	s_delay_alu instid0(VALU_DEP_2) | instskip(NEXT) | instid1(VALU_DEP_1)
	v_cndmask_b32_e64 v2, v2, v4, s1
	v_lshrrev_b32_e32 v4, 16, v2
	v_lshrrev_b16 v8, 8, v2
	v_and_b32_e32 v10, 0xff, v2
	s_delay_alu instid0(VALU_DEP_3) | instskip(NEXT) | instid1(VALU_DEP_2)
	v_and_b32_e32 v4, 0xffffff00, v4
	v_or_b32_e32 v7, v10, v7
	s_delay_alu instid0(VALU_DEP_2) | instskip(SKIP_1) | instid1(VALU_DEP_3)
	v_or_b32_e32 v4, v8, v4
	v_lshrrev_b32_e32 v8, 8, v2
	v_and_b32_e32 v7, 0xffff, v7
	s_delay_alu instid0(VALU_DEP_3) | instskip(NEXT) | instid1(VALU_DEP_3)
	v_lshlrev_b32_e32 v4, 16, v4
	v_bfe_i32 v8, v8, 0, 8
	s_delay_alu instid0(VALU_DEP_2) | instskip(NEXT) | instid1(VALU_DEP_2)
	v_or_b32_e32 v4, v7, v4
	v_cmp_lt_i16_e64 s2, v3, v8
	v_min_i16 v7, v3, v8
	v_mbcnt_lo_u32_b32 v8, -1, 0
	s_delay_alu instid0(VALU_DEP_3) | instskip(NEXT) | instid1(VALU_DEP_3)
	v_cndmask_b32_e64 v2, v2, v4, s2
	v_and_b32_e32 v3, 0xff, v7
	s_delay_alu instid0(VALU_DEP_2) | instskip(NEXT) | instid1(VALU_DEP_1)
	v_lshlrev_b16 v4, 8, v2
	v_or_b32_e32 v3, v3, v4
	v_bfe_i32 v4, v2, 0, 8
	s_delay_alu instid0(VALU_DEP_2) | instskip(NEXT) | instid1(VALU_DEP_2)
	v_and_b32_e32 v3, 0xffff, v3
	v_cmp_lt_i16_e64 s3, v7, v4
	s_delay_alu instid0(VALU_DEP_2) | instskip(NEXT) | instid1(VALU_DEP_1)
	v_and_or_b32 v3, 0xffff0000, v2, v3
	v_cndmask_b32_e64 v2, v2, v3, s3
	s_delay_alu instid0(VALU_DEP_1) | instskip(SKIP_1) | instid1(VALU_DEP_2)
	v_lshrrev_b32_e32 v3, 16, v2
	v_lshrrev_b32_e32 v7, 24, v2
	v_perm_b32 v4, 0, v3, 0xc0c0001
	s_delay_alu instid0(VALU_DEP_2) | instskip(SKIP_1) | instid1(VALU_DEP_3)
	v_bfe_i32 v7, v7, 0, 8
	v_bfe_i32 v3, v3, 0, 8
	v_lshlrev_b32_e32 v4, 16, v4
	s_delay_alu instid0(VALU_DEP_2) | instskip(SKIP_1) | instid1(VALU_DEP_3)
	v_cmp_lt_i16_e32 vcc_lo, v7, v3
	v_min_i16 v15, v7, v3
	v_and_or_b32 v4, 0xffff, v2, v4
	s_delay_alu instid0(VALU_DEP_2) | instskip(NEXT) | instid1(VALU_DEP_2)
	v_lshlrev_b16 v11, 8, v15
	v_cndmask_b32_e32 v14, v2, v4, vcc_lo
	v_lshlrev_b32_e32 v4, 2, v8
	s_delay_alu instid0(VALU_DEP_2) | instskip(NEXT) | instid1(VALU_DEP_2)
	v_lshrrev_b32_e32 v2, 16, v14
	v_and_b32_e32 v10, 56, v4
	v_lshrrev_b16 v12, 8, v14
	v_and_b32_e32 v13, 0xff, v14
	v_lshrrev_b32_e32 v16, 8, v14
	v_and_b32_e32 v2, 0xffffff00, v2
	v_or_b32_e32 v8, 4, v10
	v_add_nc_u32_e32 v7, 8, v10
	v_or_b32_e32 v11, v13, v11
	v_bfe_i32 v16, v16, 0, 8
	v_or_b32_e32 v2, v12, v2
	v_and_b32_e32 v12, 4, v4
	v_sub_nc_u32_e32 v13, v7, v8
	v_and_b32_e32 v11, 0xffff, v11
	v_and_b32_e32 v3, 60, v4
	v_lshlrev_b32_e32 v17, 16, v2
	v_sub_nc_u32_e32 v18, v8, v10
	v_sub_nc_u32_e32 v19, v12, v13
	v_cmp_ge_i32_e64 s4, v12, v13
	v_mad_u32_u24 v2, 0x41, v0, v3
	v_or_b32_e32 v17, v11, v17
	v_min_i32_e32 v11, v12, v18
	v_mul_u32_u24_e32 v0, 0x41, v0
	v_cndmask_b32_e64 v13, 0, v19, s4
	v_cmp_lt_i16_e64 s4, v15, v16
	s_delay_alu instid0(VALU_DEP_1)
	v_cndmask_b32_e64 v14, v14, v17, s4
	ds_store_b32 v2, v14
	; wave barrier
	v_cmpx_lt_i32_e64 v13, v11
	s_cbranch_execz .LBB65_4
; %bb.1:
	v_add_nc_u32_e32 v14, v0, v10
	s_delay_alu instid0(VALU_DEP_1)
	v_add3_u32 v15, v14, v12, 4
	.p2align	6
.LBB65_2:                               ; =>This Inner Loop Header: Depth=1
	v_sub_nc_u32_e32 v16, v11, v13
	s_delay_alu instid0(VALU_DEP_1) | instskip(NEXT) | instid1(VALU_DEP_1)
	v_lshrrev_b32_e32 v17, 31, v16
	v_add_nc_u32_e32 v16, v16, v17
	s_delay_alu instid0(VALU_DEP_1) | instskip(NEXT) | instid1(VALU_DEP_1)
	v_ashrrev_i32_e32 v16, 1, v16
	v_add_nc_u32_e32 v16, v16, v13
	s_delay_alu instid0(VALU_DEP_1)
	v_add_nc_u32_e32 v17, v14, v16
	v_xad_u32 v18, v16, -1, v15
	v_add_nc_u32_e32 v19, 1, v16
	ds_load_i8 v17, v17
	ds_load_i8 v18, v18
	s_waitcnt lgkmcnt(0)
	v_cmp_lt_i16_e64 s5, v18, v17
	s_delay_alu instid0(VALU_DEP_1) | instskip(SKIP_1) | instid1(VALU_DEP_1)
	v_cndmask_b32_e64 v11, v11, v16, s5
	v_cndmask_b32_e64 v13, v19, v13, s5
	v_cmp_ge_i32_e64 s5, v13, v11
	s_delay_alu instid0(VALU_DEP_1) | instskip(NEXT) | instid1(SALU_CYCLE_1)
	s_or_b32 s6, s5, s6
	s_and_not1_b32 exec_lo, exec_lo, s6
	s_cbranch_execnz .LBB65_2
; %bb.3:
	s_or_b32 exec_lo, exec_lo, s6
.LBB65_4:
	s_delay_alu instid0(SALU_CYCLE_1)
	s_or_b32 exec_lo, exec_lo, s7
	v_lshrrev_b32_e32 v18, 16, v9
	v_lshrrev_b32_e32 v17, 24, v9
	v_add_nc_u32_e32 v9, v10, v12
	v_add_nc_u32_e32 v11, v13, v10
	;; [unrolled: 1-line block ×3, first 2 shown]
	v_cmp_lt_i32_e64 s5, 3, v13
	s_delay_alu instid0(VALU_DEP_4) | instskip(NEXT) | instid1(VALU_DEP_4)
	v_sub_nc_u32_e32 v9, v9, v13
	v_add_nc_u32_e32 v14, v0, v11
	s_delay_alu instid0(VALU_DEP_4) | instskip(NEXT) | instid1(VALU_DEP_3)
	v_sub_nc_u32_e32 v12, v12, v13
                                        ; implicit-def: $vgpr13
	v_add_nc_u32_e32 v15, v0, v9
	ds_load_u8 v9, v14
	ds_load_u8 v10, v15 offset:4
	v_cmp_gt_i32_e64 s7, v7, v12
	s_waitcnt lgkmcnt(1)
	v_bfe_i32 v9, v9, 0, 8
	s_waitcnt lgkmcnt(0)
	v_bfe_i32 v10, v10, 0, 8
	s_delay_alu instid0(VALU_DEP_1) | instskip(NEXT) | instid1(VALU_DEP_1)
	v_cmp_lt_i16_e64 s6, v10, v9
	s_or_b32 s5, s5, s6
	s_delay_alu instid0(SALU_CYCLE_1) | instskip(NEXT) | instid1(SALU_CYCLE_1)
	s_and_b32 s5, s7, s5
	s_xor_b32 s6, s5, -1
	s_delay_alu instid0(SALU_CYCLE_1) | instskip(NEXT) | instid1(SALU_CYCLE_1)
	s_and_saveexec_b32 s7, s6
	s_xor_b32 s6, exec_lo, s7
	s_cbranch_execz .LBB65_6
; %bb.5:
	ds_load_u8 v13, v14 offset:1
                                        ; implicit-def: $vgpr15
.LBB65_6:
	s_or_saveexec_b32 s6, s6
	v_mov_b32_e32 v14, v10
	s_xor_b32 exec_lo, exec_lo, s6
	s_cbranch_execz .LBB65_8
; %bb.7:
	ds_load_u8 v14, v15 offset:5
	s_waitcnt lgkmcnt(1)
	v_mov_b32_e32 v13, v9
.LBB65_8:
	s_or_b32 exec_lo, exec_lo, s6
	v_add_nc_u32_e32 v15, 1, v11
	v_add_nc_u32_e32 v16, 1, v12
	s_waitcnt lgkmcnt(0)
	v_bfe_i32 v21, v13, 0, 8
	s_delay_alu instid0(VALU_DEP_3) | instskip(SKIP_2) | instid1(VALU_DEP_3)
	v_cndmask_b32_e64 v19, v15, v11, s5
	v_bfe_i32 v15, v14, 0, 8
	v_cndmask_b32_e64 v20, v12, v16, s5
	v_cmp_ge_i32_e64 s6, v19, v8
	s_delay_alu instid0(VALU_DEP_3) | instskip(NEXT) | instid1(VALU_DEP_3)
	v_cmp_lt_i16_e64 s7, v15, v21
	v_cmp_lt_i32_e64 s8, v20, v7
                                        ; implicit-def: $vgpr15
	s_delay_alu instid0(VALU_DEP_2)
	s_or_b32 s6, s6, s7
	s_delay_alu instid0(VALU_DEP_1) | instid1(SALU_CYCLE_1)
	s_and_b32 s6, s8, s6
	s_delay_alu instid0(SALU_CYCLE_1) | instskip(NEXT) | instid1(SALU_CYCLE_1)
	s_xor_b32 s7, s6, -1
	s_and_saveexec_b32 s8, s7
	s_delay_alu instid0(SALU_CYCLE_1)
	s_xor_b32 s7, exec_lo, s8
	s_cbranch_execz .LBB65_10
; %bb.9:
	v_add_nc_u32_e32 v15, v0, v19
	ds_load_u8 v15, v15 offset:1
.LBB65_10:
	s_or_saveexec_b32 s7, s7
	v_mov_b32_e32 v16, v14
	s_xor_b32 exec_lo, exec_lo, s7
	s_cbranch_execz .LBB65_12
; %bb.11:
	s_waitcnt lgkmcnt(0)
	v_add_nc_u32_e32 v15, v0, v20
	ds_load_u8 v16, v15 offset:1
	v_mov_b32_e32 v15, v13
.LBB65_12:
	s_or_b32 exec_lo, exec_lo, s7
	v_add_nc_u32_e32 v21, 1, v19
	v_add_nc_u32_e32 v23, 1, v20
	s_waitcnt lgkmcnt(0)
	v_bfe_i32 v24, v15, 0, 8
	v_bfe_i32 v25, v16, 0, 8
	v_cndmask_b32_e64 v22, v21, v19, s6
	v_cndmask_b32_e64 v21, v20, v23, s6
                                        ; implicit-def: $vgpr23
	s_delay_alu instid0(VALU_DEP_3) | instskip(NEXT) | instid1(VALU_DEP_3)
	v_cmp_lt_i16_e64 s8, v25, v24
	v_cmp_ge_i32_e64 s7, v22, v8
	s_delay_alu instid0(VALU_DEP_3) | instskip(NEXT) | instid1(VALU_DEP_2)
	v_cmp_lt_i32_e64 s9, v21, v7
	s_or_b32 s7, s7, s8
	s_delay_alu instid0(VALU_DEP_1) | instid1(SALU_CYCLE_1)
	s_and_b32 s7, s9, s7
	s_delay_alu instid0(SALU_CYCLE_1) | instskip(NEXT) | instid1(SALU_CYCLE_1)
	s_xor_b32 s8, s7, -1
	s_and_saveexec_b32 s9, s8
	s_delay_alu instid0(SALU_CYCLE_1)
	s_xor_b32 s8, exec_lo, s9
	s_cbranch_execz .LBB65_14
; %bb.13:
	v_add_nc_u32_e32 v23, v0, v22
	ds_load_u8 v23, v23 offset:1
.LBB65_14:
	s_or_saveexec_b32 s8, s8
	v_mov_b32_e32 v24, v16
	s_xor_b32 exec_lo, exec_lo, s8
	s_cbranch_execz .LBB65_16
; %bb.15:
	s_waitcnt lgkmcnt(0)
	v_add_nc_u32_e32 v23, v0, v21
	ds_load_u8 v24, v23 offset:1
	v_mov_b32_e32 v23, v15
.LBB65_16:
	s_or_b32 exec_lo, exec_lo, s8
	v_add_nc_u16 v18, v18, 1
	v_add_nc_u16 v6, v6, 1
	v_add_nc_u16 v5, v5, 1
	v_lshlrev_b16 v17, 8, v17
	v_cndmask_b32_e64 v19, v19, v20, s6
	v_and_b32_e32 v18, 0xff, v18
	v_lshlrev_b16 v25, 8, v6
	v_and_b32_e32 v26, 0xff, v5
	v_lshlrev_b16 v5, 8, v5
	v_and_b32_e32 v6, 0xff, v6
	v_or_b32_e32 v17, v17, v18
	v_cndmask_b32_e64 v11, v11, v12, s5
	v_or_b32_e32 v18, v26, v25
	v_add_nc_u32_e32 v25, 1, v21
	v_or_b32_e32 v5, v6, v5
	v_add_nc_u16 v6, v17, 0x100
	v_cndmask_b32_e64 v26, v22, v21, s7
	v_and_b32_e32 v17, 0xffff, v18
	v_cndmask_b32_e64 v21, v21, v25, s7
	v_and_b32_e32 v5, 0xffff, v5
	v_lshlrev_b32_e32 v18, 16, v6
	v_perm_b32 v6, 0, v6, 0xc0c0001
	s_waitcnt lgkmcnt(0)
	v_bfe_i32 v12, v23, 0, 8
	v_bfe_i32 v20, v24, 0, 8
	v_cndmask_b32_e64 v5, v17, v5, s0
	v_add_nc_u32_e32 v17, 1, v22
	v_lshlrev_b32_e32 v6, 16, v6
	s_delay_alu instid0(VALU_DEP_4) | instskip(NEXT) | instid1(VALU_DEP_4)
	v_cmp_lt_i16_e64 s0, v20, v12
	v_or_b32_e32 v5, v5, v18
	s_delay_alu instid0(VALU_DEP_4) | instskip(SKIP_2) | instid1(VALU_DEP_4)
	v_cndmask_b32_e64 v22, v17, v22, s7
	v_and_b32_e32 v18, 48, v4
	; wave barrier
	v_and_b32_e32 v17, 12, v4
	v_and_or_b32 v6, 0xffff, v5, v6
	v_cndmask_b32_e64 v9, v9, v10, s5
	s_delay_alu instid0(VALU_DEP_4) | instskip(SKIP_1) | instid1(VALU_DEP_4)
	v_add_nc_u32_e32 v12, 16, v18
	v_cndmask_b32_e64 v10, v13, v14, s6
	v_cndmask_b32_e64 v5, v5, v6, s1
	v_cmp_ge_i32_e64 s1, v22, v8
	s_delay_alu instid0(VALU_DEP_2) | instskip(NEXT) | instid1(VALU_DEP_2)
	v_perm_b32 v6, v5, v5, 0x7050604
	s_or_b32 s0, s1, s0
	s_mov_b32 s1, 0
	s_delay_alu instid0(VALU_DEP_1) | instskip(NEXT) | instid1(VALU_DEP_1)
	v_cndmask_b32_e64 v5, v5, v6, s2
	v_perm_b32 v6, 0, v5, 0xc0c0001
	s_delay_alu instid0(VALU_DEP_1) | instskip(NEXT) | instid1(VALU_DEP_1)
	v_and_or_b32 v6, 0xffff0000, v5, v6
	v_cndmask_b32_e64 v5, v5, v6, s3
	s_delay_alu instid0(VALU_DEP_1) | instskip(NEXT) | instid1(VALU_DEP_1)
	v_lshrrev_b32_e32 v6, 16, v5
	v_perm_b32 v6, 0, v6, 0xc0c0001
	s_delay_alu instid0(VALU_DEP_1) | instskip(NEXT) | instid1(VALU_DEP_1)
	v_lshlrev_b32_e32 v6, 16, v6
	v_and_or_b32 v6, 0xffff, v5, v6
	s_delay_alu instid0(VALU_DEP_1) | instskip(SKIP_3) | instid1(VALU_DEP_4)
	v_cndmask_b32_e32 v5, v5, v6, vcc_lo
	v_cmp_lt_i32_e32 vcc_lo, v21, v7
	v_add_nc_u32_e32 v6, v0, v11
	v_or_b32_e32 v11, 8, v18
	v_perm_b32 v7, v5, v5, 0x7050604
	s_and_b32 vcc_lo, vcc_lo, s0
	s_mov_b32 s0, exec_lo
	v_cndmask_b32_e32 v8, v22, v21, vcc_lo
	v_sub_nc_u32_e32 v21, v12, v11
	v_cndmask_b32_e64 v5, v5, v7, s4
	v_add_nc_u32_e32 v7, v0, v19
	v_add_nc_u32_e32 v19, v0, v26
	;; [unrolled: 1-line block ×3, first 2 shown]
	v_cndmask_b32_e32 v20, v23, v24, vcc_lo
	ds_store_b32 v2, v5
	; wave barrier
	ds_load_u8 v5, v6
	ds_load_u8 v6, v7
	;; [unrolled: 1-line block ×4, first 2 shown]
	v_sub_nc_u32_e32 v19, v17, v21
	v_sub_nc_u32_e32 v22, v11, v18
	v_cmp_ge_i32_e32 vcc_lo, v17, v21
	v_cndmask_b32_e64 v23, v15, v16, s7
	; wave barrier
	s_delay_alu instid0(VALU_DEP_3)
	v_min_i32_e32 v16, v17, v22
	v_cndmask_b32_e32 v15, 0, v19, vcc_lo
	ds_store_b8 v2, v9
	ds_store_b8 v2, v10 offset:1
	ds_store_b8 v2, v23 offset:2
	;; [unrolled: 1-line block ×3, first 2 shown]
	; wave barrier
	v_cmpx_lt_i32_e64 v15, v16
	s_cbranch_execz .LBB65_20
; %bb.17:
	v_add_nc_u32_e32 v9, v0, v18
	s_delay_alu instid0(VALU_DEP_1)
	v_add3_u32 v10, v9, v17, 8
	.p2align	6
.LBB65_18:                              ; =>This Inner Loop Header: Depth=1
	v_sub_nc_u32_e32 v13, v16, v15
	s_delay_alu instid0(VALU_DEP_1) | instskip(NEXT) | instid1(VALU_DEP_1)
	v_lshrrev_b32_e32 v14, 31, v13
	v_add_nc_u32_e32 v13, v13, v14
	s_delay_alu instid0(VALU_DEP_1) | instskip(NEXT) | instid1(VALU_DEP_1)
	v_ashrrev_i32_e32 v13, 1, v13
	v_add_nc_u32_e32 v13, v13, v15
	s_delay_alu instid0(VALU_DEP_1)
	v_add_nc_u32_e32 v20, 1, v13
	v_add_nc_u32_e32 v14, v9, v13
	v_xad_u32 v19, v13, -1, v10
	ds_load_i8 v14, v14
	ds_load_i8 v19, v19
	s_waitcnt lgkmcnt(0)
	v_cmp_lt_i16_e32 vcc_lo, v19, v14
	v_cndmask_b32_e32 v15, v20, v15, vcc_lo
	v_cndmask_b32_e32 v16, v16, v13, vcc_lo
	s_delay_alu instid0(VALU_DEP_1) | instskip(SKIP_1) | instid1(SALU_CYCLE_1)
	v_cmp_ge_i32_e32 vcc_lo, v15, v16
	s_or_b32 s1, vcc_lo, s1
	s_and_not1_b32 exec_lo, exec_lo, s1
	s_cbranch_execnz .LBB65_18
; %bb.19:
	s_or_b32 exec_lo, exec_lo, s1
.LBB65_20:
	s_delay_alu instid0(SALU_CYCLE_1) | instskip(SKIP_4) | instid1(VALU_DEP_4)
	s_or_b32 exec_lo, exec_lo, s0
	v_add_nc_u32_e32 v10, v18, v17
	v_add_nc_u32_e32 v9, v15, v18
	;; [unrolled: 1-line block ×3, first 2 shown]
	v_cmp_lt_i32_e32 vcc_lo, 7, v15
	v_sub_nc_u32_e32 v10, v10, v15
	s_delay_alu instid0(VALU_DEP_4) | instskip(NEXT) | instid1(VALU_DEP_4)
	v_add_nc_u32_e32 v19, v0, v9
	v_sub_nc_u32_e32 v16, v14, v15
                                        ; implicit-def: $vgpr14
	s_delay_alu instid0(VALU_DEP_3)
	v_add_nc_u32_e32 v18, v0, v10
	ds_load_u8 v10, v19
	ds_load_u8 v13, v18 offset:8
	v_cmp_gt_i32_e64 s1, v12, v16
	s_waitcnt lgkmcnt(1)
	v_bfe_i32 v10, v10, 0, 8
	s_waitcnt lgkmcnt(0)
	v_bfe_i32 v13, v13, 0, 8
	s_delay_alu instid0(VALU_DEP_1) | instskip(NEXT) | instid1(VALU_DEP_1)
	v_cmp_lt_i16_e64 s0, v13, v10
	s_or_b32 s0, vcc_lo, s0
	s_delay_alu instid0(SALU_CYCLE_1) | instskip(NEXT) | instid1(SALU_CYCLE_1)
	s_and_b32 vcc_lo, s1, s0
	s_xor_b32 s0, vcc_lo, -1
	s_delay_alu instid0(SALU_CYCLE_1) | instskip(NEXT) | instid1(SALU_CYCLE_1)
	s_and_saveexec_b32 s1, s0
	s_xor_b32 s0, exec_lo, s1
	s_cbranch_execz .LBB65_22
; %bb.21:
	ds_load_u8 v14, v19 offset:1
                                        ; implicit-def: $vgpr18
.LBB65_22:
	s_or_saveexec_b32 s0, s0
	v_mov_b32_e32 v15, v13
	s_xor_b32 exec_lo, exec_lo, s0
	s_cbranch_execz .LBB65_24
; %bb.23:
	ds_load_u8 v15, v18 offset:9
	s_waitcnt lgkmcnt(1)
	v_mov_b32_e32 v14, v10
.LBB65_24:
	s_or_b32 exec_lo, exec_lo, s0
	v_add_nc_u32_e32 v18, 1, v16
	v_add_nc_u32_e32 v17, 1, v9
	s_waitcnt lgkmcnt(0)
	v_bfe_i32 v21, v14, 0, 8
	s_delay_alu instid0(VALU_DEP_2) | instskip(SKIP_1) | instid1(VALU_DEP_2)
	v_dual_cndmask_b32 v20, v16, v18 :: v_dual_cndmask_b32 v19, v17, v9
	v_bfe_i32 v17, v15, 0, 8
	v_cmp_lt_i32_e64 s2, v20, v12
	s_delay_alu instid0(VALU_DEP_3) | instskip(NEXT) | instid1(VALU_DEP_3)
	v_cmp_ge_i32_e64 s0, v19, v11
	v_cmp_lt_i16_e64 s1, v17, v21
                                        ; implicit-def: $vgpr17
	s_delay_alu instid0(VALU_DEP_1)
	s_or_b32 s0, s0, s1
	s_delay_alu instid0(VALU_DEP_3) | instid1(SALU_CYCLE_1)
	s_and_b32 s0, s2, s0
	s_delay_alu instid0(SALU_CYCLE_1) | instskip(NEXT) | instid1(SALU_CYCLE_1)
	s_xor_b32 s1, s0, -1
	s_and_saveexec_b32 s2, s1
	s_delay_alu instid0(SALU_CYCLE_1)
	s_xor_b32 s1, exec_lo, s2
	s_cbranch_execz .LBB65_26
; %bb.25:
	v_add_nc_u32_e32 v17, v0, v19
	ds_load_u8 v17, v17 offset:1
.LBB65_26:
	s_or_saveexec_b32 s1, s1
	v_mov_b32_e32 v18, v15
	s_xor_b32 exec_lo, exec_lo, s1
	s_cbranch_execz .LBB65_28
; %bb.27:
	s_waitcnt lgkmcnt(0)
	v_add_nc_u32_e32 v17, v0, v20
	ds_load_u8 v18, v17 offset:1
	v_mov_b32_e32 v17, v14
.LBB65_28:
	s_or_b32 exec_lo, exec_lo, s1
	v_add_nc_u32_e32 v21, 1, v19
	v_add_nc_u32_e32 v22, 1, v20
	s_waitcnt lgkmcnt(0)
	v_bfe_i32 v25, v17, 0, 8
	s_delay_alu instid0(VALU_DEP_3) | instskip(SKIP_2) | instid1(VALU_DEP_3)
	v_cndmask_b32_e64 v23, v21, v19, s0
	v_bfe_i32 v21, v18, 0, 8
	v_cndmask_b32_e64 v24, v20, v22, s0
	v_cmp_ge_i32_e64 s1, v23, v11
	s_delay_alu instid0(VALU_DEP_3) | instskip(NEXT) | instid1(VALU_DEP_3)
	v_cmp_lt_i16_e64 s2, v21, v25
	v_cmp_lt_i32_e64 s3, v24, v12
                                        ; implicit-def: $vgpr21
	s_delay_alu instid0(VALU_DEP_2)
	s_or_b32 s1, s1, s2
	s_delay_alu instid0(VALU_DEP_1) | instid1(SALU_CYCLE_1)
	s_and_b32 s1, s3, s1
	s_delay_alu instid0(SALU_CYCLE_1) | instskip(NEXT) | instid1(SALU_CYCLE_1)
	s_xor_b32 s2, s1, -1
	s_and_saveexec_b32 s3, s2
	s_delay_alu instid0(SALU_CYCLE_1)
	s_xor_b32 s2, exec_lo, s3
	s_cbranch_execz .LBB65_30
; %bb.29:
	v_add_nc_u32_e32 v21, v0, v23
	ds_load_u8 v21, v21 offset:1
.LBB65_30:
	s_or_saveexec_b32 s2, s2
	v_mov_b32_e32 v22, v18
	s_xor_b32 exec_lo, exec_lo, s2
	s_cbranch_execz .LBB65_32
; %bb.31:
	s_waitcnt lgkmcnt(0)
	v_add_nc_u32_e32 v21, v0, v24
	ds_load_u8 v22, v21 offset:1
	v_mov_b32_e32 v21, v17
.LBB65_32:
	s_or_b32 exec_lo, exec_lo, s2
	v_dual_cndmask_b32 v10, v10, v13 :: v_dual_add_nc_u32 v25, 1, v23
	v_add_nc_u32_e32 v26, 1, v24
	s_waitcnt lgkmcnt(0)
	v_bfe_i32 v27, v21, 0, 8
	v_bfe_i32 v28, v22, 0, 8
	v_cndmask_b32_e64 v25, v25, v23, s1
	v_cndmask_b32_e64 v23, v23, v24, s1
	;; [unrolled: 1-line block ×4, first 2 shown]
	v_cmp_lt_i16_e64 s2, v28, v27
	v_cmp_ge_i32_e64 s3, v25, v11
	v_and_b32_e32 v11, 32, v4
	v_cmp_lt_i32_e64 s4, v24, v12
	v_cndmask_b32_e32 v9, v9, v16, vcc_lo
	s_delay_alu instid0(VALU_DEP_4)
	s_or_b32 s2, s3, s2
	; wave barrier
	s_delay_alu instid0(VALU_DEP_2) | instid1(SALU_CYCLE_1)
	s_and_b32 s2, s4, s2
	ds_store_b8 v2, v5
	ds_store_b8 v2, v6 offset:1
	ds_store_b8 v2, v7 offset:2
	;; [unrolled: 1-line block ×3, first 2 shown]
	v_add_nc_u32_e32 v8, 32, v11
	v_cndmask_b32_e64 v12, v25, v24, s2
	v_add_nc_u32_e32 v5, v0, v9
	v_add_nc_u32_e32 v6, v0, v19
	;; [unrolled: 1-line block ×3, first 2 shown]
	s_delay_alu instid0(VALU_DEP_4)
	v_add_nc_u32_e32 v16, v0, v12
	; wave barrier
	v_and_b32_e32 v12, 28, v4
	ds_load_u8 v4, v5
	ds_load_u8 v5, v6
	;; [unrolled: 1-line block ×4, first 2 shown]
	v_or_b32_e32 v9, 16, v11
	v_cndmask_b32_e64 v20, v21, v22, s2
	v_cndmask_b32_e64 v18, v17, v18, s1
	v_cndmask_b32_e64 v13, v14, v15, s0
	s_mov_b32 s0, exec_lo
	v_sub_nc_u32_e32 v19, v8, v9
	v_sub_nc_u32_e32 v21, v9, v11
	; wave barrier
	ds_store_b8 v2, v10
	ds_store_b8 v2, v13 offset:1
	ds_store_b8 v2, v18 offset:2
	;; [unrolled: 1-line block ×3, first 2 shown]
	v_sub_nc_u32_e32 v16, v12, v19
	v_cmp_ge_i32_e64 s1, v12, v19
	v_min_i32_e32 v17, v12, v21
	; wave barrier
	s_delay_alu instid0(VALU_DEP_2) | instskip(SKIP_1) | instid1(VALU_DEP_1)
	v_cndmask_b32_e64 v16, 0, v16, s1
	s_mov_b32 s1, 0
	v_cmpx_lt_i32_e64 v16, v17
	s_cbranch_execz .LBB65_36
; %bb.33:
	v_add_nc_u32_e32 v10, v0, v11
	s_delay_alu instid0(VALU_DEP_1)
	v_add3_u32 v13, v10, v12, 16
	.p2align	6
.LBB65_34:                              ; =>This Inner Loop Header: Depth=1
	v_sub_nc_u32_e32 v14, v17, v16
	s_delay_alu instid0(VALU_DEP_1) | instskip(NEXT) | instid1(VALU_DEP_1)
	v_lshrrev_b32_e32 v15, 31, v14
	v_add_nc_u32_e32 v14, v14, v15
	s_delay_alu instid0(VALU_DEP_1) | instskip(NEXT) | instid1(VALU_DEP_1)
	v_ashrrev_i32_e32 v14, 1, v14
	v_add_nc_u32_e32 v14, v14, v16
	s_delay_alu instid0(VALU_DEP_1)
	v_add_nc_u32_e32 v19, 1, v14
	v_add_nc_u32_e32 v15, v10, v14
	v_xad_u32 v18, v14, -1, v13
	ds_load_i8 v15, v15
	ds_load_i8 v18, v18
	s_waitcnt lgkmcnt(0)
	v_cmp_lt_i16_e32 vcc_lo, v18, v15
	v_dual_cndmask_b32 v16, v19, v16 :: v_dual_cndmask_b32 v17, v17, v14
	s_delay_alu instid0(VALU_DEP_1) | instskip(SKIP_1) | instid1(SALU_CYCLE_1)
	v_cmp_ge_i32_e32 vcc_lo, v16, v17
	s_or_b32 s1, vcc_lo, s1
	s_and_not1_b32 exec_lo, exec_lo, s1
	s_cbranch_execnz .LBB65_34
; %bb.35:
	s_or_b32 exec_lo, exec_lo, s1
.LBB65_36:
	s_delay_alu instid0(SALU_CYCLE_1) | instskip(SKIP_4) | instid1(VALU_DEP_4)
	s_or_b32 exec_lo, exec_lo, s0
	v_add_nc_u32_e32 v10, v11, v12
	v_add_nc_u32_e32 v14, v16, v11
	;; [unrolled: 1-line block ×3, first 2 shown]
	v_cmp_lt_i32_e32 vcc_lo, 15, v16
	v_sub_nc_u32_e32 v10, v10, v16
	s_delay_alu instid0(VALU_DEP_4) | instskip(NEXT) | instid1(VALU_DEP_4)
	v_add_nc_u32_e32 v13, v0, v14
	v_sub_nc_u32_e32 v15, v12, v16
                                        ; implicit-def: $vgpr12
	s_delay_alu instid0(VALU_DEP_3)
	v_add_nc_u32_e32 v17, v0, v10
	ds_load_u8 v10, v13
	ds_load_u8 v11, v17 offset:16
	v_cmp_gt_i32_e64 s1, v8, v15
	s_waitcnt lgkmcnt(1)
	v_bfe_i32 v10, v10, 0, 8
	s_waitcnt lgkmcnt(0)
	v_bfe_i32 v11, v11, 0, 8
	s_delay_alu instid0(VALU_DEP_1) | instskip(NEXT) | instid1(VALU_DEP_1)
	v_cmp_lt_i16_e64 s0, v11, v10
	s_or_b32 s0, vcc_lo, s0
	s_delay_alu instid0(SALU_CYCLE_1) | instskip(NEXT) | instid1(SALU_CYCLE_1)
	s_and_b32 vcc_lo, s1, s0
	s_xor_b32 s0, vcc_lo, -1
	s_delay_alu instid0(SALU_CYCLE_1) | instskip(NEXT) | instid1(SALU_CYCLE_1)
	s_and_saveexec_b32 s1, s0
	s_xor_b32 s0, exec_lo, s1
	s_cbranch_execz .LBB65_38
; %bb.37:
	ds_load_u8 v12, v13 offset:1
                                        ; implicit-def: $vgpr17
.LBB65_38:
	s_or_saveexec_b32 s0, s0
	v_mov_b32_e32 v13, v11
	s_xor_b32 exec_lo, exec_lo, s0
	s_cbranch_execz .LBB65_40
; %bb.39:
	ds_load_u8 v13, v17 offset:17
	s_waitcnt lgkmcnt(1)
	v_mov_b32_e32 v12, v10
.LBB65_40:
	s_or_b32 exec_lo, exec_lo, s0
	v_add_nc_u32_e32 v17, 1, v15
	v_add_nc_u32_e32 v16, 1, v14
	s_waitcnt lgkmcnt(0)
	v_bfe_i32 v20, v12, 0, 8
	s_delay_alu instid0(VALU_DEP_2) | instskip(SKIP_1) | instid1(VALU_DEP_2)
	v_dual_cndmask_b32 v19, v15, v17 :: v_dual_cndmask_b32 v18, v16, v14
	v_bfe_i32 v16, v13, 0, 8
	v_cmp_lt_i32_e64 s2, v19, v8
	s_delay_alu instid0(VALU_DEP_3) | instskip(NEXT) | instid1(VALU_DEP_3)
	v_cmp_ge_i32_e64 s0, v18, v9
	v_cmp_lt_i16_e64 s1, v16, v20
                                        ; implicit-def: $vgpr16
	s_delay_alu instid0(VALU_DEP_1)
	s_or_b32 s0, s0, s1
	s_delay_alu instid0(VALU_DEP_3) | instid1(SALU_CYCLE_1)
	s_and_b32 s0, s2, s0
	s_delay_alu instid0(SALU_CYCLE_1) | instskip(NEXT) | instid1(SALU_CYCLE_1)
	s_xor_b32 s1, s0, -1
	s_and_saveexec_b32 s2, s1
	s_delay_alu instid0(SALU_CYCLE_1)
	s_xor_b32 s1, exec_lo, s2
	s_cbranch_execz .LBB65_42
; %bb.41:
	v_add_nc_u32_e32 v16, v0, v18
	ds_load_u8 v16, v16 offset:1
.LBB65_42:
	s_or_saveexec_b32 s1, s1
	v_mov_b32_e32 v17, v13
	s_xor_b32 exec_lo, exec_lo, s1
	s_cbranch_execz .LBB65_44
; %bb.43:
	s_waitcnt lgkmcnt(0)
	v_add_nc_u32_e32 v16, v0, v19
	ds_load_u8 v17, v16 offset:1
	v_mov_b32_e32 v16, v12
.LBB65_44:
	s_or_b32 exec_lo, exec_lo, s1
	v_add_nc_u32_e32 v20, 1, v18
	v_add_nc_u32_e32 v22, 1, v19
	s_waitcnt lgkmcnt(0)
	v_bfe_i32 v23, v16, 0, 8
	s_delay_alu instid0(VALU_DEP_3) | instskip(SKIP_2) | instid1(VALU_DEP_3)
	v_cndmask_b32_e64 v21, v20, v18, s0
	v_bfe_i32 v20, v17, 0, 8
	v_cndmask_b32_e64 v22, v19, v22, s0
	v_cmp_ge_i32_e64 s1, v21, v9
	s_delay_alu instid0(VALU_DEP_3) | instskip(NEXT) | instid1(VALU_DEP_3)
	v_cmp_lt_i16_e64 s2, v20, v23
	v_cmp_lt_i32_e64 s3, v22, v8
                                        ; implicit-def: $vgpr20
	s_delay_alu instid0(VALU_DEP_2)
	s_or_b32 s1, s1, s2
	s_delay_alu instid0(VALU_DEP_1) | instid1(SALU_CYCLE_1)
	s_and_b32 s1, s3, s1
	s_delay_alu instid0(SALU_CYCLE_1) | instskip(NEXT) | instid1(SALU_CYCLE_1)
	s_xor_b32 s2, s1, -1
	s_and_saveexec_b32 s3, s2
	s_delay_alu instid0(SALU_CYCLE_1)
	s_xor_b32 s2, exec_lo, s3
	s_cbranch_execz .LBB65_46
; %bb.45:
	v_add_nc_u32_e32 v20, v0, v21
	ds_load_u8 v20, v20 offset:1
.LBB65_46:
	s_or_saveexec_b32 s2, s2
	v_mov_b32_e32 v23, v17
	s_xor_b32 exec_lo, exec_lo, s2
	s_cbranch_execz .LBB65_48
; %bb.47:
	s_waitcnt lgkmcnt(0)
	v_add_nc_u32_e32 v20, v0, v22
	ds_load_u8 v23, v20 offset:1
	v_mov_b32_e32 v20, v16
.LBB65_48:
	s_or_b32 exec_lo, exec_lo, s2
	v_add_nc_u32_e32 v24, 1, v21
	v_dual_cndmask_b32 v10, v10, v11 :: v_dual_add_nc_u32 v25, 1, v22
	s_waitcnt lgkmcnt(0)
	v_bfe_i32 v26, v20, 0, 8
	v_bfe_i32 v27, v23, 0, 8
	v_cndmask_b32_e64 v24, v24, v21, s1
	v_cndmask_b32_e64 v21, v21, v22, s1
	;; [unrolled: 1-line block ×4, first 2 shown]
	v_cmp_lt_i16_e64 s2, v27, v26
	v_cmp_ge_i32_e64 s3, v24, v9
	v_cndmask_b32_e32 v9, v14, v15, vcc_lo
	v_cmp_lt_i32_e64 s4, v22, v8
	v_add_nc_u32_e32 v14, v0, v3
	s_delay_alu instid0(VALU_DEP_4)
	s_or_b32 s2, s3, s2
	; wave barrier
	s_delay_alu instid0(VALU_DEP_2) | instid1(SALU_CYCLE_1)
	s_and_b32 s2, s4, s2
	ds_store_b8 v14, v4
	ds_store_b8 v14, v5 offset:1
	ds_store_b8 v14, v6 offset:2
	;; [unrolled: 1-line block ×3, first 2 shown]
	v_cndmask_b32_e64 v8, v24, v22, s2
	v_add_nc_u32_e32 v4, v0, v9
	v_add_nc_u32_e32 v5, v0, v18
	;; [unrolled: 1-line block ×3, first 2 shown]
	s_delay_alu instid0(VALU_DEP_4)
	v_add_nc_u32_e32 v7, v0, v8
	; wave barrier
	ds_load_u8 v4, v4
	ds_load_u8 v5, v5
	;; [unrolled: 1-line block ×4, first 2 shown]
	v_sub_nc_u32_e64 v8, v3, 32 clamp
	v_min_i32_e32 v9, 32, v3
	v_cndmask_b32_e64 v11, v12, v13, s0
	v_cndmask_b32_e64 v16, v16, v17, s1
	;; [unrolled: 1-line block ×3, first 2 shown]
	s_mov_b32 s0, exec_lo
	; wave barrier
	ds_store_b8 v14, v10
	ds_store_b8 v14, v11 offset:1
	ds_store_b8 v14, v16 offset:2
	;; [unrolled: 1-line block ×3, first 2 shown]
	; wave barrier
	v_cmpx_lt_u32_e64 v8, v9
	s_cbranch_execz .LBB65_52
; %bb.49:
	s_mov_b32 s1, 0
	.p2align	6
.LBB65_50:                              ; =>This Inner Loop Header: Depth=1
	v_sub_nc_u32_e32 v10, v9, v8
	s_delay_alu instid0(VALU_DEP_1) | instskip(NEXT) | instid1(VALU_DEP_1)
	v_lshrrev_b32_e32 v11, 31, v10
	v_add_nc_u32_e32 v10, v10, v11
	s_delay_alu instid0(VALU_DEP_1) | instskip(NEXT) | instid1(VALU_DEP_1)
	v_ashrrev_i32_e32 v10, 1, v10
	v_add_nc_u32_e32 v10, v10, v8
	s_delay_alu instid0(VALU_DEP_1)
	v_add_nc_u32_e32 v13, 1, v10
	v_add_nc_u32_e32 v11, v0, v10
	v_xad_u32 v12, v10, -1, v2
	ds_load_i8 v11, v11
	ds_load_i8 v12, v12 offset:32
	s_waitcnt lgkmcnt(0)
	v_cmp_lt_i16_e32 vcc_lo, v12, v11
	v_cndmask_b32_e32 v8, v13, v8, vcc_lo
	v_cndmask_b32_e32 v9, v9, v10, vcc_lo
	s_delay_alu instid0(VALU_DEP_1) | instskip(SKIP_1) | instid1(SALU_CYCLE_1)
	v_cmp_ge_i32_e32 vcc_lo, v8, v9
	s_or_b32 s1, vcc_lo, s1
	s_and_not1_b32 exec_lo, exec_lo, s1
	s_cbranch_execnz .LBB65_50
; %bb.51:
	s_or_b32 exec_lo, exec_lo, s1
.LBB65_52:
	s_delay_alu instid0(SALU_CYCLE_1) | instskip(SKIP_3) | instid1(VALU_DEP_3)
	s_or_b32 exec_lo, exec_lo, s0
	v_sub_nc_u32_e32 v10, v3, v8
	v_add_nc_u32_e32 v11, v0, v8
	v_cmp_lt_i32_e32 vcc_lo, 31, v8
	v_add_nc_u32_e32 v13, v0, v10
	v_add_nc_u32_e32 v12, 32, v10
                                        ; implicit-def: $vgpr10
	ds_load_u8 v3, v11
	ds_load_u8 v9, v13 offset:32
	v_cmp_gt_i32_e64 s1, 64, v12
	s_waitcnt lgkmcnt(1)
	v_bfe_i32 v3, v3, 0, 8
	s_waitcnt lgkmcnt(0)
	v_bfe_i32 v9, v9, 0, 8
	s_delay_alu instid0(VALU_DEP_1) | instskip(NEXT) | instid1(VALU_DEP_1)
	v_cmp_lt_i16_e64 s0, v9, v3
	s_or_b32 s0, vcc_lo, s0
	s_delay_alu instid0(SALU_CYCLE_1) | instskip(NEXT) | instid1(SALU_CYCLE_1)
	s_and_b32 vcc_lo, s1, s0
	s_xor_b32 s0, vcc_lo, -1
	s_delay_alu instid0(SALU_CYCLE_1) | instskip(NEXT) | instid1(SALU_CYCLE_1)
	s_and_saveexec_b32 s1, s0
	s_xor_b32 s0, exec_lo, s1
	s_cbranch_execz .LBB65_54
; %bb.53:
	ds_load_u8 v10, v11 offset:1
                                        ; implicit-def: $vgpr13
.LBB65_54:
	s_or_saveexec_b32 s0, s0
	v_mov_b32_e32 v11, v9
	s_xor_b32 exec_lo, exec_lo, s0
	s_cbranch_execz .LBB65_56
; %bb.55:
	ds_load_u8 v11, v13 offset:33
	s_waitcnt lgkmcnt(1)
	v_mov_b32_e32 v10, v3
.LBB65_56:
	s_or_b32 exec_lo, exec_lo, s0
	v_add_nc_u32_e32 v14, 1, v12
	v_add_nc_u32_e32 v13, 1, v8
	s_waitcnt lgkmcnt(0)
	v_bfe_i32 v15, v10, 0, 8
	v_bfe_i32 v16, v11, 0, 8
	s_delay_alu instid0(VALU_DEP_3) | instskip(NEXT) | instid1(VALU_DEP_2)
	v_dual_cndmask_b32 v14, v12, v14 :: v_dual_cndmask_b32 v13, v13, v8
	v_cmp_lt_i16_e64 s1, v16, v15
                                        ; implicit-def: $vgpr16
	s_delay_alu instid0(VALU_DEP_2) | instskip(NEXT) | instid1(VALU_DEP_3)
	v_cmp_gt_i32_e64 s2, 64, v14
	v_cmp_lt_i32_e64 s0, 31, v13
	s_delay_alu instid0(VALU_DEP_1)
	s_or_b32 s0, s0, s1
	s_delay_alu instid0(VALU_DEP_2) | instid1(SALU_CYCLE_1)
	s_and_b32 s0, s2, s0
	s_delay_alu instid0(SALU_CYCLE_1) | instskip(NEXT) | instid1(SALU_CYCLE_1)
	s_xor_b32 s1, s0, -1
	s_and_saveexec_b32 s2, s1
	s_delay_alu instid0(SALU_CYCLE_1)
	s_xor_b32 s1, exec_lo, s2
	s_cbranch_execz .LBB65_58
; %bb.57:
	v_add_nc_u32_e32 v15, v0, v13
	ds_load_u8 v16, v15 offset:1
.LBB65_58:
	s_or_saveexec_b32 s1, s1
	v_mov_b32_e32 v15, v11
	s_xor_b32 exec_lo, exec_lo, s1
	s_cbranch_execz .LBB65_60
; %bb.59:
	s_waitcnt lgkmcnt(0)
	v_dual_mov_b32 v16, v10 :: v_dual_add_nc_u32 v15, v0, v14
	ds_load_u8 v15, v15 offset:1
.LBB65_60:
	s_or_b32 exec_lo, exec_lo, s1
	v_add_nc_u32_e32 v17, 1, v13
	v_add_nc_u32_e32 v18, 1, v14
	s_waitcnt lgkmcnt(0)
	v_bfe_i32 v19, v16, 0, 8
	v_bfe_i32 v20, v15, 0, 8
	v_cndmask_b32_e64 v22, v17, v13, s0
	v_cndmask_b32_e64 v17, v14, v18, s0
	s_delay_alu instid0(VALU_DEP_3) | instskip(NEXT) | instid1(VALU_DEP_3)
	v_cmp_ge_i16_e64 s2, v20, v19
                                        ; implicit-def: $vgpr20
                                        ; implicit-def: $vgpr19
	v_cmp_gt_i32_e64 s1, 32, v22
	s_delay_alu instid0(VALU_DEP_3) | instskip(NEXT) | instid1(VALU_DEP_2)
	v_cmp_lt_i32_e64 s3, 63, v17
	s_and_b32 s1, s1, s2
	s_delay_alu instid0(VALU_DEP_1) | instid1(SALU_CYCLE_1)
	s_or_b32 s1, s3, s1
	s_delay_alu instid0(SALU_CYCLE_1) | instskip(NEXT) | instid1(SALU_CYCLE_1)
	s_and_saveexec_b32 s2, s1
	s_xor_b32 s1, exec_lo, s2
	s_cbranch_execz .LBB65_62
; %bb.61:
	v_add_nc_u32_e32 v18, v0, v22
	v_add_nc_u32_e32 v19, 1, v22
	ds_load_u8 v20, v18 offset:1
.LBB65_62:
	s_or_saveexec_b32 s1, s1
	v_dual_mov_b32 v18, v16 :: v_dual_mov_b32 v21, v22
	s_xor_b32 exec_lo, exec_lo, s1
	s_cbranch_execz .LBB65_64
; %bb.63:
	v_dual_mov_b32 v21, v17 :: v_dual_add_nc_u32 v18, v0, v17
	s_waitcnt lgkmcnt(0)
	v_dual_mov_b32 v19, v22 :: v_dual_add_nc_u32 v20, 1, v17
	ds_load_u8 v23, v18 offset:1
	v_dual_mov_b32 v18, v15 :: v_dual_mov_b32 v17, v20
	s_waitcnt lgkmcnt(0)
	v_dual_mov_b32 v20, v16 :: v_dual_mov_b32 v15, v23
.LBB65_64:
	s_or_b32 exec_lo, exec_lo, s1
	s_waitcnt lgkmcnt(0)
	s_delay_alu instid0(VALU_DEP_1) | instskip(NEXT) | instid1(VALU_DEP_2)
	v_bfe_i32 v16, v20, 0, 8
	v_bfe_i32 v22, v15, 0, 8
	v_cmp_lt_i32_e64 s1, 31, v19
	v_cmp_gt_i32_e64 s3, 64, v17
	v_cndmask_b32_e64 v13, v13, v14, s0
	v_dual_cndmask_b32 v8, v8, v12 :: v_dual_cndmask_b32 v3, v3, v9
	v_cmp_lt_i16_e64 s2, v22, v16
	; wave barrier
	ds_store_b8 v2, v4
	ds_store_b8 v2, v5 offset:1
	ds_store_b8 v2, v6 offset:2
	;; [unrolled: 1-line block ×3, first 2 shown]
	v_add_nc_u32_e32 v2, v0, v13
	s_or_b32 s1, s1, s2
	v_add_nc_u32_e32 v4, v0, v8
	s_and_b32 s1, s3, s1
	s_delay_alu instid0(SALU_CYCLE_1) | instskip(SKIP_3) | instid1(VALU_DEP_3)
	v_cndmask_b32_e64 v14, v19, v17, s1
	; wave barrier
	v_cndmask_b32_e64 v12, v20, v15, s1
	v_cndmask_b32_e64 v6, v10, v11, s0
	s_add_u32 s0, s10, s12
	v_add_nc_u32_e32 v5, v0, v14
	v_add_nc_u32_e32 v0, v0, v21
	ds_load_u8 v2, v2
	ds_load_u8 v4, v4
	ds_load_u8 v5, v5
	ds_load_u8 v0, v0
	s_addc_u32 s1, s11, 0
	s_waitcnt lgkmcnt(3)
	v_add_nc_u16 v2, v2, v6
	s_waitcnt lgkmcnt(2)
	v_add_nc_u16 v3, v4, v3
	;; [unrolled: 2-line block ×4, first 2 shown]
	v_lshlrev_b16 v2, 8, v2
	v_and_b32_e32 v3, 0xff, v3
	v_lshlrev_b16 v4, 8, v4
	s_delay_alu instid0(VALU_DEP_4) | instskip(NEXT) | instid1(VALU_DEP_3)
	v_and_b32_e32 v0, 0xff, v0
	v_or_b32_e32 v2, v3, v2
	s_delay_alu instid0(VALU_DEP_2) | instskip(NEXT) | instid1(VALU_DEP_2)
	v_or_b32_e32 v0, v0, v4
	v_and_b32_e32 v2, 0xffff, v2
	s_delay_alu instid0(VALU_DEP_2) | instskip(SKIP_1) | instid1(VALU_DEP_1)
	v_lshlrev_b32_e32 v3, 16, v0
	v_add_co_u32 v0, s0, s0, v1
	v_add_co_ci_u32_e64 v1, null, s1, 0, s0
	s_delay_alu instid0(VALU_DEP_3)
	v_or_b32_e32 v2, v2, v3
	global_store_b32 v[0:1], v2, off
	s_nop 0
	s_sendmsg sendmsg(MSG_DEALLOC_VGPRS)
	s_endpgm
	.section	.rodata,"a",@progbits
	.p2align	6, 0x0
	.amdhsa_kernel _Z10sort_pairsILj256ELj16ELj4EaN10test_utils4lessEEvPKT2_PS2_T3_
		.amdhsa_group_segment_fixed_size 1040
		.amdhsa_private_segment_fixed_size 0
		.amdhsa_kernarg_size 20
		.amdhsa_user_sgpr_count 15
		.amdhsa_user_sgpr_dispatch_ptr 0
		.amdhsa_user_sgpr_queue_ptr 0
		.amdhsa_user_sgpr_kernarg_segment_ptr 1
		.amdhsa_user_sgpr_dispatch_id 0
		.amdhsa_user_sgpr_private_segment_size 0
		.amdhsa_wavefront_size32 1
		.amdhsa_uses_dynamic_stack 0
		.amdhsa_enable_private_segment 0
		.amdhsa_system_sgpr_workgroup_id_x 1
		.amdhsa_system_sgpr_workgroup_id_y 0
		.amdhsa_system_sgpr_workgroup_id_z 0
		.amdhsa_system_sgpr_workgroup_info 0
		.amdhsa_system_vgpr_workitem_id 0
		.amdhsa_next_free_vgpr 29
		.amdhsa_next_free_sgpr 16
		.amdhsa_reserve_vcc 1
		.amdhsa_float_round_mode_32 0
		.amdhsa_float_round_mode_16_64 0
		.amdhsa_float_denorm_mode_32 3
		.amdhsa_float_denorm_mode_16_64 3
		.amdhsa_dx10_clamp 1
		.amdhsa_ieee_mode 1
		.amdhsa_fp16_overflow 0
		.amdhsa_workgroup_processor_mode 1
		.amdhsa_memory_ordered 1
		.amdhsa_forward_progress 0
		.amdhsa_shared_vgpr_count 0
		.amdhsa_exception_fp_ieee_invalid_op 0
		.amdhsa_exception_fp_denorm_src 0
		.amdhsa_exception_fp_ieee_div_zero 0
		.amdhsa_exception_fp_ieee_overflow 0
		.amdhsa_exception_fp_ieee_underflow 0
		.amdhsa_exception_fp_ieee_inexact 0
		.amdhsa_exception_int_div_zero 0
	.end_amdhsa_kernel
	.section	.text._Z10sort_pairsILj256ELj16ELj4EaN10test_utils4lessEEvPKT2_PS2_T3_,"axG",@progbits,_Z10sort_pairsILj256ELj16ELj4EaN10test_utils4lessEEvPKT2_PS2_T3_,comdat
.Lfunc_end65:
	.size	_Z10sort_pairsILj256ELj16ELj4EaN10test_utils4lessEEvPKT2_PS2_T3_, .Lfunc_end65-_Z10sort_pairsILj256ELj16ELj4EaN10test_utils4lessEEvPKT2_PS2_T3_
                                        ; -- End function
	.section	.AMDGPU.csdata,"",@progbits
; Kernel info:
; codeLenInByte = 4780
; NumSgprs: 18
; NumVgprs: 29
; ScratchSize: 0
; MemoryBound: 0
; FloatMode: 240
; IeeeMode: 1
; LDSByteSize: 1040 bytes/workgroup (compile time only)
; SGPRBlocks: 2
; VGPRBlocks: 3
; NumSGPRsForWavesPerEU: 18
; NumVGPRsForWavesPerEU: 29
; Occupancy: 16
; WaveLimiterHint : 0
; COMPUTE_PGM_RSRC2:SCRATCH_EN: 0
; COMPUTE_PGM_RSRC2:USER_SGPR: 15
; COMPUTE_PGM_RSRC2:TRAP_HANDLER: 0
; COMPUTE_PGM_RSRC2:TGID_X_EN: 1
; COMPUTE_PGM_RSRC2:TGID_Y_EN: 0
; COMPUTE_PGM_RSRC2:TGID_Z_EN: 0
; COMPUTE_PGM_RSRC2:TIDIG_COMP_CNT: 0
	.section	.text._Z19sort_keys_segmentedILj256ELj16ELj4EaN10test_utils4lessEEvPKT2_PS2_PKjT3_,"axG",@progbits,_Z19sort_keys_segmentedILj256ELj16ELj4EaN10test_utils4lessEEvPKT2_PS2_PKjT3_,comdat
	.protected	_Z19sort_keys_segmentedILj256ELj16ELj4EaN10test_utils4lessEEvPKT2_PS2_PKjT3_ ; -- Begin function _Z19sort_keys_segmentedILj256ELj16ELj4EaN10test_utils4lessEEvPKT2_PS2_PKjT3_
	.globl	_Z19sort_keys_segmentedILj256ELj16ELj4EaN10test_utils4lessEEvPKT2_PS2_PKjT3_
	.p2align	8
	.type	_Z19sort_keys_segmentedILj256ELj16ELj4EaN10test_utils4lessEEvPKT2_PS2_PKjT3_,@function
_Z19sort_keys_segmentedILj256ELj16ELj4EaN10test_utils4lessEEvPKT2_PS2_PKjT3_: ; @_Z19sort_keys_segmentedILj256ELj16ELj4EaN10test_utils4lessEEvPKT2_PS2_PKjT3_
; %bb.0:
	s_clause 0x1
	s_load_b64 s[2:3], s[0:1], 0x10
	s_load_b128 s[8:11], s[0:1], 0x0
	v_lshrrev_b32_e32 v6, 4, v0
	v_mov_b32_e32 v1, 0
                                        ; implicit-def: $vgpr8
	s_delay_alu instid0(VALU_DEP_2) | instskip(NEXT) | instid1(VALU_DEP_1)
	v_lshl_or_b32 v0, s15, 4, v6
	v_lshlrev_b64 v[1:2], 2, v[0:1]
	v_lshlrev_b32_e32 v3, 6, v0
	s_waitcnt lgkmcnt(0)
	s_delay_alu instid0(VALU_DEP_2) | instskip(NEXT) | instid1(VALU_DEP_3)
	v_add_co_u32 v1, vcc_lo, s2, v1
	v_add_co_ci_u32_e32 v2, vcc_lo, s3, v2, vcc_lo
	s_delay_alu instid0(VALU_DEP_3) | instskip(SKIP_2) | instid1(VALU_DEP_1)
	v_add_co_u32 v0, s0, s8, v3
	global_load_b32 v4, v[1:2], off
	v_mbcnt_lo_u32_b32 v1, -1, 0
	v_lshlrev_b32_e32 v5, 2, v1
	v_add_co_ci_u32_e64 v1, null, s9, 0, s0
	s_delay_alu instid0(VALU_DEP_2) | instskip(NEXT) | instid1(VALU_DEP_1)
	v_and_b32_e32 v2, 60, v5
	v_add_co_u32 v0, vcc_lo, v0, v2
	s_delay_alu instid0(VALU_DEP_3)
	v_add_co_ci_u32_e32 v1, vcc_lo, 0, v1, vcc_lo
	s_waitcnt vmcnt(0)
	v_cmp_lt_u32_e32 vcc_lo, v2, v4
	s_and_saveexec_b32 s0, vcc_lo
	s_cbranch_execz .LBB66_2
; %bb.1:
	global_load_u8 v8, v[0:1], off
.LBB66_2:
	s_or_b32 exec_lo, exec_lo, s0
	v_or_b32_e32 v7, 1, v2
                                        ; implicit-def: $vgpr10
	s_delay_alu instid0(VALU_DEP_1) | instskip(NEXT) | instid1(VALU_DEP_1)
	v_cmp_lt_u32_e64 s0, v7, v4
	s_and_saveexec_b32 s1, s0
	s_cbranch_execz .LBB66_4
; %bb.3:
	global_load_u8 v10, v[0:1], off offset:1
.LBB66_4:
	s_or_b32 exec_lo, exec_lo, s1
	v_or_b32_e32 v9, 2, v2
                                        ; implicit-def: $vgpr12
	s_delay_alu instid0(VALU_DEP_1) | instskip(NEXT) | instid1(VALU_DEP_1)
	v_cmp_lt_u32_e64 s1, v9, v4
	s_and_saveexec_b32 s2, s1
	s_cbranch_execz .LBB66_6
; %bb.5:
	global_load_u8 v12, v[0:1], off offset:2
.LBB66_6:
	s_or_b32 exec_lo, exec_lo, s2
	v_or_b32_e32 v11, 3, v2
                                        ; implicit-def: $vgpr13
	s_delay_alu instid0(VALU_DEP_1) | instskip(NEXT) | instid1(VALU_DEP_1)
	v_cmp_lt_u32_e64 s2, v11, v4
	s_and_saveexec_b32 s3, s2
	s_cbranch_execz .LBB66_8
; %bb.7:
	global_load_u8 v13, v[0:1], off offset:3
.LBB66_8:
	s_or_b32 exec_lo, exec_lo, s3
	s_waitcnt vmcnt(0)
	v_and_b32_e32 v0, 0xff, v8
	v_lshlrev_b16 v1, 8, v10
	v_and_b32_e32 v8, 0xff, v12
	v_lshlrev_b16 v10, 8, v13
	v_cmp_lt_i32_e64 s3, v7, v4
	s_mov_b32 s5, exec_lo
	v_or_b32_e32 v1, v0, v1
	v_or_b32_e32 v0, 0x7f00, v0
	;; [unrolled: 1-line block ×3, first 2 shown]
	s_delay_alu instid0(VALU_DEP_3) | instskip(NEXT) | instid1(VALU_DEP_3)
	v_and_b32_e32 v1, 0xffff, v1
	v_and_b32_e32 v0, 0xffff, v0
	s_delay_alu instid0(VALU_DEP_3) | instskip(NEXT) | instid1(VALU_DEP_1)
	v_lshlrev_b32_e32 v8, 16, v8
	v_or_b32_e32 v1, v1, v8
	s_delay_alu instid0(VALU_DEP_3) | instskip(NEXT) | instid1(VALU_DEP_1)
	v_or_b32_e32 v0, v0, v8
	v_cndmask_b32_e64 v0, v0, v1, s3
	v_cmp_lt_i32_e64 s3, v9, v4
	s_delay_alu instid0(VALU_DEP_2) | instskip(NEXT) | instid1(VALU_DEP_1)
	v_lshrrev_b32_e32 v7, 16, v0
	v_and_b32_e32 v7, 0xffffff00, v7
	s_delay_alu instid0(VALU_DEP_1) | instskip(NEXT) | instid1(VALU_DEP_1)
	v_or_b32_e32 v7, 0x7f, v7
	v_lshlrev_b32_e32 v7, 16, v7
	s_delay_alu instid0(VALU_DEP_1) | instskip(NEXT) | instid1(VALU_DEP_1)
	v_and_or_b32 v0, 0xffff, v0, v7
	v_cndmask_b32_e64 v0, v0, v1, s3
	v_cmp_lt_i32_e64 s3, v11, v4
	s_delay_alu instid0(VALU_DEP_2) | instskip(NEXT) | instid1(VALU_DEP_1)
	v_lshrrev_b32_e32 v7, 16, v0
	v_and_b32_e32 v7, 0xff, v7
	s_delay_alu instid0(VALU_DEP_1) | instskip(NEXT) | instid1(VALU_DEP_1)
	v_or_b32_e32 v7, 0x7f00, v7
	v_lshlrev_b32_e32 v7, 16, v7
	s_delay_alu instid0(VALU_DEP_1) | instskip(NEXT) | instid1(VALU_DEP_1)
	v_and_or_b32 v0, 0xffff, v0, v7
	v_cndmask_b32_e64 v11, v0, v1, s3
	v_cmpx_lt_i32_e64 v2, v4
	s_cbranch_execz .LBB66_10
; %bb.9:
	s_delay_alu instid0(VALU_DEP_2) | instskip(SKIP_2) | instid1(VALU_DEP_3)
	v_lshrrev_b32_e32 v0, 8, v11
	v_bfe_i32 v1, v11, 0, 8
	v_perm_b32 v7, v11, v11, 0x7060405
	v_bfe_i32 v0, v0, 0, 8
	s_delay_alu instid0(VALU_DEP_1) | instskip(NEXT) | instid1(VALU_DEP_1)
	v_cmp_lt_i16_e64 s3, v0, v1
	v_cndmask_b32_e64 v7, v11, v7, s3
	s_delay_alu instid0(VALU_DEP_1) | instskip(SKIP_1) | instid1(VALU_DEP_2)
	v_lshrrev_b32_e32 v8, 16, v7
	v_lshrrev_b32_e32 v10, 24, v7
	v_perm_b32 v9, 0, v8, 0xc0c0001
	s_delay_alu instid0(VALU_DEP_2) | instskip(SKIP_1) | instid1(VALU_DEP_3)
	v_bfe_i32 v10, v10, 0, 8
	v_bfe_i32 v8, v8, 0, 8
	v_lshlrev_b32_e32 v9, 16, v9
	s_delay_alu instid0(VALU_DEP_2) | instskip(SKIP_2) | instid1(VALU_DEP_4)
	v_cmp_lt_i16_e64 s3, v10, v8
	v_min_i16 v11, v10, v8
	v_max_i16 v8, v10, v8
	v_and_or_b32 v9, 0xffff, v7, v9
	s_delay_alu instid0(VALU_DEP_3) | instskip(NEXT) | instid1(VALU_DEP_2)
	v_lshlrev_b16 v14, 8, v11
	v_cndmask_b32_e64 v7, v7, v9, s3
	v_max_i16 v9, v0, v1
	v_min_i16 v0, v0, v1
	s_delay_alu instid0(VALU_DEP_3) | instskip(NEXT) | instid1(VALU_DEP_3)
	v_lshrrev_b32_e32 v12, 16, v7
	v_and_b32_e32 v13, 0xff, v9
	v_and_b32_e32 v15, 0xff, v7
	v_min_i16 v1, v11, v9
	v_max_i16 v10, v11, v9
	v_and_b32_e32 v12, 0xffffff00, v12
	v_cmp_lt_i16_e64 s3, v11, v9
	v_or_b32_e32 v14, v15, v14
	v_and_b32_e32 v15, 0xff, v1
	v_cmp_gt_i16_e64 s4, v9, v8
	v_or_b32_e32 v12, v13, v12
	v_lshlrev_b16 v13, 8, v0
	v_and_b32_e32 v14, 0xffff, v14
	s_delay_alu instid0(VALU_DEP_3) | instskip(NEXT) | instid1(VALU_DEP_3)
	v_lshlrev_b32_e32 v12, 16, v12
	v_or_b32_e32 v13, v15, v13
	v_lshlrev_b16 v15, 8, v10
	s_delay_alu instid0(VALU_DEP_3) | instskip(SKIP_1) | instid1(VALU_DEP_4)
	v_or_b32_e32 v12, v14, v12
	v_and_b32_e32 v14, 0xff, v8
	v_and_b32_e32 v13, 0xffff, v13
	v_cndmask_b32_e64 v8, v10, v8, s4
	s_delay_alu instid0(VALU_DEP_4) | instskip(NEXT) | instid1(VALU_DEP_4)
	v_cndmask_b32_e64 v7, v7, v12, s3
	v_or_b32_e32 v12, v14, v15
	v_cmp_lt_i16_e64 s3, v11, v0
	s_delay_alu instid0(VALU_DEP_4) | instskip(NEXT) | instid1(VALU_DEP_4)
	v_lshlrev_b16 v10, 8, v8
	v_and_or_b32 v13, 0xffff0000, v7, v13
	s_delay_alu instid0(VALU_DEP_4) | instskip(NEXT) | instid1(VALU_DEP_4)
	v_lshlrev_b32_e32 v12, 16, v12
	v_cndmask_b32_e64 v0, v1, v0, s3
	s_delay_alu instid0(VALU_DEP_3) | instskip(NEXT) | instid1(VALU_DEP_2)
	v_cndmask_b32_e64 v7, v7, v13, s3
	v_cmp_lt_i16_e64 s3, v8, v0
	s_delay_alu instid0(VALU_DEP_2) | instskip(NEXT) | instid1(VALU_DEP_1)
	v_and_or_b32 v11, 0xffff, v7, v12
	v_cndmask_b32_e64 v7, v7, v11, s4
	v_and_b32_e32 v11, 0xff, v0
	s_delay_alu instid0(VALU_DEP_2) | instskip(SKIP_1) | instid1(VALU_DEP_2)
	v_lshrrev_b32_e32 v9, 16, v7
	v_and_b32_e32 v1, 0xff, v7
	v_and_b32_e32 v9, 0xffffff00, v9
	s_delay_alu instid0(VALU_DEP_2) | instskip(NEXT) | instid1(VALU_DEP_2)
	v_or_b32_e32 v1, v1, v10
	v_or_b32_e32 v9, v11, v9
	s_delay_alu instid0(VALU_DEP_2) | instskip(NEXT) | instid1(VALU_DEP_2)
	v_and_b32_e32 v1, 0xffff, v1
	v_lshlrev_b32_e32 v9, 16, v9
	s_delay_alu instid0(VALU_DEP_1) | instskip(NEXT) | instid1(VALU_DEP_1)
	v_or_b32_e32 v1, v1, v9
	v_cndmask_b32_e64 v11, v7, v1, s3
.LBB66_10:
	s_or_b32 exec_lo, exec_lo, s5
	v_and_b32_e32 v0, 56, v5
	v_and_b32_e32 v8, 4, v5
	v_mad_u32_u24 v13, 0x41, v6, v2
	s_mov_b32 s5, 0
	s_mov_b32 s4, exec_lo
	v_min_i32_e32 v1, v4, v0
	v_min_i32_e32 v8, v4, v8
	; wave barrier
	ds_store_b32 v13, v11
	v_add_nc_u32_e32 v0, 4, v1
	; wave barrier
	s_delay_alu instid0(VALU_DEP_1) | instskip(NEXT) | instid1(VALU_DEP_1)
	v_min_i32_e32 v7, v4, v0
	v_add_nc_u32_e32 v0, 4, v7
	v_sub_nc_u32_e32 v12, v7, v1
	s_delay_alu instid0(VALU_DEP_2) | instskip(NEXT) | instid1(VALU_DEP_2)
	v_min_i32_e32 v9, v4, v0
	v_min_i32_e32 v12, v8, v12
	s_delay_alu instid0(VALU_DEP_2) | instskip(NEXT) | instid1(VALU_DEP_1)
	v_sub_nc_u32_e32 v0, v9, v7
	v_sub_nc_u32_e32 v10, v8, v0
	v_cmp_ge_i32_e64 s3, v8, v0
	v_mul_u32_u24_e32 v0, 0x41, v6
	s_delay_alu instid0(VALU_DEP_2) | instskip(NEXT) | instid1(VALU_DEP_1)
	v_cndmask_b32_e64 v10, 0, v10, s3
	v_cmpx_lt_i32_e64 v10, v12
	s_cbranch_execz .LBB66_14
; %bb.11:
	s_delay_alu instid0(VALU_DEP_3)
	v_add_nc_u32_e32 v6, v0, v1
	v_add3_u32 v11, v0, v7, v8
	.p2align	6
.LBB66_12:                              ; =>This Inner Loop Header: Depth=1
	v_sub_nc_u32_e32 v13, v12, v10
	s_delay_alu instid0(VALU_DEP_1) | instskip(NEXT) | instid1(VALU_DEP_1)
	v_lshrrev_b32_e32 v14, 31, v13
	v_add_nc_u32_e32 v13, v13, v14
	s_delay_alu instid0(VALU_DEP_1) | instskip(NEXT) | instid1(VALU_DEP_1)
	v_ashrrev_i32_e32 v13, 1, v13
	v_add_nc_u32_e32 v13, v13, v10
	s_delay_alu instid0(VALU_DEP_1)
	v_add_nc_u32_e32 v14, v6, v13
	v_xad_u32 v15, v13, -1, v11
	v_add_nc_u32_e32 v16, 1, v13
	ds_load_i8 v14, v14
	ds_load_i8 v15, v15
	s_waitcnt lgkmcnt(0)
	v_cmp_lt_i16_e64 s3, v15, v14
	s_delay_alu instid0(VALU_DEP_1) | instskip(SKIP_1) | instid1(VALU_DEP_1)
	v_cndmask_b32_e64 v12, v12, v13, s3
	v_cndmask_b32_e64 v10, v16, v10, s3
	v_cmp_ge_i32_e64 s3, v10, v12
	s_delay_alu instid0(VALU_DEP_1) | instskip(NEXT) | instid1(SALU_CYCLE_1)
	s_or_b32 s5, s3, s5
	s_and_not1_b32 exec_lo, exec_lo, s5
	s_cbranch_execnz .LBB66_12
; %bb.13:
	s_or_b32 exec_lo, exec_lo, s5
.LBB66_14:
	s_delay_alu instid0(SALU_CYCLE_1) | instskip(SKIP_2) | instid1(VALU_DEP_2)
	s_or_b32 exec_lo, exec_lo, s4
	v_add_nc_u32_e32 v6, v7, v8
	v_add_nc_u32_e32 v12, v10, v1
	v_sub_nc_u32_e32 v6, v6, v10
	s_delay_alu instid0(VALU_DEP_2) | instskip(SKIP_1) | instid1(VALU_DEP_3)
	v_add_nc_u32_e32 v11, v0, v12
	v_cmp_le_i32_e64 s3, v7, v12
                                        ; implicit-def: $vgpr10
	v_add_nc_u32_e32 v13, v0, v6
	v_cmp_gt_i32_e64 s5, v9, v6
	ds_load_u8 v1, v11
	ds_load_u8 v8, v13
	s_waitcnt lgkmcnt(1)
	v_bfe_i32 v1, v1, 0, 8
	s_waitcnt lgkmcnt(0)
	v_bfe_i32 v8, v8, 0, 8
	s_delay_alu instid0(VALU_DEP_1) | instskip(NEXT) | instid1(VALU_DEP_1)
	v_cmp_lt_i16_e64 s4, v8, v1
	s_or_b32 s3, s3, s4
	s_delay_alu instid0(SALU_CYCLE_1) | instskip(NEXT) | instid1(SALU_CYCLE_1)
	s_and_b32 s3, s5, s3
	s_xor_b32 s4, s3, -1
	s_delay_alu instid0(SALU_CYCLE_1) | instskip(NEXT) | instid1(SALU_CYCLE_1)
	s_and_saveexec_b32 s5, s4
	s_xor_b32 s4, exec_lo, s5
	s_cbranch_execz .LBB66_16
; %bb.15:
	ds_load_u8 v10, v11 offset:1
                                        ; implicit-def: $vgpr13
.LBB66_16:
	s_or_saveexec_b32 s4, s4
	v_mov_b32_e32 v11, v8
	s_xor_b32 exec_lo, exec_lo, s4
	s_cbranch_execz .LBB66_18
; %bb.17:
	ds_load_u8 v11, v13 offset:1
	s_waitcnt lgkmcnt(1)
	v_mov_b32_e32 v10, v1
.LBB66_18:
	s_or_b32 exec_lo, exec_lo, s4
	v_add_nc_u32_e32 v13, 1, v12
	v_add_nc_u32_e32 v14, 1, v6
	s_waitcnt lgkmcnt(0)
	v_bfe_i32 v15, v10, 0, 8
	s_delay_alu instid0(VALU_DEP_3) | instskip(SKIP_2) | instid1(VALU_DEP_3)
	v_cndmask_b32_e64 v13, v13, v12, s3
	v_bfe_i32 v12, v11, 0, 8
	v_cndmask_b32_e64 v6, v6, v14, s3
	v_cmp_ge_i32_e64 s4, v13, v7
	s_delay_alu instid0(VALU_DEP_3) | instskip(NEXT) | instid1(VALU_DEP_3)
	v_cmp_lt_i16_e64 s5, v12, v15
	v_cmp_lt_i32_e64 s6, v6, v9
                                        ; implicit-def: $vgpr12
	s_delay_alu instid0(VALU_DEP_2)
	s_or_b32 s4, s4, s5
	s_delay_alu instid0(VALU_DEP_1) | instid1(SALU_CYCLE_1)
	s_and_b32 s4, s6, s4
	s_delay_alu instid0(SALU_CYCLE_1) | instskip(NEXT) | instid1(SALU_CYCLE_1)
	s_xor_b32 s5, s4, -1
	s_and_saveexec_b32 s6, s5
	s_delay_alu instid0(SALU_CYCLE_1)
	s_xor_b32 s5, exec_lo, s6
	s_cbranch_execz .LBB66_20
; %bb.19:
	v_add_nc_u32_e32 v12, v0, v13
	ds_load_u8 v12, v12 offset:1
.LBB66_20:
	s_or_saveexec_b32 s5, s5
	v_mov_b32_e32 v14, v11
	s_xor_b32 exec_lo, exec_lo, s5
	s_cbranch_execz .LBB66_22
; %bb.21:
	s_waitcnt lgkmcnt(0)
	v_add_nc_u32_e32 v12, v0, v6
	ds_load_u8 v14, v12 offset:1
	v_mov_b32_e32 v12, v10
.LBB66_22:
	s_or_b32 exec_lo, exec_lo, s5
	v_add_nc_u32_e32 v15, 1, v13
	v_add_nc_u32_e32 v17, 1, v6
	s_waitcnt lgkmcnt(0)
	v_bfe_i32 v18, v12, 0, 8
	s_delay_alu instid0(VALU_DEP_3) | instskip(SKIP_2) | instid1(VALU_DEP_3)
	v_cndmask_b32_e64 v16, v15, v13, s4
	v_bfe_i32 v13, v14, 0, 8
	v_cndmask_b32_e64 v17, v6, v17, s4
                                        ; implicit-def: $vgpr15
	v_cmp_ge_i32_e64 s5, v16, v7
	s_delay_alu instid0(VALU_DEP_3) | instskip(NEXT) | instid1(VALU_DEP_3)
	v_cmp_lt_i16_e64 s6, v13, v18
	v_cmp_lt_i32_e64 s7, v17, v9
	s_delay_alu instid0(VALU_DEP_2)
	s_or_b32 s5, s5, s6
	s_delay_alu instid0(VALU_DEP_1) | instid1(SALU_CYCLE_1)
	s_and_b32 s5, s7, s5
	s_delay_alu instid0(SALU_CYCLE_1) | instskip(NEXT) | instid1(SALU_CYCLE_1)
	s_xor_b32 s6, s5, -1
	s_and_saveexec_b32 s7, s6
	s_delay_alu instid0(SALU_CYCLE_1)
	s_xor_b32 s6, exec_lo, s7
	s_cbranch_execz .LBB66_24
; %bb.23:
	v_add_nc_u32_e32 v6, v0, v16
	ds_load_u8 v15, v6 offset:1
.LBB66_24:
	s_or_saveexec_b32 s6, s6
	v_mov_b32_e32 v18, v14
	s_xor_b32 exec_lo, exec_lo, s6
	s_cbranch_execz .LBB66_26
; %bb.25:
	v_add_nc_u32_e32 v6, v0, v17
	s_waitcnt lgkmcnt(0)
	v_mov_b32_e32 v15, v12
	ds_load_u8 v18, v6 offset:1
.LBB66_26:
	s_or_b32 exec_lo, exec_lo, s6
	v_and_b32_e32 v6, 48, v5
	v_add_nc_u32_e32 v19, 1, v16
	v_cndmask_b32_e64 v11, v10, v11, s4
	v_cndmask_b32_e64 v21, v1, v8, s3
	v_and_b32_e32 v10, 12, v5
	v_min_i32_e32 v13, v4, v6
	v_cndmask_b32_e64 v12, v12, v14, s5
	v_add_nc_u32_e32 v14, 1, v17
	s_waitcnt lgkmcnt(0)
	v_bfe_i32 v22, v15, 0, 8
	v_cndmask_b32_e64 v16, v19, v16, s5
	v_add_nc_u32_e32 v6, 8, v13
	v_min_i32_e32 v10, v4, v10
	v_cndmask_b32_e64 v14, v17, v14, s5
	v_add_nc_u32_e32 v1, v0, v2
	v_cmp_ge_i32_e64 s4, v16, v7
	v_min_i32_e32 v6, v4, v6
	s_delay_alu instid0(VALU_DEP_4) | instskip(NEXT) | instid1(VALU_DEP_2)
	v_cmp_lt_i32_e64 s5, v14, v9
	; wave barrier
	v_add_nc_u32_e32 v20, 8, v6
	v_sub_nc_u32_e32 v17, v6, v13
	s_delay_alu instid0(VALU_DEP_2) | instskip(SKIP_1) | instid1(VALU_DEP_3)
	v_min_i32_e32 v8, v4, v20
	v_bfe_i32 v20, v18, 0, 8
	v_min_i32_e32 v9, v10, v17
	s_delay_alu instid0(VALU_DEP_3) | instskip(NEXT) | instid1(VALU_DEP_3)
	v_sub_nc_u32_e32 v23, v8, v6
	v_cmp_lt_i16_e64 s3, v20, v22
	s_delay_alu instid0(VALU_DEP_2) | instskip(SKIP_1) | instid1(VALU_DEP_3)
	v_sub_nc_u32_e32 v19, v10, v23
	v_cmp_ge_i32_e64 s6, v10, v23
	s_or_b32 s3, s4, s3
	s_mov_b32 s4, exec_lo
	s_and_b32 s3, s5, s3
	s_mov_b32 s5, 0
	v_cndmask_b32_e64 v7, 0, v19, s6
	v_cndmask_b32_e64 v14, v15, v18, s3
	ds_store_b8 v1, v21
	ds_store_b8 v1, v11 offset:1
	ds_store_b8 v1, v12 offset:2
	;; [unrolled: 1-line block ×3, first 2 shown]
	; wave barrier
	v_cmpx_lt_i32_e64 v7, v9
	s_cbranch_execz .LBB66_30
; %bb.27:
	v_add_nc_u32_e32 v11, v0, v13
	v_add3_u32 v12, v0, v6, v10
	.p2align	6
.LBB66_28:                              ; =>This Inner Loop Header: Depth=1
	v_sub_nc_u32_e32 v14, v9, v7
	s_delay_alu instid0(VALU_DEP_1) | instskip(NEXT) | instid1(VALU_DEP_1)
	v_lshrrev_b32_e32 v15, 31, v14
	v_add_nc_u32_e32 v14, v14, v15
	s_delay_alu instid0(VALU_DEP_1) | instskip(NEXT) | instid1(VALU_DEP_1)
	v_ashrrev_i32_e32 v14, 1, v14
	v_add_nc_u32_e32 v14, v14, v7
	s_delay_alu instid0(VALU_DEP_1)
	v_add_nc_u32_e32 v15, v11, v14
	v_xad_u32 v16, v14, -1, v12
	v_add_nc_u32_e32 v17, 1, v14
	ds_load_i8 v15, v15
	ds_load_i8 v16, v16
	s_waitcnt lgkmcnt(0)
	v_cmp_lt_i16_e64 s3, v16, v15
	s_delay_alu instid0(VALU_DEP_1) | instskip(SKIP_1) | instid1(VALU_DEP_1)
	v_cndmask_b32_e64 v9, v9, v14, s3
	v_cndmask_b32_e64 v7, v17, v7, s3
	v_cmp_ge_i32_e64 s3, v7, v9
	s_delay_alu instid0(VALU_DEP_1) | instskip(NEXT) | instid1(SALU_CYCLE_1)
	s_or_b32 s5, s3, s5
	s_and_not1_b32 exec_lo, exec_lo, s5
	s_cbranch_execnz .LBB66_28
; %bb.29:
	s_or_b32 exec_lo, exec_lo, s5
.LBB66_30:
	s_delay_alu instid0(SALU_CYCLE_1) | instskip(SKIP_2) | instid1(VALU_DEP_2)
	s_or_b32 exec_lo, exec_lo, s4
	v_add_nc_u32_e32 v9, v6, v10
	v_add_nc_u32_e32 v13, v7, v13
                                        ; implicit-def: $vgpr11
	v_sub_nc_u32_e32 v7, v9, v7
	s_delay_alu instid0(VALU_DEP_2) | instskip(SKIP_1) | instid1(VALU_DEP_3)
	v_add_nc_u32_e32 v12, v0, v13
	v_cmp_le_i32_e64 s3, v6, v13
	v_add_nc_u32_e32 v14, v0, v7
	v_cmp_gt_i32_e64 s5, v8, v7
	ds_load_u8 v9, v12
	ds_load_u8 v10, v14
	s_waitcnt lgkmcnt(1)
	v_bfe_i32 v9, v9, 0, 8
	s_waitcnt lgkmcnt(0)
	v_bfe_i32 v10, v10, 0, 8
	s_delay_alu instid0(VALU_DEP_1) | instskip(NEXT) | instid1(VALU_DEP_1)
	v_cmp_lt_i16_e64 s4, v10, v9
	s_or_b32 s3, s3, s4
	s_delay_alu instid0(SALU_CYCLE_1) | instskip(NEXT) | instid1(SALU_CYCLE_1)
	s_and_b32 s3, s5, s3
	s_xor_b32 s4, s3, -1
	s_delay_alu instid0(SALU_CYCLE_1) | instskip(NEXT) | instid1(SALU_CYCLE_1)
	s_and_saveexec_b32 s5, s4
	s_xor_b32 s4, exec_lo, s5
	s_cbranch_execz .LBB66_32
; %bb.31:
	ds_load_u8 v11, v12 offset:1
                                        ; implicit-def: $vgpr14
.LBB66_32:
	s_or_saveexec_b32 s4, s4
	v_mov_b32_e32 v12, v10
	s_xor_b32 exec_lo, exec_lo, s4
	s_cbranch_execz .LBB66_34
; %bb.33:
	ds_load_u8 v12, v14 offset:1
	s_waitcnt lgkmcnt(1)
	v_mov_b32_e32 v11, v9
.LBB66_34:
	s_or_b32 exec_lo, exec_lo, s4
	v_add_nc_u32_e32 v14, 1, v13
	v_add_nc_u32_e32 v15, 1, v7
	s_waitcnt lgkmcnt(0)
	v_bfe_i32 v16, v11, 0, 8
	s_delay_alu instid0(VALU_DEP_3) | instskip(SKIP_2) | instid1(VALU_DEP_3)
	v_cndmask_b32_e64 v14, v14, v13, s3
	v_bfe_i32 v13, v12, 0, 8
	v_cndmask_b32_e64 v7, v7, v15, s3
	v_cmp_ge_i32_e64 s4, v14, v6
	s_delay_alu instid0(VALU_DEP_3) | instskip(NEXT) | instid1(VALU_DEP_3)
	v_cmp_lt_i16_e64 s5, v13, v16
	v_cmp_lt_i32_e64 s6, v7, v8
                                        ; implicit-def: $vgpr13
	s_delay_alu instid0(VALU_DEP_2)
	s_or_b32 s4, s4, s5
	s_delay_alu instid0(VALU_DEP_1) | instid1(SALU_CYCLE_1)
	s_and_b32 s4, s6, s4
	s_delay_alu instid0(SALU_CYCLE_1) | instskip(NEXT) | instid1(SALU_CYCLE_1)
	s_xor_b32 s5, s4, -1
	s_and_saveexec_b32 s6, s5
	s_delay_alu instid0(SALU_CYCLE_1)
	s_xor_b32 s5, exec_lo, s6
	s_cbranch_execz .LBB66_36
; %bb.35:
	v_add_nc_u32_e32 v13, v0, v14
	ds_load_u8 v13, v13 offset:1
.LBB66_36:
	s_or_saveexec_b32 s5, s5
	v_mov_b32_e32 v15, v12
	s_xor_b32 exec_lo, exec_lo, s5
	s_cbranch_execz .LBB66_38
; %bb.37:
	s_waitcnt lgkmcnt(0)
	v_add_nc_u32_e32 v13, v0, v7
	ds_load_u8 v15, v13 offset:1
	v_mov_b32_e32 v13, v11
.LBB66_38:
	s_or_b32 exec_lo, exec_lo, s5
	v_add_nc_u32_e32 v16, 1, v14
	v_add_nc_u32_e32 v18, 1, v7
	s_waitcnt lgkmcnt(0)
	v_bfe_i32 v19, v13, 0, 8
	s_delay_alu instid0(VALU_DEP_3) | instskip(SKIP_2) | instid1(VALU_DEP_3)
	v_cndmask_b32_e64 v17, v16, v14, s4
	v_bfe_i32 v14, v15, 0, 8
	v_cndmask_b32_e64 v18, v7, v18, s4
                                        ; implicit-def: $vgpr16
	v_cmp_ge_i32_e64 s5, v17, v6
	s_delay_alu instid0(VALU_DEP_3) | instskip(NEXT) | instid1(VALU_DEP_3)
	v_cmp_lt_i16_e64 s6, v14, v19
	v_cmp_lt_i32_e64 s7, v18, v8
	s_delay_alu instid0(VALU_DEP_2)
	s_or_b32 s5, s5, s6
	s_delay_alu instid0(VALU_DEP_1) | instid1(SALU_CYCLE_1)
	s_and_b32 s5, s7, s5
	s_delay_alu instid0(SALU_CYCLE_1) | instskip(NEXT) | instid1(SALU_CYCLE_1)
	s_xor_b32 s6, s5, -1
	s_and_saveexec_b32 s7, s6
	s_delay_alu instid0(SALU_CYCLE_1)
	s_xor_b32 s6, exec_lo, s7
	s_cbranch_execz .LBB66_40
; %bb.39:
	v_add_nc_u32_e32 v7, v0, v17
	ds_load_u8 v16, v7 offset:1
.LBB66_40:
	s_or_saveexec_b32 s6, s6
	v_mov_b32_e32 v19, v15
	s_xor_b32 exec_lo, exec_lo, s6
	s_cbranch_execz .LBB66_42
; %bb.41:
	s_waitcnt lgkmcnt(0)
	v_dual_mov_b32 v16, v13 :: v_dual_add_nc_u32 v7, v0, v18
	ds_load_u8 v19, v7 offset:1
.LBB66_42:
	s_or_b32 exec_lo, exec_lo, s6
	v_and_b32_e32 v7, 32, v5
	v_add_nc_u32_e32 v21, 1, v17
	v_cndmask_b32_e64 v10, v9, v10, s3
	v_and_b32_e32 v5, 28, v5
	v_cndmask_b32_e64 v13, v13, v15, s5
	v_min_i32_e32 v14, v4, v7
	v_add_nc_u32_e32 v15, 1, v18
	v_cndmask_b32_e64 v11, v11, v12, s4
	s_waitcnt lgkmcnt(0)
	v_bfe_i32 v12, v16, 0, 8
	v_cndmask_b32_e64 v17, v21, v17, s5
	v_add_nc_u32_e32 v7, 16, v14
	v_min_i32_e32 v5, v4, v5
	v_cndmask_b32_e64 v15, v18, v15, s5
	s_delay_alu instid0(VALU_DEP_4) | instskip(NEXT) | instid1(VALU_DEP_4)
	v_cmp_ge_i32_e64 s4, v17, v6
	v_min_i32_e32 v7, v4, v7
	; wave barrier
	s_delay_alu instid0(VALU_DEP_3) | instskip(NEXT) | instid1(VALU_DEP_2)
	v_cmp_lt_i32_e64 s5, v15, v8
	v_add_nc_u32_e32 v20, 16, v7
	v_sub_nc_u32_e32 v18, v7, v14
	s_delay_alu instid0(VALU_DEP_2) | instskip(SKIP_1) | instid1(VALU_DEP_3)
	v_min_i32_e32 v9, v4, v20
	v_bfe_i32 v20, v19, 0, 8
	v_min_i32_e32 v8, v5, v18
	s_delay_alu instid0(VALU_DEP_3) | instskip(NEXT) | instid1(VALU_DEP_3)
	v_sub_nc_u32_e32 v22, v9, v7
	v_cmp_lt_i16_e64 s3, v20, v12
	s_delay_alu instid0(VALU_DEP_2) | instskip(SKIP_1) | instid1(VALU_DEP_3)
	v_sub_nc_u32_e32 v12, v5, v22
	v_cmp_ge_i32_e64 s6, v5, v22
	s_or_b32 s3, s4, s3
	s_mov_b32 s4, exec_lo
	s_and_b32 s3, s5, s3
	s_mov_b32 s5, 0
	v_cndmask_b32_e64 v6, 0, v12, s6
	v_cndmask_b32_e64 v12, v16, v19, s3
	ds_store_b8 v1, v10
	ds_store_b8 v1, v11 offset:1
	ds_store_b8 v1, v13 offset:2
	;; [unrolled: 1-line block ×3, first 2 shown]
	; wave barrier
	v_cmpx_lt_i32_e64 v6, v8
	s_cbranch_execz .LBB66_46
; %bb.43:
	v_add_nc_u32_e32 v10, v0, v14
	v_add3_u32 v11, v0, v7, v5
	.p2align	6
.LBB66_44:                              ; =>This Inner Loop Header: Depth=1
	v_sub_nc_u32_e32 v12, v8, v6
	s_delay_alu instid0(VALU_DEP_1) | instskip(NEXT) | instid1(VALU_DEP_1)
	v_lshrrev_b32_e32 v13, 31, v12
	v_add_nc_u32_e32 v12, v12, v13
	s_delay_alu instid0(VALU_DEP_1) | instskip(NEXT) | instid1(VALU_DEP_1)
	v_ashrrev_i32_e32 v12, 1, v12
	v_add_nc_u32_e32 v12, v12, v6
	s_delay_alu instid0(VALU_DEP_1)
	v_add_nc_u32_e32 v13, v10, v12
	v_xad_u32 v15, v12, -1, v11
	v_add_nc_u32_e32 v16, 1, v12
	ds_load_i8 v13, v13
	ds_load_i8 v15, v15
	s_waitcnt lgkmcnt(0)
	v_cmp_lt_i16_e64 s3, v15, v13
	s_delay_alu instid0(VALU_DEP_1) | instskip(SKIP_1) | instid1(VALU_DEP_1)
	v_cndmask_b32_e64 v8, v8, v12, s3
	v_cndmask_b32_e64 v6, v16, v6, s3
	v_cmp_ge_i32_e64 s3, v6, v8
	s_delay_alu instid0(VALU_DEP_1) | instskip(NEXT) | instid1(SALU_CYCLE_1)
	s_or_b32 s5, s3, s5
	s_and_not1_b32 exec_lo, exec_lo, s5
	s_cbranch_execnz .LBB66_44
; %bb.45:
	s_or_b32 exec_lo, exec_lo, s5
.LBB66_46:
	s_delay_alu instid0(SALU_CYCLE_1) | instskip(SKIP_2) | instid1(VALU_DEP_2)
	s_or_b32 exec_lo, exec_lo, s4
	v_add_nc_u32_e32 v5, v7, v5
	v_add_nc_u32_e32 v12, v6, v14
                                        ; implicit-def: $vgpr10
	v_sub_nc_u32_e32 v5, v5, v6
	s_delay_alu instid0(VALU_DEP_2) | instskip(SKIP_1) | instid1(VALU_DEP_3)
	v_add_nc_u32_e32 v11, v0, v12
	v_cmp_le_i32_e64 s3, v7, v12
	v_add_nc_u32_e32 v13, v0, v5
	v_cmp_gt_i32_e64 s5, v9, v5
	ds_load_u8 v6, v11
	ds_load_u8 v8, v13
	s_waitcnt lgkmcnt(1)
	v_bfe_i32 v6, v6, 0, 8
	s_waitcnt lgkmcnt(0)
	v_bfe_i32 v8, v8, 0, 8
	s_delay_alu instid0(VALU_DEP_1) | instskip(NEXT) | instid1(VALU_DEP_1)
	v_cmp_lt_i16_e64 s4, v8, v6
	s_or_b32 s3, s3, s4
	s_delay_alu instid0(SALU_CYCLE_1) | instskip(NEXT) | instid1(SALU_CYCLE_1)
	s_and_b32 s3, s5, s3
	s_xor_b32 s4, s3, -1
	s_delay_alu instid0(SALU_CYCLE_1) | instskip(NEXT) | instid1(SALU_CYCLE_1)
	s_and_saveexec_b32 s5, s4
	s_xor_b32 s4, exec_lo, s5
	s_cbranch_execz .LBB66_48
; %bb.47:
	ds_load_u8 v10, v11 offset:1
                                        ; implicit-def: $vgpr13
.LBB66_48:
	s_or_saveexec_b32 s4, s4
	v_mov_b32_e32 v11, v8
	s_xor_b32 exec_lo, exec_lo, s4
	s_cbranch_execz .LBB66_50
; %bb.49:
	ds_load_u8 v11, v13 offset:1
	s_waitcnt lgkmcnt(1)
	v_mov_b32_e32 v10, v6
.LBB66_50:
	s_or_b32 exec_lo, exec_lo, s4
	v_add_nc_u32_e32 v13, 1, v12
	v_add_nc_u32_e32 v14, 1, v5
	s_waitcnt lgkmcnt(0)
	v_bfe_i32 v15, v10, 0, 8
	s_delay_alu instid0(VALU_DEP_3) | instskip(SKIP_2) | instid1(VALU_DEP_3)
	v_cndmask_b32_e64 v13, v13, v12, s3
	v_bfe_i32 v12, v11, 0, 8
	v_cndmask_b32_e64 v5, v5, v14, s3
	v_cmp_ge_i32_e64 s4, v13, v7
	s_delay_alu instid0(VALU_DEP_3) | instskip(NEXT) | instid1(VALU_DEP_3)
	v_cmp_lt_i16_e64 s5, v12, v15
	v_cmp_lt_i32_e64 s6, v5, v9
                                        ; implicit-def: $vgpr12
	s_delay_alu instid0(VALU_DEP_2)
	s_or_b32 s4, s4, s5
	s_delay_alu instid0(VALU_DEP_1) | instid1(SALU_CYCLE_1)
	s_and_b32 s4, s6, s4
	s_delay_alu instid0(SALU_CYCLE_1) | instskip(NEXT) | instid1(SALU_CYCLE_1)
	s_xor_b32 s5, s4, -1
	s_and_saveexec_b32 s6, s5
	s_delay_alu instid0(SALU_CYCLE_1)
	s_xor_b32 s5, exec_lo, s6
	s_cbranch_execz .LBB66_52
; %bb.51:
	v_add_nc_u32_e32 v12, v0, v13
	ds_load_u8 v12, v12 offset:1
.LBB66_52:
	s_or_saveexec_b32 s5, s5
	v_mov_b32_e32 v14, v11
	s_xor_b32 exec_lo, exec_lo, s5
	s_cbranch_execz .LBB66_54
; %bb.53:
	s_waitcnt lgkmcnt(0)
	v_add_nc_u32_e32 v12, v0, v5
	ds_load_u8 v14, v12 offset:1
	v_mov_b32_e32 v12, v10
.LBB66_54:
	s_or_b32 exec_lo, exec_lo, s5
	v_add_nc_u32_e32 v15, 1, v13
	v_add_nc_u32_e32 v16, 1, v5
	s_waitcnt lgkmcnt(0)
	v_bfe_i32 v18, v12, 0, 8
	s_delay_alu instid0(VALU_DEP_3) | instskip(SKIP_2) | instid1(VALU_DEP_3)
	v_cndmask_b32_e64 v15, v15, v13, s4
	v_bfe_i32 v13, v14, 0, 8
	v_cndmask_b32_e64 v17, v5, v16, s4
                                        ; implicit-def: $vgpr16
	v_cmp_ge_i32_e64 s5, v15, v7
	s_delay_alu instid0(VALU_DEP_3) | instskip(NEXT) | instid1(VALU_DEP_3)
	v_cmp_lt_i16_e64 s6, v13, v18
	v_cmp_lt_i32_e64 s7, v17, v9
	s_delay_alu instid0(VALU_DEP_2)
	s_or_b32 s5, s5, s6
	s_delay_alu instid0(VALU_DEP_1) | instid1(SALU_CYCLE_1)
	s_and_b32 s5, s7, s5
	s_delay_alu instid0(SALU_CYCLE_1) | instskip(NEXT) | instid1(SALU_CYCLE_1)
	s_xor_b32 s6, s5, -1
	s_and_saveexec_b32 s7, s6
	s_delay_alu instid0(SALU_CYCLE_1)
	s_xor_b32 s6, exec_lo, s7
	s_cbranch_execz .LBB66_56
; %bb.55:
	v_add_nc_u32_e32 v5, v0, v15
	ds_load_u8 v16, v5 offset:1
.LBB66_56:
	s_or_saveexec_b32 s6, s6
	v_mov_b32_e32 v18, v14
	s_xor_b32 exec_lo, exec_lo, s6
	s_cbranch_execz .LBB66_58
; %bb.57:
	v_add_nc_u32_e32 v5, v0, v17
	s_waitcnt lgkmcnt(0)
	v_mov_b32_e32 v16, v12
	ds_load_u8 v18, v5 offset:1
.LBB66_58:
	s_or_b32 exec_lo, exec_lo, s6
	v_min_i32_e32 v13, 0, v4
	v_cndmask_b32_e64 v12, v12, v14, s5
	v_add_nc_u32_e32 v20, 1, v15
	v_cndmask_b32_e64 v10, v10, v11, s4
	v_cndmask_b32_e64 v11, v6, v8, s3
	v_add_nc_u32_e32 v5, 32, v13
	v_add_nc_u32_e32 v19, 1, v17
	s_waitcnt lgkmcnt(0)
	v_bfe_i32 v8, v16, 0, 8
	v_cndmask_b32_e64 v15, v20, v15, s5
	v_min_i32_e32 v5, v4, v5
	v_cndmask_b32_e64 v17, v17, v19, s5
	; wave barrier
	s_delay_alu instid0(VALU_DEP_3) | instskip(NEXT) | instid1(VALU_DEP_3)
	v_cmp_ge_i32_e64 s4, v15, v7
	v_add_nc_u32_e32 v14, 32, v5
	v_sub_nc_u32_e32 v19, v5, v13
	s_delay_alu instid0(VALU_DEP_4) | instskip(NEXT) | instid1(VALU_DEP_3)
	v_cmp_lt_i32_e64 s5, v17, v9
	v_min_i32_e32 v6, v4, v14
	v_bfe_i32 v14, v18, 0, 8
	v_min_i32_e32 v4, v4, v2
	s_delay_alu instid0(VALU_DEP_3) | instskip(NEXT) | instid1(VALU_DEP_3)
	v_sub_nc_u32_e32 v21, v6, v5
	v_cmp_lt_i16_e64 s3, v14, v8
	s_delay_alu instid0(VALU_DEP_3) | instskip(NEXT) | instid1(VALU_DEP_3)
	v_min_i32_e32 v8, v4, v19
	v_sub_nc_u32_e32 v14, v4, v21
	v_cmp_ge_i32_e64 s6, v4, v21
	s_delay_alu instid0(VALU_DEP_4)
	s_or_b32 s3, s4, s3
	s_mov_b32 s4, exec_lo
	s_and_b32 s3, s5, s3
	s_mov_b32 s5, 0
	v_cndmask_b32_e64 v7, 0, v14, s6
	v_cndmask_b32_e64 v9, v16, v18, s3
	ds_store_b8 v1, v11
	ds_store_b8 v1, v10 offset:1
	ds_store_b8 v1, v12 offset:2
	;; [unrolled: 1-line block ×3, first 2 shown]
	; wave barrier
	v_cmpx_lt_i32_e64 v7, v8
	s_cbranch_execz .LBB66_62
; %bb.59:
	v_add_nc_u32_e32 v1, v0, v13
	v_add3_u32 v9, v0, v5, v4
	.p2align	6
.LBB66_60:                              ; =>This Inner Loop Header: Depth=1
	v_sub_nc_u32_e32 v10, v8, v7
	s_delay_alu instid0(VALU_DEP_1) | instskip(NEXT) | instid1(VALU_DEP_1)
	v_lshrrev_b32_e32 v11, 31, v10
	v_add_nc_u32_e32 v10, v10, v11
	s_delay_alu instid0(VALU_DEP_1) | instskip(NEXT) | instid1(VALU_DEP_1)
	v_ashrrev_i32_e32 v10, 1, v10
	v_add_nc_u32_e32 v10, v10, v7
	s_delay_alu instid0(VALU_DEP_1)
	v_add_nc_u32_e32 v11, v1, v10
	v_xad_u32 v12, v10, -1, v9
	v_add_nc_u32_e32 v14, 1, v10
	ds_load_i8 v11, v11
	ds_load_i8 v12, v12
	s_waitcnt lgkmcnt(0)
	v_cmp_lt_i16_e64 s3, v12, v11
	s_delay_alu instid0(VALU_DEP_1) | instskip(SKIP_1) | instid1(VALU_DEP_1)
	v_cndmask_b32_e64 v8, v8, v10, s3
	v_cndmask_b32_e64 v7, v14, v7, s3
	v_cmp_ge_i32_e64 s3, v7, v8
	s_delay_alu instid0(VALU_DEP_1) | instskip(NEXT) | instid1(SALU_CYCLE_1)
	s_or_b32 s5, s3, s5
	s_and_not1_b32 exec_lo, exec_lo, s5
	s_cbranch_execnz .LBB66_60
; %bb.61:
	s_or_b32 exec_lo, exec_lo, s5
.LBB66_62:
	s_delay_alu instid0(SALU_CYCLE_1) | instskip(SKIP_2) | instid1(VALU_DEP_2)
	s_or_b32 exec_lo, exec_lo, s4
	v_add_nc_u32_e32 v1, v5, v4
	v_add_nc_u32_e32 v10, v7, v13
                                        ; implicit-def: $vgpr8
	v_sub_nc_u32_e32 v1, v1, v7
	s_delay_alu instid0(VALU_DEP_2) | instskip(SKIP_1) | instid1(VALU_DEP_3)
	v_add_nc_u32_e32 v9, v0, v10
	v_cmp_le_i32_e64 s3, v5, v10
	v_add_nc_u32_e32 v11, v0, v1
	v_cmp_gt_i32_e64 s5, v6, v1
	ds_load_u8 v4, v9
	ds_load_u8 v7, v11
	s_waitcnt lgkmcnt(1)
	v_bfe_i32 v4, v4, 0, 8
	s_waitcnt lgkmcnt(0)
	v_bfe_i32 v7, v7, 0, 8
	s_delay_alu instid0(VALU_DEP_1) | instskip(NEXT) | instid1(VALU_DEP_1)
	v_cmp_lt_i16_e64 s4, v7, v4
	s_or_b32 s3, s3, s4
	s_delay_alu instid0(SALU_CYCLE_1) | instskip(NEXT) | instid1(SALU_CYCLE_1)
	s_and_b32 s3, s5, s3
	s_xor_b32 s4, s3, -1
	s_delay_alu instid0(SALU_CYCLE_1) | instskip(NEXT) | instid1(SALU_CYCLE_1)
	s_and_saveexec_b32 s5, s4
	s_xor_b32 s4, exec_lo, s5
	s_cbranch_execz .LBB66_64
; %bb.63:
	ds_load_u8 v8, v9 offset:1
                                        ; implicit-def: $vgpr11
.LBB66_64:
	s_or_saveexec_b32 s4, s4
	v_mov_b32_e32 v9, v7
	s_xor_b32 exec_lo, exec_lo, s4
	s_cbranch_execz .LBB66_66
; %bb.65:
	ds_load_u8 v9, v11 offset:1
	s_waitcnt lgkmcnt(1)
	v_mov_b32_e32 v8, v4
.LBB66_66:
	s_or_b32 exec_lo, exec_lo, s4
	v_add_nc_u32_e32 v11, 1, v10
	v_add_nc_u32_e32 v13, 1, v1
	s_waitcnt lgkmcnt(0)
	v_bfe_i32 v14, v8, 0, 8
	s_delay_alu instid0(VALU_DEP_3) | instskip(SKIP_2) | instid1(VALU_DEP_3)
	v_cndmask_b32_e64 v12, v11, v10, s3
	v_bfe_i32 v10, v9, 0, 8
	v_cndmask_b32_e64 v1, v1, v13, s3
	v_cmp_ge_i32_e64 s4, v12, v5
	s_delay_alu instid0(VALU_DEP_3) | instskip(NEXT) | instid1(VALU_DEP_3)
	v_cmp_lt_i16_e64 s5, v10, v14
	v_cmp_lt_i32_e64 s6, v1, v6
                                        ; implicit-def: $vgpr10
	s_delay_alu instid0(VALU_DEP_2)
	s_or_b32 s4, s4, s5
	s_delay_alu instid0(VALU_DEP_1) | instid1(SALU_CYCLE_1)
	s_and_b32 s4, s6, s4
	s_delay_alu instid0(SALU_CYCLE_1) | instskip(NEXT) | instid1(SALU_CYCLE_1)
	s_xor_b32 s5, s4, -1
	s_and_saveexec_b32 s6, s5
	s_delay_alu instid0(SALU_CYCLE_1)
	s_xor_b32 s5, exec_lo, s6
	s_cbranch_execz .LBB66_68
; %bb.67:
	v_add_nc_u32_e32 v10, v0, v12
	ds_load_u8 v10, v10 offset:1
.LBB66_68:
	s_or_saveexec_b32 s5, s5
	v_mov_b32_e32 v11, v9
	s_xor_b32 exec_lo, exec_lo, s5
	s_cbranch_execz .LBB66_70
; %bb.69:
	s_waitcnt lgkmcnt(0)
	v_add_nc_u32_e32 v10, v0, v1
	ds_load_u8 v11, v10 offset:1
	v_mov_b32_e32 v10, v8
.LBB66_70:
	s_or_b32 exec_lo, exec_lo, s5
	v_add_nc_u32_e32 v13, 1, v12
	v_add_nc_u32_e32 v14, 1, v1
	s_waitcnt lgkmcnt(0)
	v_bfe_i32 v15, v10, 0, 8
	s_delay_alu instid0(VALU_DEP_3) | instskip(SKIP_2) | instid1(VALU_DEP_3)
	v_cndmask_b32_e64 v16, v13, v12, s4
	v_bfe_i32 v13, v11, 0, 8
	v_cndmask_b32_e64 v12, v1, v14, s4
                                        ; implicit-def: $vgpr14
	v_cmp_ge_i32_e64 s5, v16, v5
	s_delay_alu instid0(VALU_DEP_3) | instskip(NEXT) | instid1(VALU_DEP_3)
	v_cmp_lt_i16_e64 s6, v13, v15
	v_cmp_lt_i32_e64 s7, v12, v6
                                        ; implicit-def: $vgpr13
	s_delay_alu instid0(VALU_DEP_2)
	s_or_b32 s5, s5, s6
	s_delay_alu instid0(VALU_DEP_1) | instid1(SALU_CYCLE_1)
	s_and_b32 s5, s7, s5
	s_delay_alu instid0(SALU_CYCLE_1) | instskip(NEXT) | instid1(SALU_CYCLE_1)
	s_xor_b32 s6, s5, -1
	s_and_saveexec_b32 s7, s6
	s_delay_alu instid0(SALU_CYCLE_1)
	s_xor_b32 s6, exec_lo, s7
	s_cbranch_execz .LBB66_72
; %bb.71:
	v_add_nc_u32_e32 v0, v0, v16
	v_add_nc_u32_e32 v14, 1, v16
                                        ; implicit-def: $vgpr16
	ds_load_u8 v13, v0 offset:1
                                        ; implicit-def: $vgpr0
.LBB66_72:
	s_or_saveexec_b32 s6, s6
	v_mov_b32_e32 v15, v11
	s_xor_b32 exec_lo, exec_lo, s6
	s_cbranch_execz .LBB66_74
; %bb.73:
	s_waitcnt lgkmcnt(0)
	v_dual_mov_b32 v13, v10 :: v_dual_add_nc_u32 v0, v0, v12
	v_add_nc_u32_e32 v12, 1, v12
	v_mov_b32_e32 v14, v16
	ds_load_u8 v15, v0 offset:1
.LBB66_74:
	s_or_b32 exec_lo, exec_lo, s6
	v_add_co_u32 v0, s6, s10, v3
	s_delay_alu instid0(VALU_DEP_1) | instskip(NEXT) | instid1(VALU_DEP_2)
	v_add_co_ci_u32_e64 v1, null, s11, 0, s6
	v_add_co_u32 v0, s6, v0, v2
	s_delay_alu instid0(VALU_DEP_1)
	v_add_co_ci_u32_e64 v1, s6, 0, v1, s6
	s_and_saveexec_b32 s6, vcc_lo
	s_cbranch_execnz .LBB66_79
; %bb.75:
	s_or_b32 exec_lo, exec_lo, s6
	s_and_saveexec_b32 s3, s0
	s_cbranch_execnz .LBB66_80
.LBB66_76:
	s_or_b32 exec_lo, exec_lo, s3
	s_and_saveexec_b32 s0, s1
	s_cbranch_execnz .LBB66_81
.LBB66_77:
	s_or_b32 exec_lo, exec_lo, s0
	s_and_saveexec_b32 s0, s2
	s_cbranch_execnz .LBB66_82
.LBB66_78:
	s_nop 0
	s_sendmsg sendmsg(MSG_DEALLOC_VGPRS)
	s_endpgm
.LBB66_79:
	v_cndmask_b32_e64 v2, v4, v7, s3
	global_store_b8 v[0:1], v2, off
	s_or_b32 exec_lo, exec_lo, s6
	s_and_saveexec_b32 s3, s0
	s_cbranch_execz .LBB66_76
.LBB66_80:
	v_cndmask_b32_e64 v2, v8, v9, s4
	global_store_b8 v[0:1], v2, off offset:1
	s_or_b32 exec_lo, exec_lo, s3
	s_and_saveexec_b32 s0, s1
	s_cbranch_execz .LBB66_77
.LBB66_81:
	v_cndmask_b32_e64 v2, v10, v11, s5
	global_store_b8 v[0:1], v2, off offset:2
	s_or_b32 exec_lo, exec_lo, s0
	s_and_saveexec_b32 s0, s2
	s_cbranch_execz .LBB66_78
.LBB66_82:
	s_waitcnt lgkmcnt(0)
	v_bfe_i32 v2, v13, 0, 8
	v_bfe_i32 v3, v15, 0, 8
	v_cmp_ge_i32_e32 vcc_lo, v14, v5
	v_cmp_lt_i32_e64 s1, v12, v6
	s_delay_alu instid0(VALU_DEP_3) | instskip(NEXT) | instid1(VALU_DEP_1)
	v_cmp_lt_i16_e64 s0, v3, v2
	s_or_b32 s0, vcc_lo, s0
	s_delay_alu instid0(VALU_DEP_2) | instid1(SALU_CYCLE_1)
	s_and_b32 vcc_lo, s1, s0
	v_cndmask_b32_e32 v2, v13, v15, vcc_lo
	global_store_b8 v[0:1], v2, off offset:3
	s_nop 0
	s_sendmsg sendmsg(MSG_DEALLOC_VGPRS)
	s_endpgm
	.section	.rodata,"a",@progbits
	.p2align	6, 0x0
	.amdhsa_kernel _Z19sort_keys_segmentedILj256ELj16ELj4EaN10test_utils4lessEEvPKT2_PS2_PKjT3_
		.amdhsa_group_segment_fixed_size 1040
		.amdhsa_private_segment_fixed_size 0
		.amdhsa_kernarg_size 28
		.amdhsa_user_sgpr_count 15
		.amdhsa_user_sgpr_dispatch_ptr 0
		.amdhsa_user_sgpr_queue_ptr 0
		.amdhsa_user_sgpr_kernarg_segment_ptr 1
		.amdhsa_user_sgpr_dispatch_id 0
		.amdhsa_user_sgpr_private_segment_size 0
		.amdhsa_wavefront_size32 1
		.amdhsa_uses_dynamic_stack 0
		.amdhsa_enable_private_segment 0
		.amdhsa_system_sgpr_workgroup_id_x 1
		.amdhsa_system_sgpr_workgroup_id_y 0
		.amdhsa_system_sgpr_workgroup_id_z 0
		.amdhsa_system_sgpr_workgroup_info 0
		.amdhsa_system_vgpr_workitem_id 0
		.amdhsa_next_free_vgpr 24
		.amdhsa_next_free_sgpr 16
		.amdhsa_reserve_vcc 1
		.amdhsa_float_round_mode_32 0
		.amdhsa_float_round_mode_16_64 0
		.amdhsa_float_denorm_mode_32 3
		.amdhsa_float_denorm_mode_16_64 3
		.amdhsa_dx10_clamp 1
		.amdhsa_ieee_mode 1
		.amdhsa_fp16_overflow 0
		.amdhsa_workgroup_processor_mode 1
		.amdhsa_memory_ordered 1
		.amdhsa_forward_progress 0
		.amdhsa_shared_vgpr_count 0
		.amdhsa_exception_fp_ieee_invalid_op 0
		.amdhsa_exception_fp_denorm_src 0
		.amdhsa_exception_fp_ieee_div_zero 0
		.amdhsa_exception_fp_ieee_overflow 0
		.amdhsa_exception_fp_ieee_underflow 0
		.amdhsa_exception_fp_ieee_inexact 0
		.amdhsa_exception_int_div_zero 0
	.end_amdhsa_kernel
	.section	.text._Z19sort_keys_segmentedILj256ELj16ELj4EaN10test_utils4lessEEvPKT2_PS2_PKjT3_,"axG",@progbits,_Z19sort_keys_segmentedILj256ELj16ELj4EaN10test_utils4lessEEvPKT2_PS2_PKjT3_,comdat
.Lfunc_end66:
	.size	_Z19sort_keys_segmentedILj256ELj16ELj4EaN10test_utils4lessEEvPKT2_PS2_PKjT3_, .Lfunc_end66-_Z19sort_keys_segmentedILj256ELj16ELj4EaN10test_utils4lessEEvPKT2_PS2_PKjT3_
                                        ; -- End function
	.section	.AMDGPU.csdata,"",@progbits
; Kernel info:
; codeLenInByte = 4760
; NumSgprs: 18
; NumVgprs: 24
; ScratchSize: 0
; MemoryBound: 0
; FloatMode: 240
; IeeeMode: 1
; LDSByteSize: 1040 bytes/workgroup (compile time only)
; SGPRBlocks: 2
; VGPRBlocks: 2
; NumSGPRsForWavesPerEU: 18
; NumVGPRsForWavesPerEU: 24
; Occupancy: 16
; WaveLimiterHint : 0
; COMPUTE_PGM_RSRC2:SCRATCH_EN: 0
; COMPUTE_PGM_RSRC2:USER_SGPR: 15
; COMPUTE_PGM_RSRC2:TRAP_HANDLER: 0
; COMPUTE_PGM_RSRC2:TGID_X_EN: 1
; COMPUTE_PGM_RSRC2:TGID_Y_EN: 0
; COMPUTE_PGM_RSRC2:TGID_Z_EN: 0
; COMPUTE_PGM_RSRC2:TIDIG_COMP_CNT: 0
	.section	.text._Z20sort_pairs_segmentedILj256ELj16ELj4EaN10test_utils4lessEEvPKT2_PS2_PKjT3_,"axG",@progbits,_Z20sort_pairs_segmentedILj256ELj16ELj4EaN10test_utils4lessEEvPKT2_PS2_PKjT3_,comdat
	.protected	_Z20sort_pairs_segmentedILj256ELj16ELj4EaN10test_utils4lessEEvPKT2_PS2_PKjT3_ ; -- Begin function _Z20sort_pairs_segmentedILj256ELj16ELj4EaN10test_utils4lessEEvPKT2_PS2_PKjT3_
	.globl	_Z20sort_pairs_segmentedILj256ELj16ELj4EaN10test_utils4lessEEvPKT2_PS2_PKjT3_
	.p2align	8
	.type	_Z20sort_pairs_segmentedILj256ELj16ELj4EaN10test_utils4lessEEvPKT2_PS2_PKjT3_,@function
_Z20sort_pairs_segmentedILj256ELj16ELj4EaN10test_utils4lessEEvPKT2_PS2_PKjT3_: ; @_Z20sort_pairs_segmentedILj256ELj16ELj4EaN10test_utils4lessEEvPKT2_PS2_PKjT3_
; %bb.0:
	s_clause 0x1
	s_load_b64 s[2:3], s[0:1], 0x10
	s_load_b128 s[8:11], s[0:1], 0x0
	v_lshrrev_b32_e32 v6, 4, v0
	v_mov_b32_e32 v1, 0
                                        ; implicit-def: $vgpr10
	s_delay_alu instid0(VALU_DEP_2) | instskip(NEXT) | instid1(VALU_DEP_1)
	v_lshl_or_b32 v0, s15, 4, v6
	v_lshlrev_b64 v[1:2], 2, v[0:1]
	v_lshlrev_b32_e32 v3, 6, v0
	s_waitcnt lgkmcnt(0)
	s_delay_alu instid0(VALU_DEP_2) | instskip(NEXT) | instid1(VALU_DEP_3)
	v_add_co_u32 v1, vcc_lo, s2, v1
	v_add_co_ci_u32_e32 v2, vcc_lo, s3, v2, vcc_lo
	s_delay_alu instid0(VALU_DEP_3) | instskip(SKIP_2) | instid1(VALU_DEP_1)
	v_add_co_u32 v0, s0, s8, v3
	global_load_b32 v4, v[1:2], off
	v_mbcnt_lo_u32_b32 v1, -1, 0
	v_lshlrev_b32_e32 v5, 2, v1
	v_add_co_ci_u32_e64 v1, null, s9, 0, s0
	s_delay_alu instid0(VALU_DEP_2) | instskip(NEXT) | instid1(VALU_DEP_1)
	v_and_b32_e32 v2, 60, v5
	v_add_co_u32 v0, vcc_lo, v0, v2
	s_delay_alu instid0(VALU_DEP_3)
	v_add_co_ci_u32_e32 v1, vcc_lo, 0, v1, vcc_lo
	s_waitcnt vmcnt(0)
	v_cmp_lt_u32_e32 vcc_lo, v2, v4
	s_and_saveexec_b32 s0, vcc_lo
	s_cbranch_execz .LBB67_2
; %bb.1:
	global_load_u8 v10, v[0:1], off
.LBB67_2:
	s_or_b32 exec_lo, exec_lo, s0
	v_or_b32_e32 v7, 1, v2
                                        ; implicit-def: $vgpr12
	s_delay_alu instid0(VALU_DEP_1) | instskip(NEXT) | instid1(VALU_DEP_1)
	v_cmp_lt_u32_e64 s0, v7, v4
	s_and_saveexec_b32 s1, s0
	s_cbranch_execz .LBB67_4
; %bb.3:
	global_load_u8 v12, v[0:1], off offset:1
.LBB67_4:
	s_or_b32 exec_lo, exec_lo, s1
	v_or_b32_e32 v8, 2, v2
                                        ; implicit-def: $vgpr11
	s_delay_alu instid0(VALU_DEP_1) | instskip(NEXT) | instid1(VALU_DEP_1)
	v_cmp_lt_u32_e64 s1, v8, v4
	s_and_saveexec_b32 s2, s1
	s_cbranch_execz .LBB67_6
; %bb.5:
	global_load_u8 v11, v[0:1], off offset:2
.LBB67_6:
	s_or_b32 exec_lo, exec_lo, s2
	v_or_b32_e32 v9, 3, v2
                                        ; implicit-def: $vgpr13
	s_delay_alu instid0(VALU_DEP_1) | instskip(NEXT) | instid1(VALU_DEP_1)
	v_cmp_lt_u32_e64 s2, v9, v4
	s_and_saveexec_b32 s3, s2
	s_cbranch_execz .LBB67_8
; %bb.7:
	global_load_u8 v13, v[0:1], off offset:3
.LBB67_8:
	s_or_b32 exec_lo, exec_lo, s3
	s_waitcnt vmcnt(0)
	v_and_b32_e32 v0, 0xff, v10
	v_lshlrev_b16 v1, 8, v12
	v_and_b32_e32 v12, 0xff, v11
	v_lshlrev_b16 v13, 8, v13
	v_add_nc_u16 v10, v10, 1
	v_cmp_lt_i32_e64 s3, v7, v4
	v_or_b32_e32 v14, v0, v1
	v_or_b32_e32 v0, 0x7f00, v0
	;; [unrolled: 1-line block ×3, first 2 shown]
	v_and_b32_e32 v10, 0xff, v10
	v_add_nc_u16 v7, v11, 1
	v_and_b32_e32 v14, 0xffff, v14
	v_and_b32_e32 v0, 0xffff, v0
	v_lshlrev_b32_e32 v12, 16, v12
	v_or_b32_e32 v1, v1, v10
	v_and_b32_e32 v7, 0xff, v7
	v_and_b32_e32 v10, 0xffff, v10
	s_mov_b32 s4, exec_lo
	v_or_b32_e32 v14, v14, v12
	v_or_b32_e32 v0, v0, v12
	v_add_nc_u16 v1, v1, 0x100
	v_lshlrev_b32_e32 v7, 16, v7
	s_delay_alu instid0(VALU_DEP_3) | instskip(NEXT) | instid1(VALU_DEP_3)
	v_cndmask_b32_e64 v0, v0, v14, s3
	v_and_b32_e32 v1, 0xffff, v1
	v_cmp_lt_i32_e64 s3, v8, v4
	s_delay_alu instid0(VALU_DEP_3) | instskip(NEXT) | instid1(VALU_DEP_3)
	v_lshrrev_b32_e32 v11, 16, v0
	v_cndmask_b32_e64 v1, v10, v1, s0
	s_delay_alu instid0(VALU_DEP_2) | instskip(NEXT) | instid1(VALU_DEP_2)
	v_and_b32_e32 v11, 0xffffff00, v11
	v_or_b32_e32 v7, v1, v7
	s_delay_alu instid0(VALU_DEP_2) | instskip(NEXT) | instid1(VALU_DEP_2)
	v_or_b32_e32 v10, 0x7f, v11
	v_cndmask_b32_e64 v1, v1, v7, s1
	s_delay_alu instid0(VALU_DEP_2) | instskip(NEXT) | instid1(VALU_DEP_2)
	v_lshlrev_b32_e32 v10, 16, v10
	v_lshrrev_b32_e32 v7, 16, v1
	s_delay_alu instid0(VALU_DEP_2) | instskip(NEXT) | instid1(VALU_DEP_2)
	v_and_or_b32 v0, 0xffff, v0, v10
	v_and_b32_e32 v7, 0xff, v7
	s_delay_alu instid0(VALU_DEP_2) | instskip(NEXT) | instid1(VALU_DEP_2)
	v_cndmask_b32_e64 v0, v0, v14, s3
	v_or_b32_e32 v7, v13, v7
	v_cmp_lt_i32_e64 s3, v9, v4
	s_delay_alu instid0(VALU_DEP_3) | instskip(NEXT) | instid1(VALU_DEP_3)
	v_lshrrev_b32_e32 v8, 16, v0
	v_add_nc_u16 v7, v7, 0x100
	s_delay_alu instid0(VALU_DEP_2) | instskip(NEXT) | instid1(VALU_DEP_2)
	v_and_b32_e32 v8, 0xff, v8
	v_lshlrev_b32_e32 v7, 16, v7
	s_delay_alu instid0(VALU_DEP_2) | instskip(NEXT) | instid1(VALU_DEP_2)
	v_or_b32_e32 v8, 0x7f00, v8
	v_and_or_b32 v7, 0xffff, v1, v7
	s_delay_alu instid0(VALU_DEP_2) | instskip(NEXT) | instid1(VALU_DEP_2)
	v_lshlrev_b32_e32 v8, 16, v8
	v_cndmask_b32_e64 v7, v1, v7, s2
	s_delay_alu instid0(VALU_DEP_2) | instskip(NEXT) | instid1(VALU_DEP_1)
	v_and_or_b32 v0, 0xffff, v0, v8
	v_cndmask_b32_e64 v12, v0, v14, s3
	v_cmpx_lt_i32_e64 v2, v4
	s_cbranch_execz .LBB67_10
; %bb.9:
	s_delay_alu instid0(VALU_DEP_2) | instskip(SKIP_3) | instid1(VALU_DEP_4)
	v_lshrrev_b32_e32 v0, 8, v12
	v_bfe_i32 v1, v12, 0, 8
	v_perm_b32 v9, v12, v12, 0x7060405
	v_perm_b32 v8, v7, v7, 0x7060405
	v_bfe_i32 v0, v0, 0, 8
	s_delay_alu instid0(VALU_DEP_1) | instskip(NEXT) | instid1(VALU_DEP_1)
	v_cmp_lt_i16_e64 s3, v0, v1
	v_cndmask_b32_e64 v1, v12, v9, s3
	s_delay_alu instid0(VALU_DEP_4) | instskip(NEXT) | instid1(VALU_DEP_2)
	v_cndmask_b32_e64 v0, v7, v8, s3
	v_lshrrev_b32_e32 v8, 16, v1
	s_delay_alu instid0(VALU_DEP_2) | instskip(SKIP_1) | instid1(VALU_DEP_3)
	v_lshrrev_b32_e32 v7, 16, v0
	v_lshrrev_b32_e32 v9, 24, v1
	v_perm_b32 v10, 0, v8, 0xc0c0001
	s_delay_alu instid0(VALU_DEP_3) | instskip(NEXT) | instid1(VALU_DEP_3)
	v_perm_b32 v7, 0, v7, 0xc0c0001
	v_bfe_i32 v9, v9, 0, 8
	v_bfe_i32 v8, v8, 0, 8
	s_delay_alu instid0(VALU_DEP_4) | instskip(NEXT) | instid1(VALU_DEP_4)
	v_lshlrev_b32_e32 v10, 16, v10
	v_lshlrev_b32_e32 v7, 16, v7
	s_delay_alu instid0(VALU_DEP_3) | instskip(NEXT) | instid1(VALU_DEP_3)
	v_cmp_lt_i16_e64 s3, v9, v8
	v_and_or_b32 v10, 0xffff, v1, v10
	s_delay_alu instid0(VALU_DEP_3) | instskip(NEXT) | instid1(VALU_DEP_2)
	v_and_or_b32 v7, 0xffff, v0, v7
	v_cndmask_b32_e64 v1, v1, v10, s3
	s_delay_alu instid0(VALU_DEP_2) | instskip(SKIP_1) | instid1(VALU_DEP_3)
	v_cndmask_b32_e64 v0, v0, v7, s3
	v_min_i16 v7, v9, v8
	v_lshrrev_b32_e32 v8, 16, v1
	v_lshrrev_b16 v10, 8, v1
	s_delay_alu instid0(VALU_DEP_3) | instskip(SKIP_1) | instid1(VALU_DEP_4)
	v_lshlrev_b16 v9, 8, v7
	v_and_b32_e32 v11, 0xff, v1
	v_and_b32_e32 v8, 0xffffff00, v8
	s_delay_alu instid0(VALU_DEP_2) | instskip(SKIP_1) | instid1(VALU_DEP_3)
	v_or_b32_e32 v9, v11, v9
	v_perm_b32 v11, v0, v0, 0x7050604
	v_or_b32_e32 v8, v10, v8
	v_lshrrev_b32_e32 v10, 8, v1
	s_delay_alu instid0(VALU_DEP_4) | instskip(NEXT) | instid1(VALU_DEP_3)
	v_and_b32_e32 v9, 0xffff, v9
	v_lshlrev_b32_e32 v8, 16, v8
	s_delay_alu instid0(VALU_DEP_3) | instskip(NEXT) | instid1(VALU_DEP_2)
	v_bfe_i32 v10, v10, 0, 8
	v_or_b32_e32 v8, v9, v8
	s_delay_alu instid0(VALU_DEP_2) | instskip(SKIP_1) | instid1(VALU_DEP_2)
	v_cmp_lt_i16_e64 s3, v7, v10
	v_min_i16 v7, v7, v10
	v_cndmask_b32_e64 v1, v1, v8, s3
	s_delay_alu instid0(VALU_DEP_2) | instskip(SKIP_1) | instid1(VALU_DEP_3)
	v_and_b32_e32 v8, 0xff, v7
	v_cndmask_b32_e64 v0, v0, v11, s3
	v_lshlrev_b16 v9, 8, v1
	v_bfe_i32 v10, v1, 0, 8
	s_delay_alu instid0(VALU_DEP_2) | instskip(NEXT) | instid1(VALU_DEP_4)
	v_or_b32_e32 v8, v8, v9
	v_perm_b32 v9, 0, v0, 0xc0c0001
	s_delay_alu instid0(VALU_DEP_3) | instskip(NEXT) | instid1(VALU_DEP_3)
	v_cmp_lt_i16_e64 s3, v7, v10
	v_and_b32_e32 v8, 0xffff, v8
	s_delay_alu instid0(VALU_DEP_3) | instskip(NEXT) | instid1(VALU_DEP_2)
	v_and_or_b32 v9, 0xffff0000, v0, v9
	v_and_or_b32 v8, 0xffff0000, v1, v8
	s_delay_alu instid0(VALU_DEP_2) | instskip(NEXT) | instid1(VALU_DEP_2)
	v_cndmask_b32_e64 v0, v0, v9, s3
	v_cndmask_b32_e64 v1, v1, v8, s3
	s_delay_alu instid0(VALU_DEP_2) | instskip(NEXT) | instid1(VALU_DEP_2)
	v_lshrrev_b32_e32 v7, 16, v0
	v_lshrrev_b32_e32 v8, 16, v1
	;; [unrolled: 1-line block ×3, first 2 shown]
	s_delay_alu instid0(VALU_DEP_3) | instskip(NEXT) | instid1(VALU_DEP_3)
	v_perm_b32 v7, 0, v7, 0xc0c0001
	v_perm_b32 v10, 0, v8, 0xc0c0001
	s_delay_alu instid0(VALU_DEP_3) | instskip(SKIP_1) | instid1(VALU_DEP_4)
	v_bfe_i32 v9, v9, 0, 8
	v_bfe_i32 v8, v8, 0, 8
	v_lshlrev_b32_e32 v7, 16, v7
	s_delay_alu instid0(VALU_DEP_4) | instskip(NEXT) | instid1(VALU_DEP_3)
	v_lshlrev_b32_e32 v10, 16, v10
	v_cmp_lt_i16_e64 s3, v9, v8
	s_delay_alu instid0(VALU_DEP_3) | instskip(NEXT) | instid1(VALU_DEP_3)
	v_and_or_b32 v7, 0xffff, v0, v7
	v_and_or_b32 v10, 0xffff, v1, v10
	s_delay_alu instid0(VALU_DEP_2) | instskip(SKIP_1) | instid1(VALU_DEP_3)
	v_cndmask_b32_e64 v0, v0, v7, s3
	v_min_i16 v7, v9, v8
	v_cndmask_b32_e64 v1, v1, v10, s3
	s_delay_alu instid0(VALU_DEP_2) | instskip(NEXT) | instid1(VALU_DEP_2)
	v_lshlrev_b16 v9, 8, v7
	v_lshrrev_b32_e32 v8, 16, v1
	v_lshrrev_b16 v10, 8, v1
	v_and_b32_e32 v11, 0xff, v1
	s_delay_alu instid0(VALU_DEP_3) | instskip(NEXT) | instid1(VALU_DEP_2)
	v_and_b32_e32 v8, 0xffffff00, v8
	v_or_b32_e32 v9, v11, v9
	v_perm_b32 v11, v0, v0, 0x7050604
	s_delay_alu instid0(VALU_DEP_3) | instskip(SKIP_1) | instid1(VALU_DEP_4)
	v_or_b32_e32 v8, v10, v8
	v_lshrrev_b32_e32 v10, 8, v1
	v_and_b32_e32 v9, 0xffff, v9
	s_delay_alu instid0(VALU_DEP_3) | instskip(NEXT) | instid1(VALU_DEP_3)
	v_lshlrev_b32_e32 v8, 16, v8
	v_bfe_i32 v10, v10, 0, 8
	s_delay_alu instid0(VALU_DEP_2) | instskip(NEXT) | instid1(VALU_DEP_2)
	v_or_b32_e32 v8, v9, v8
	v_cmp_lt_i16_e64 s3, v7, v10
	s_delay_alu instid0(VALU_DEP_1) | instskip(NEXT) | instid1(VALU_DEP_3)
	v_cndmask_b32_e64 v7, v0, v11, s3
	v_cndmask_b32_e64 v12, v1, v8, s3
.LBB67_10:
	s_or_b32 exec_lo, exec_lo, s4
	v_and_b32_e32 v0, 56, v5
	v_and_b32_e32 v10, 4, v5
	v_mad_u32_u24 v14, 0x41, v6, v2
	s_mov_b32 s5, 0
	s_mov_b32 s4, exec_lo
	v_min_i32_e32 v9, v4, v0
	v_min_i32_e32 v10, v4, v10
	; wave barrier
	ds_store_b32 v14, v12
	v_add_nc_u32_e32 v0, 4, v9
	; wave barrier
	s_delay_alu instid0(VALU_DEP_1) | instskip(NEXT) | instid1(VALU_DEP_1)
	v_min_i32_e32 v1, v4, v0
	v_add_nc_u32_e32 v0, 4, v1
	v_sub_nc_u32_e32 v13, v1, v9
	s_delay_alu instid0(VALU_DEP_2) | instskip(NEXT) | instid1(VALU_DEP_2)
	v_min_i32_e32 v8, v4, v0
	v_min_i32_e32 v13, v10, v13
	s_delay_alu instid0(VALU_DEP_2) | instskip(NEXT) | instid1(VALU_DEP_1)
	v_sub_nc_u32_e32 v0, v8, v1
	v_sub_nc_u32_e32 v11, v10, v0
	v_cmp_ge_i32_e64 s3, v10, v0
	v_mul_u32_u24_e32 v0, 0x41, v6
	s_delay_alu instid0(VALU_DEP_2) | instskip(NEXT) | instid1(VALU_DEP_1)
	v_cndmask_b32_e64 v11, 0, v11, s3
	v_cmpx_lt_i32_e64 v11, v13
	s_cbranch_execz .LBB67_14
; %bb.11:
	s_delay_alu instid0(VALU_DEP_3)
	v_add_nc_u32_e32 v6, v0, v9
	v_add3_u32 v12, v0, v1, v10
	.p2align	6
.LBB67_12:                              ; =>This Inner Loop Header: Depth=1
	v_sub_nc_u32_e32 v14, v13, v11
	s_delay_alu instid0(VALU_DEP_1) | instskip(NEXT) | instid1(VALU_DEP_1)
	v_lshrrev_b32_e32 v15, 31, v14
	v_add_nc_u32_e32 v14, v14, v15
	s_delay_alu instid0(VALU_DEP_1) | instskip(NEXT) | instid1(VALU_DEP_1)
	v_ashrrev_i32_e32 v14, 1, v14
	v_add_nc_u32_e32 v14, v14, v11
	s_delay_alu instid0(VALU_DEP_1)
	v_add_nc_u32_e32 v15, v6, v14
	v_xad_u32 v16, v14, -1, v12
	v_add_nc_u32_e32 v17, 1, v14
	ds_load_i8 v15, v15
	ds_load_i8 v16, v16
	s_waitcnt lgkmcnt(0)
	v_cmp_lt_i16_e64 s3, v16, v15
	s_delay_alu instid0(VALU_DEP_1) | instskip(SKIP_1) | instid1(VALU_DEP_1)
	v_cndmask_b32_e64 v13, v13, v14, s3
	v_cndmask_b32_e64 v11, v17, v11, s3
	v_cmp_ge_i32_e64 s3, v11, v13
	s_delay_alu instid0(VALU_DEP_1) | instskip(NEXT) | instid1(SALU_CYCLE_1)
	s_or_b32 s5, s3, s5
	s_and_not1_b32 exec_lo, exec_lo, s5
	s_cbranch_execnz .LBB67_12
; %bb.13:
	s_or_b32 exec_lo, exec_lo, s5
.LBB67_14:
	s_delay_alu instid0(SALU_CYCLE_1) | instskip(SKIP_2) | instid1(VALU_DEP_2)
	s_or_b32 exec_lo, exec_lo, s4
	v_add_nc_u32_e32 v10, v1, v10
	v_add_nc_u32_e32 v6, v11, v9
                                        ; implicit-def: $vgpr14
	v_sub_nc_u32_e32 v9, v10, v11
	s_delay_alu instid0(VALU_DEP_2) | instskip(SKIP_1) | instid1(VALU_DEP_3)
	v_add_nc_u32_e32 v11, v0, v6
	v_cmp_le_i32_e64 s3, v1, v6
	v_add_nc_u32_e32 v10, v0, v9
	v_cmp_gt_i32_e64 s5, v8, v9
	ds_load_u8 v12, v11
	ds_load_u8 v13, v10
	s_waitcnt lgkmcnt(1)
	v_bfe_i32 v12, v12, 0, 8
	s_waitcnt lgkmcnt(0)
	v_bfe_i32 v13, v13, 0, 8
	s_delay_alu instid0(VALU_DEP_1) | instskip(NEXT) | instid1(VALU_DEP_1)
	v_cmp_lt_i16_e64 s4, v13, v12
	s_or_b32 s3, s3, s4
	s_delay_alu instid0(SALU_CYCLE_1) | instskip(NEXT) | instid1(SALU_CYCLE_1)
	s_and_b32 s3, s5, s3
	s_xor_b32 s4, s3, -1
	s_delay_alu instid0(SALU_CYCLE_1) | instskip(NEXT) | instid1(SALU_CYCLE_1)
	s_and_saveexec_b32 s5, s4
	s_xor_b32 s4, exec_lo, s5
	s_cbranch_execz .LBB67_16
; %bb.15:
	ds_load_u8 v14, v11 offset:1
                                        ; implicit-def: $vgpr10
.LBB67_16:
	s_or_saveexec_b32 s4, s4
	v_mov_b32_e32 v15, v13
	s_xor_b32 exec_lo, exec_lo, s4
	s_cbranch_execz .LBB67_18
; %bb.17:
	ds_load_u8 v15, v10 offset:1
	s_waitcnt lgkmcnt(1)
	v_mov_b32_e32 v14, v12
.LBB67_18:
	s_or_b32 exec_lo, exec_lo, s4
	v_add_nc_u32_e32 v10, 1, v6
	v_add_nc_u32_e32 v11, 1, v9
	s_waitcnt lgkmcnt(0)
	v_bfe_i32 v16, v14, 0, 8
	v_bfe_i32 v17, v15, 0, 8
	v_cndmask_b32_e64 v10, v10, v6, s3
	v_cndmask_b32_e64 v11, v9, v11, s3
	s_delay_alu instid0(VALU_DEP_3) | instskip(NEXT) | instid1(VALU_DEP_3)
	v_cmp_lt_i16_e64 s5, v17, v16
                                        ; implicit-def: $vgpr16
	v_cmp_ge_i32_e64 s4, v10, v1
	s_delay_alu instid0(VALU_DEP_3) | instskip(NEXT) | instid1(VALU_DEP_2)
	v_cmp_lt_i32_e64 s6, v11, v8
	s_or_b32 s4, s4, s5
	s_delay_alu instid0(VALU_DEP_1) | instid1(SALU_CYCLE_1)
	s_and_b32 s4, s6, s4
	s_delay_alu instid0(SALU_CYCLE_1) | instskip(NEXT) | instid1(SALU_CYCLE_1)
	s_xor_b32 s5, s4, -1
	s_and_saveexec_b32 s6, s5
	s_delay_alu instid0(SALU_CYCLE_1)
	s_xor_b32 s5, exec_lo, s6
	s_cbranch_execz .LBB67_20
; %bb.19:
	v_add_nc_u32_e32 v16, v0, v10
	ds_load_u8 v16, v16 offset:1
.LBB67_20:
	s_or_saveexec_b32 s5, s5
	v_mov_b32_e32 v17, v15
	s_xor_b32 exec_lo, exec_lo, s5
	s_cbranch_execz .LBB67_22
; %bb.21:
	s_waitcnt lgkmcnt(0)
	v_add_nc_u32_e32 v16, v0, v11
	ds_load_u8 v17, v16 offset:1
	v_mov_b32_e32 v16, v14
.LBB67_22:
	s_or_b32 exec_lo, exec_lo, s5
	v_add_nc_u32_e32 v18, 1, v10
	v_add_nc_u32_e32 v20, 1, v11
	s_waitcnt lgkmcnt(0)
	v_bfe_i32 v21, v16, 0, 8
	s_delay_alu instid0(VALU_DEP_3) | instskip(SKIP_2) | instid1(VALU_DEP_3)
	v_cndmask_b32_e64 v19, v18, v10, s4
	v_bfe_i32 v18, v17, 0, 8
	v_cndmask_b32_e64 v20, v11, v20, s4
	v_cmp_ge_i32_e64 s5, v19, v1
	s_delay_alu instid0(VALU_DEP_3) | instskip(NEXT) | instid1(VALU_DEP_3)
	v_cmp_lt_i16_e64 s6, v18, v21
	v_cmp_lt_i32_e64 s7, v20, v8
                                        ; implicit-def: $vgpr21
	s_delay_alu instid0(VALU_DEP_2)
	s_or_b32 s5, s5, s6
	s_delay_alu instid0(VALU_DEP_1) | instid1(SALU_CYCLE_1)
	s_and_b32 s5, s7, s5
	s_delay_alu instid0(SALU_CYCLE_1) | instskip(NEXT) | instid1(SALU_CYCLE_1)
	s_xor_b32 s6, s5, -1
	s_and_saveexec_b32 s7, s6
	s_delay_alu instid0(SALU_CYCLE_1)
	s_xor_b32 s6, exec_lo, s7
	s_cbranch_execz .LBB67_24
; %bb.23:
	v_add_nc_u32_e32 v18, v0, v19
	ds_load_u8 v21, v18 offset:1
.LBB67_24:
	s_or_saveexec_b32 s6, s6
	v_mov_b32_e32 v22, v17
	s_xor_b32 exec_lo, exec_lo, s6
	s_cbranch_execz .LBB67_26
; %bb.25:
	v_add_nc_u32_e32 v18, v0, v20
	s_waitcnt lgkmcnt(0)
	v_mov_b32_e32 v21, v16
	ds_load_u8 v22, v18 offset:1
.LBB67_26:
	s_or_b32 exec_lo, exec_lo, s6
	v_add_nc_u32_e32 v18, 1, v19
	v_add_nc_u32_e32 v23, 1, v20
	v_and_b32_e32 v26, 48, v5
	s_waitcnt lgkmcnt(0)
	v_bfe_i32 v24, v21, 0, 8
	v_bfe_i32 v25, v22, 0, 8
	v_cndmask_b32_e64 v27, v18, v19, s5
	v_cndmask_b32_e64 v23, v20, v23, s5
	v_min_i32_e32 v18, v4, v26
	v_cndmask_b32_e64 v9, v6, v9, s3
	v_cmp_lt_i16_e64 s6, v25, v24
	v_cmp_ge_i32_e64 s7, v27, v1
	v_cmp_lt_i32_e64 s8, v23, v8
	v_cndmask_b32_e64 v8, v10, v11, s4
	v_add_nc_u32_e32 v10, 8, v18
	v_add_nc_u32_e32 v1, v0, v2
	s_or_b32 s6, s7, s6
	v_cndmask_b32_e64 v19, v19, v20, s5
	s_and_b32 s6, s8, s6
	v_min_i32_e32 v6, v4, v10
	v_cndmask_b32_e64 v10, v27, v23, s6
	; wave barrier
	ds_store_b32 v1, v7
	v_add_nc_u32_e32 v7, 8, v6
	v_add_nc_u32_e32 v9, v0, v9
	;; [unrolled: 1-line block ×3, first 2 shown]
	v_cndmask_b32_e64 v20, v21, v22, s6
	v_add_nc_u32_e32 v22, v0, v19
	v_add_nc_u32_e32 v10, v0, v10
	; wave barrier
	v_min_i32_e32 v11, v4, v7
	ds_load_u8 v7, v9
	ds_load_u8 v8, v8
	;; [unrolled: 1-line block ×4, first 2 shown]
	v_and_b32_e32 v21, 12, v5
	v_sub_nc_u32_e32 v23, v6, v18
	v_cndmask_b32_e64 v24, v16, v17, s5
	v_cndmask_b32_e64 v12, v12, v13, s3
	;; [unrolled: 1-line block ×3, first 2 shown]
	v_min_i32_e32 v19, v4, v21
	v_sub_nc_u32_e32 v21, v11, v6
	s_mov_b32 s4, exec_lo
	; wave barrier
	s_delay_alu instid0(VALU_DEP_2) | instskip(NEXT) | instid1(VALU_DEP_2)
	v_min_i32_e32 v16, v19, v23
	v_sub_nc_u32_e32 v22, v19, v21
	v_cmp_ge_i32_e64 s5, v19, v21
	ds_store_b8 v1, v12
	ds_store_b8 v1, v13 offset:1
	ds_store_b8 v1, v24 offset:2
	;; [unrolled: 1-line block ×3, first 2 shown]
	; wave barrier
	v_cndmask_b32_e64 v17, 0, v22, s5
	s_mov_b32 s5, 0
	s_delay_alu instid0(VALU_DEP_1)
	v_cmpx_lt_i32_e64 v17, v16
	s_cbranch_execz .LBB67_30
; %bb.27:
	v_add_nc_u32_e32 v12, v0, v18
	v_add3_u32 v13, v0, v6, v19
	.p2align	6
.LBB67_28:                              ; =>This Inner Loop Header: Depth=1
	v_sub_nc_u32_e32 v14, v16, v17
	s_delay_alu instid0(VALU_DEP_1) | instskip(NEXT) | instid1(VALU_DEP_1)
	v_lshrrev_b32_e32 v15, 31, v14
	v_add_nc_u32_e32 v14, v14, v15
	s_delay_alu instid0(VALU_DEP_1) | instskip(NEXT) | instid1(VALU_DEP_1)
	v_ashrrev_i32_e32 v14, 1, v14
	v_add_nc_u32_e32 v14, v14, v17
	s_delay_alu instid0(VALU_DEP_1)
	v_add_nc_u32_e32 v15, v12, v14
	v_xad_u32 v20, v14, -1, v13
	v_add_nc_u32_e32 v21, 1, v14
	ds_load_i8 v15, v15
	ds_load_i8 v20, v20
	s_waitcnt lgkmcnt(0)
	v_cmp_lt_i16_e64 s3, v20, v15
	s_delay_alu instid0(VALU_DEP_1) | instskip(SKIP_1) | instid1(VALU_DEP_1)
	v_cndmask_b32_e64 v16, v16, v14, s3
	v_cndmask_b32_e64 v17, v21, v17, s3
	v_cmp_ge_i32_e64 s3, v17, v16
	s_delay_alu instid0(VALU_DEP_1) | instskip(NEXT) | instid1(SALU_CYCLE_1)
	s_or_b32 s5, s3, s5
	s_and_not1_b32 exec_lo, exec_lo, s5
	s_cbranch_execnz .LBB67_28
; %bb.29:
	s_or_b32 exec_lo, exec_lo, s5
.LBB67_30:
	s_delay_alu instid0(SALU_CYCLE_1) | instskip(SKIP_2) | instid1(VALU_DEP_2)
	s_or_b32 exec_lo, exec_lo, s4
	v_add_nc_u32_e32 v12, v6, v19
	v_add_nc_u32_e32 v16, v17, v18
                                        ; implicit-def: $vgpr14
	v_sub_nc_u32_e32 v17, v12, v17
	s_delay_alu instid0(VALU_DEP_2) | instskip(SKIP_1) | instid1(VALU_DEP_3)
	v_add_nc_u32_e32 v15, v0, v16
	v_cmp_le_i32_e64 s3, v6, v16
	v_add_nc_u32_e32 v18, v0, v17
	v_cmp_gt_i32_e64 s5, v11, v17
	ds_load_u8 v12, v15
	ds_load_u8 v13, v18
	s_waitcnt lgkmcnt(1)
	v_bfe_i32 v12, v12, 0, 8
	s_waitcnt lgkmcnt(0)
	v_bfe_i32 v13, v13, 0, 8
	s_delay_alu instid0(VALU_DEP_1) | instskip(NEXT) | instid1(VALU_DEP_1)
	v_cmp_lt_i16_e64 s4, v13, v12
	s_or_b32 s3, s3, s4
	s_delay_alu instid0(SALU_CYCLE_1) | instskip(NEXT) | instid1(SALU_CYCLE_1)
	s_and_b32 s3, s5, s3
	s_xor_b32 s4, s3, -1
	s_delay_alu instid0(SALU_CYCLE_1) | instskip(NEXT) | instid1(SALU_CYCLE_1)
	s_and_saveexec_b32 s5, s4
	s_xor_b32 s4, exec_lo, s5
	s_cbranch_execz .LBB67_32
; %bb.31:
	ds_load_u8 v14, v15 offset:1
                                        ; implicit-def: $vgpr18
.LBB67_32:
	s_or_saveexec_b32 s4, s4
	v_mov_b32_e32 v15, v13
	s_xor_b32 exec_lo, exec_lo, s4
	s_cbranch_execz .LBB67_34
; %bb.33:
	ds_load_u8 v15, v18 offset:1
	s_waitcnt lgkmcnt(1)
	v_mov_b32_e32 v14, v12
.LBB67_34:
	s_or_b32 exec_lo, exec_lo, s4
	v_add_nc_u32_e32 v18, 1, v16
	v_add_nc_u32_e32 v19, 1, v17
	s_waitcnt lgkmcnt(0)
	v_bfe_i32 v22, v14, 0, 8
	s_delay_alu instid0(VALU_DEP_3) | instskip(SKIP_2) | instid1(VALU_DEP_3)
	v_cndmask_b32_e64 v20, v18, v16, s3
	v_bfe_i32 v18, v15, 0, 8
	v_cndmask_b32_e64 v21, v17, v19, s3
	v_cmp_ge_i32_e64 s4, v20, v6
	s_delay_alu instid0(VALU_DEP_3) | instskip(NEXT) | instid1(VALU_DEP_3)
	v_cmp_lt_i16_e64 s5, v18, v22
	v_cmp_lt_i32_e64 s6, v21, v11
                                        ; implicit-def: $vgpr18
	s_delay_alu instid0(VALU_DEP_2)
	s_or_b32 s4, s4, s5
	s_delay_alu instid0(VALU_DEP_1) | instid1(SALU_CYCLE_1)
	s_and_b32 s4, s6, s4
	s_delay_alu instid0(SALU_CYCLE_1) | instskip(NEXT) | instid1(SALU_CYCLE_1)
	s_xor_b32 s5, s4, -1
	s_and_saveexec_b32 s6, s5
	s_delay_alu instid0(SALU_CYCLE_1)
	s_xor_b32 s5, exec_lo, s6
	s_cbranch_execz .LBB67_36
; %bb.35:
	v_add_nc_u32_e32 v18, v0, v20
	ds_load_u8 v18, v18 offset:1
.LBB67_36:
	s_or_saveexec_b32 s5, s5
	v_mov_b32_e32 v19, v15
	s_xor_b32 exec_lo, exec_lo, s5
	s_cbranch_execz .LBB67_38
; %bb.37:
	s_waitcnt lgkmcnt(0)
	v_add_nc_u32_e32 v18, v0, v21
	ds_load_u8 v19, v18 offset:1
	v_mov_b32_e32 v18, v14
.LBB67_38:
	s_or_b32 exec_lo, exec_lo, s5
	v_add_nc_u32_e32 v22, 1, v20
	v_add_nc_u32_e32 v23, 1, v21
	s_waitcnt lgkmcnt(0)
	v_bfe_i32 v24, v18, 0, 8
	s_delay_alu instid0(VALU_DEP_3) | instskip(SKIP_2) | instid1(VALU_DEP_3)
	v_cndmask_b32_e64 v25, v22, v20, s4
	v_bfe_i32 v22, v19, 0, 8
	v_cndmask_b32_e64 v23, v21, v23, s4
	v_cmp_ge_i32_e64 s5, v25, v6
	s_delay_alu instid0(VALU_DEP_3) | instskip(NEXT) | instid1(VALU_DEP_3)
	v_cmp_lt_i16_e64 s6, v22, v24
	v_cmp_lt_i32_e64 s7, v23, v11
                                        ; implicit-def: $vgpr22
	s_delay_alu instid0(VALU_DEP_2)
	s_or_b32 s5, s5, s6
	s_delay_alu instid0(VALU_DEP_1) | instid1(SALU_CYCLE_1)
	s_and_b32 s5, s7, s5
	s_delay_alu instid0(SALU_CYCLE_1) | instskip(NEXT) | instid1(SALU_CYCLE_1)
	s_xor_b32 s6, s5, -1
	s_and_saveexec_b32 s7, s6
	s_delay_alu instid0(SALU_CYCLE_1)
	s_xor_b32 s6, exec_lo, s7
	s_cbranch_execz .LBB67_40
; %bb.39:
	v_add_nc_u32_e32 v22, v0, v25
	ds_load_u8 v22, v22 offset:1
.LBB67_40:
	s_or_saveexec_b32 s6, s6
	v_mov_b32_e32 v24, v19
	s_xor_b32 exec_lo, exec_lo, s6
	s_cbranch_execz .LBB67_42
; %bb.41:
	s_waitcnt lgkmcnt(0)
	v_add_nc_u32_e32 v22, v0, v23
	ds_load_u8 v24, v22 offset:1
	v_mov_b32_e32 v22, v18
.LBB67_42:
	s_or_b32 exec_lo, exec_lo, s6
	v_add_nc_u32_e32 v26, 1, v25
	v_cndmask_b32_e64 v28, v25, v23, s5
	v_add_nc_u32_e32 v27, 1, v23
	v_cndmask_b32_e64 v21, v20, v21, s4
	s_waitcnt lgkmcnt(0)
	v_bfe_i32 v29, v22, 0, 8
	v_cndmask_b32_e64 v25, v26, v25, s5
	v_and_b32_e32 v26, 32, v5
	v_bfe_i32 v30, v24, 0, 8
	v_cndmask_b32_e64 v23, v23, v27, s5
	s_delay_alu instid0(VALU_DEP_4) | instskip(NEXT) | instid1(VALU_DEP_4)
	v_cmp_ge_i32_e64 s7, v25, v6
	v_min_i32_e32 v20, v4, v26
	s_delay_alu instid0(VALU_DEP_4) | instskip(NEXT) | instid1(VALU_DEP_4)
	v_cmp_lt_i16_e64 s6, v30, v29
	v_cmp_lt_i32_e64 s8, v23, v11
	v_cndmask_b32_e64 v11, v16, v17, s3
	; wave barrier
	s_delay_alu instid0(VALU_DEP_4) | instskip(NEXT) | instid1(VALU_DEP_4)
	v_add_nc_u32_e32 v6, 16, v20
	s_or_b32 s6, s7, s6
	ds_store_b8 v1, v7
	ds_store_b8 v1, v8 offset:1
	ds_store_b8 v1, v9 offset:2
	ds_store_b8 v1, v10 offset:3
	s_and_b32 s6, s8, s6
	v_add_nc_u32_e32 v8, v0, v11
	v_min_i32_e32 v6, v4, v6
	v_cndmask_b32_e64 v16, v25, v23, s6
	v_and_b32_e32 v5, 28, v5
	v_add_nc_u32_e32 v9, v0, v28
	s_delay_alu instid0(VALU_DEP_4) | instskip(NEXT) | instid1(VALU_DEP_4)
	v_add_nc_u32_e32 v7, 16, v6
	v_add_nc_u32_e32 v16, v0, v16
	; wave barrier
	s_delay_alu instid0(VALU_DEP_4) | instskip(SKIP_1) | instid1(VALU_DEP_4)
	v_min_i32_e32 v11, v4, v5
	v_cndmask_b32_e64 v18, v18, v19, s5
	v_min_i32_e32 v10, v4, v7
	v_add_nc_u32_e32 v7, v0, v21
	v_sub_nc_u32_e32 v21, v6, v20
	ds_load_u8 v5, v8
	ds_load_u8 v7, v7
	;; [unrolled: 1-line block ×4, first 2 shown]
	v_sub_nc_u32_e32 v17, v10, v6
	v_cndmask_b32_e64 v12, v12, v13, s3
	v_cndmask_b32_e64 v13, v14, v15, s4
	;; [unrolled: 1-line block ×3, first 2 shown]
	s_mov_b32 s4, exec_lo
	v_sub_nc_u32_e32 v16, v11, v17
	v_cmp_ge_i32_e64 s5, v11, v17
	v_min_i32_e32 v17, v11, v21
	; wave barrier
	ds_store_b8 v1, v12
	ds_store_b8 v1, v13 offset:1
	ds_store_b8 v1, v18 offset:2
	;; [unrolled: 1-line block ×3, first 2 shown]
	v_cndmask_b32_e64 v16, 0, v16, s5
	s_mov_b32 s5, 0
	; wave barrier
	s_delay_alu instid0(VALU_DEP_1)
	v_cmpx_lt_i32_e64 v16, v17
	s_cbranch_execz .LBB67_46
; %bb.43:
	v_add_nc_u32_e32 v12, v0, v20
	v_add3_u32 v13, v0, v6, v11
	.p2align	6
.LBB67_44:                              ; =>This Inner Loop Header: Depth=1
	v_sub_nc_u32_e32 v14, v17, v16
	s_delay_alu instid0(VALU_DEP_1) | instskip(NEXT) | instid1(VALU_DEP_1)
	v_lshrrev_b32_e32 v15, 31, v14
	v_add_nc_u32_e32 v14, v14, v15
	s_delay_alu instid0(VALU_DEP_1) | instskip(NEXT) | instid1(VALU_DEP_1)
	v_ashrrev_i32_e32 v14, 1, v14
	v_add_nc_u32_e32 v14, v14, v16
	s_delay_alu instid0(VALU_DEP_1)
	v_add_nc_u32_e32 v15, v12, v14
	v_xad_u32 v18, v14, -1, v13
	v_add_nc_u32_e32 v19, 1, v14
	ds_load_i8 v15, v15
	ds_load_i8 v18, v18
	s_waitcnt lgkmcnt(0)
	v_cmp_lt_i16_e64 s3, v18, v15
	s_delay_alu instid0(VALU_DEP_1) | instskip(SKIP_1) | instid1(VALU_DEP_1)
	v_cndmask_b32_e64 v17, v17, v14, s3
	v_cndmask_b32_e64 v16, v19, v16, s3
	v_cmp_ge_i32_e64 s3, v16, v17
	s_delay_alu instid0(VALU_DEP_1) | instskip(NEXT) | instid1(SALU_CYCLE_1)
	s_or_b32 s5, s3, s5
	s_and_not1_b32 exec_lo, exec_lo, s5
	s_cbranch_execnz .LBB67_44
; %bb.45:
	s_or_b32 exec_lo, exec_lo, s5
.LBB67_46:
	s_delay_alu instid0(SALU_CYCLE_1) | instskip(SKIP_2) | instid1(VALU_DEP_2)
	s_or_b32 exec_lo, exec_lo, s4
	v_add_nc_u32_e32 v11, v6, v11
	v_add_nc_u32_e32 v14, v16, v20
                                        ; implicit-def: $vgpr13
	v_sub_nc_u32_e32 v15, v11, v16
	s_delay_alu instid0(VALU_DEP_2) | instskip(SKIP_1) | instid1(VALU_DEP_3)
	v_add_nc_u32_e32 v16, v0, v14
	v_cmp_le_i32_e64 s3, v6, v14
	v_add_nc_u32_e32 v17, v0, v15
	v_cmp_gt_i32_e64 s5, v10, v15
	ds_load_u8 v11, v16
	ds_load_u8 v12, v17
	s_waitcnt lgkmcnt(1)
	v_bfe_i32 v11, v11, 0, 8
	s_waitcnt lgkmcnt(0)
	v_bfe_i32 v12, v12, 0, 8
	s_delay_alu instid0(VALU_DEP_1) | instskip(NEXT) | instid1(VALU_DEP_1)
	v_cmp_lt_i16_e64 s4, v12, v11
	s_or_b32 s3, s3, s4
	s_delay_alu instid0(SALU_CYCLE_1) | instskip(NEXT) | instid1(SALU_CYCLE_1)
	s_and_b32 s3, s5, s3
	s_xor_b32 s4, s3, -1
	s_delay_alu instid0(SALU_CYCLE_1) | instskip(NEXT) | instid1(SALU_CYCLE_1)
	s_and_saveexec_b32 s5, s4
	s_xor_b32 s4, exec_lo, s5
	s_cbranch_execz .LBB67_48
; %bb.47:
	ds_load_u8 v13, v16 offset:1
                                        ; implicit-def: $vgpr17
.LBB67_48:
	s_or_saveexec_b32 s4, s4
	v_mov_b32_e32 v16, v12
	s_xor_b32 exec_lo, exec_lo, s4
	s_cbranch_execz .LBB67_50
; %bb.49:
	ds_load_u8 v16, v17 offset:1
	s_waitcnt lgkmcnt(1)
	v_mov_b32_e32 v13, v11
.LBB67_50:
	s_or_b32 exec_lo, exec_lo, s4
	v_add_nc_u32_e32 v17, 1, v14
	v_add_nc_u32_e32 v18, 1, v15
	s_waitcnt lgkmcnt(0)
	v_bfe_i32 v21, v13, 0, 8
	s_delay_alu instid0(VALU_DEP_3) | instskip(SKIP_2) | instid1(VALU_DEP_3)
	v_cndmask_b32_e64 v19, v17, v14, s3
	v_bfe_i32 v17, v16, 0, 8
	v_cndmask_b32_e64 v20, v15, v18, s3
	v_cmp_ge_i32_e64 s4, v19, v6
	s_delay_alu instid0(VALU_DEP_3) | instskip(NEXT) | instid1(VALU_DEP_3)
	v_cmp_lt_i16_e64 s5, v17, v21
	v_cmp_lt_i32_e64 s6, v20, v10
                                        ; implicit-def: $vgpr17
	s_delay_alu instid0(VALU_DEP_2)
	s_or_b32 s4, s4, s5
	s_delay_alu instid0(VALU_DEP_1) | instid1(SALU_CYCLE_1)
	s_and_b32 s4, s6, s4
	s_delay_alu instid0(SALU_CYCLE_1) | instskip(NEXT) | instid1(SALU_CYCLE_1)
	s_xor_b32 s5, s4, -1
	s_and_saveexec_b32 s6, s5
	s_delay_alu instid0(SALU_CYCLE_1)
	s_xor_b32 s5, exec_lo, s6
	s_cbranch_execz .LBB67_52
; %bb.51:
	v_add_nc_u32_e32 v17, v0, v19
	ds_load_u8 v17, v17 offset:1
.LBB67_52:
	s_or_saveexec_b32 s5, s5
	v_mov_b32_e32 v18, v16
	s_xor_b32 exec_lo, exec_lo, s5
	s_cbranch_execz .LBB67_54
; %bb.53:
	s_waitcnt lgkmcnt(0)
	v_add_nc_u32_e32 v17, v0, v20
	ds_load_u8 v18, v17 offset:1
	v_mov_b32_e32 v17, v13
.LBB67_54:
	s_or_b32 exec_lo, exec_lo, s5
	v_add_nc_u32_e32 v21, 1, v19
	v_add_nc_u32_e32 v22, 1, v20
	s_waitcnt lgkmcnt(0)
	v_bfe_i32 v23, v17, 0, 8
	v_bfe_i32 v24, v18, 0, 8
	v_cndmask_b32_e64 v21, v21, v19, s4
	v_cndmask_b32_e64 v22, v20, v22, s4
	s_delay_alu instid0(VALU_DEP_3) | instskip(NEXT) | instid1(VALU_DEP_3)
	v_cmp_lt_i16_e64 s6, v24, v23
                                        ; implicit-def: $vgpr23
	v_cmp_ge_i32_e64 s5, v21, v6
	s_delay_alu instid0(VALU_DEP_3) | instskip(NEXT) | instid1(VALU_DEP_2)
	v_cmp_lt_i32_e64 s7, v22, v10
	s_or_b32 s5, s5, s6
	s_delay_alu instid0(VALU_DEP_1) | instid1(SALU_CYCLE_1)
	s_and_b32 s5, s7, s5
	s_delay_alu instid0(SALU_CYCLE_1) | instskip(NEXT) | instid1(SALU_CYCLE_1)
	s_xor_b32 s6, s5, -1
	s_and_saveexec_b32 s7, s6
	s_delay_alu instid0(SALU_CYCLE_1)
	s_xor_b32 s6, exec_lo, s7
	s_cbranch_execz .LBB67_56
; %bb.55:
	v_add_nc_u32_e32 v23, v0, v21
	ds_load_u8 v23, v23 offset:1
.LBB67_56:
	s_or_saveexec_b32 s6, s6
	v_mov_b32_e32 v24, v18
	s_xor_b32 exec_lo, exec_lo, s6
	s_cbranch_execz .LBB67_58
; %bb.57:
	s_waitcnt lgkmcnt(0)
	v_add_nc_u32_e32 v23, v0, v22
	ds_load_u8 v24, v23 offset:1
	v_mov_b32_e32 v23, v17
.LBB67_58:
	s_or_b32 exec_lo, exec_lo, s6
	v_add_nc_u32_e32 v25, 1, v21
	v_add_nc_u32_e32 v26, 1, v22
	v_cndmask_b32_e64 v27, v21, v22, s5
	s_waitcnt lgkmcnt(0)
	v_bfe_i32 v28, v23, 0, 8
	v_bfe_i32 v29, v24, 0, 8
	v_cndmask_b32_e64 v25, v25, v21, s5
	v_min_i32_e32 v21, 0, v4
	v_cndmask_b32_e64 v22, v22, v26, s5
	v_cndmask_b32_e64 v14, v14, v15, s3
	v_cmp_lt_i16_e64 s6, v29, v28
	v_cmp_ge_i32_e64 s7, v25, v6
	v_add_nc_u32_e32 v6, 32, v21
	v_cmp_lt_i32_e64 s8, v22, v10
	v_cndmask_b32_e64 v19, v19, v20, s4
	s_delay_alu instid0(VALU_DEP_4) | instskip(NEXT) | instid1(VALU_DEP_3)
	s_or_b32 s6, s7, s6
	v_min_i32_e32 v10, v4, v6
	s_delay_alu instid0(VALU_DEP_3) | instskip(NEXT) | instid1(SALU_CYCLE_1)
	s_and_b32 s6, s8, s6
	; wave barrier
	v_cndmask_b32_e64 v6, v25, v22, s6
	ds_store_b8 v1, v5
	ds_store_b8 v1, v7 offset:1
	ds_store_b8 v1, v8 offset:2
	;; [unrolled: 1-line block ×3, first 2 shown]
	v_add_nc_u32_e32 v15, 32, v10
	v_add_nc_u32_e32 v7, v0, v14
	;; [unrolled: 1-line block ×4, first 2 shown]
	s_delay_alu instid0(VALU_DEP_4)
	v_min_i32_e32 v5, v4, v15
	v_add_nc_u32_e32 v15, v0, v6
	; wave barrier
	v_min_i32_e32 v9, v4, v2
	ds_load_u8 v4, v7
	ds_load_u8 v6, v8
	;; [unrolled: 1-line block ×4, first 2 shown]
	v_sub_nc_u32_e32 v19, v5, v10
	v_sub_nc_u32_e32 v22, v10, v21
	v_cndmask_b32_e64 v17, v17, v18, s5
	v_cndmask_b32_e64 v11, v11, v12, s3
	;; [unrolled: 1-line block ×3, first 2 shown]
	v_sub_nc_u32_e32 v14, v9, v19
	v_cmp_ge_i32_e64 s5, v9, v19
	v_cndmask_b32_e64 v20, v23, v24, s6
	s_mov_b32 s4, exec_lo
	; wave barrier
	s_delay_alu instid0(VALU_DEP_2)
	v_cndmask_b32_e64 v15, 0, v14, s5
	v_min_i32_e32 v14, v9, v22
	s_mov_b32 s5, 0
	ds_store_b8 v1, v11
	ds_store_b8 v1, v12 offset:1
	ds_store_b8 v1, v17 offset:2
	;; [unrolled: 1-line block ×3, first 2 shown]
	; wave barrier
	v_cmpx_lt_i32_e64 v15, v14
	s_cbranch_execz .LBB67_62
; %bb.59:
	v_add_nc_u32_e32 v11, v0, v21
	v_add3_u32 v12, v0, v10, v9
	.p2align	6
.LBB67_60:                              ; =>This Inner Loop Header: Depth=1
	v_sub_nc_u32_e32 v13, v14, v15
	s_delay_alu instid0(VALU_DEP_1) | instskip(NEXT) | instid1(VALU_DEP_1)
	v_lshrrev_b32_e32 v16, 31, v13
	v_add_nc_u32_e32 v13, v13, v16
	s_delay_alu instid0(VALU_DEP_1) | instskip(NEXT) | instid1(VALU_DEP_1)
	v_ashrrev_i32_e32 v13, 1, v13
	v_add_nc_u32_e32 v13, v13, v15
	s_delay_alu instid0(VALU_DEP_1)
	v_add_nc_u32_e32 v16, v11, v13
	v_xad_u32 v17, v13, -1, v12
	v_add_nc_u32_e32 v18, 1, v13
	ds_load_i8 v16, v16
	ds_load_i8 v17, v17
	s_waitcnt lgkmcnt(0)
	v_cmp_lt_i16_e64 s3, v17, v16
	s_delay_alu instid0(VALU_DEP_1) | instskip(SKIP_1) | instid1(VALU_DEP_1)
	v_cndmask_b32_e64 v14, v14, v13, s3
	v_cndmask_b32_e64 v15, v18, v15, s3
	v_cmp_ge_i32_e64 s3, v15, v14
	s_delay_alu instid0(VALU_DEP_1) | instskip(NEXT) | instid1(SALU_CYCLE_1)
	s_or_b32 s5, s3, s5
	s_and_not1_b32 exec_lo, exec_lo, s5
	s_cbranch_execnz .LBB67_60
; %bb.61:
	s_or_b32 exec_lo, exec_lo, s5
.LBB67_62:
	s_delay_alu instid0(SALU_CYCLE_1) | instskip(SKIP_2) | instid1(VALU_DEP_2)
	s_or_b32 exec_lo, exec_lo, s4
	v_add_nc_u32_e32 v9, v10, v9
	v_add_nc_u32_e32 v14, v15, v21
                                        ; implicit-def: $vgpr12
	v_sub_nc_u32_e32 v15, v9, v15
	s_delay_alu instid0(VALU_DEP_2) | instskip(SKIP_1) | instid1(VALU_DEP_3)
	v_add_nc_u32_e32 v13, v0, v14
	v_cmp_le_i32_e64 s3, v10, v14
	v_add_nc_u32_e32 v16, v0, v15
	v_cmp_gt_i32_e64 s5, v5, v15
	ds_load_u8 v9, v13
	ds_load_u8 v11, v16
	s_waitcnt lgkmcnt(1)
	v_bfe_i32 v9, v9, 0, 8
	s_waitcnt lgkmcnt(0)
	v_bfe_i32 v11, v11, 0, 8
	s_delay_alu instid0(VALU_DEP_1) | instskip(NEXT) | instid1(VALU_DEP_1)
	v_cmp_lt_i16_e64 s4, v11, v9
	s_or_b32 s3, s3, s4
	s_delay_alu instid0(SALU_CYCLE_1) | instskip(NEXT) | instid1(SALU_CYCLE_1)
	s_and_b32 s3, s5, s3
	s_xor_b32 s4, s3, -1
	s_delay_alu instid0(SALU_CYCLE_1) | instskip(NEXT) | instid1(SALU_CYCLE_1)
	s_and_saveexec_b32 s5, s4
	s_xor_b32 s4, exec_lo, s5
	s_cbranch_execz .LBB67_64
; %bb.63:
	ds_load_u8 v12, v13 offset:1
                                        ; implicit-def: $vgpr16
.LBB67_64:
	s_or_saveexec_b32 s4, s4
	v_mov_b32_e32 v13, v11
	s_xor_b32 exec_lo, exec_lo, s4
	s_cbranch_execz .LBB67_66
; %bb.65:
	ds_load_u8 v13, v16 offset:1
	s_waitcnt lgkmcnt(1)
	v_mov_b32_e32 v12, v9
.LBB67_66:
	s_or_b32 exec_lo, exec_lo, s4
	v_add_nc_u32_e32 v16, 1, v14
	v_add_nc_u32_e32 v18, 1, v15
	s_waitcnt lgkmcnt(0)
	v_bfe_i32 v19, v12, 0, 8
	s_delay_alu instid0(VALU_DEP_3) | instskip(SKIP_2) | instid1(VALU_DEP_3)
	v_cndmask_b32_e64 v17, v16, v14, s3
	v_bfe_i32 v16, v13, 0, 8
	v_cndmask_b32_e64 v18, v15, v18, s3
	v_cmp_ge_i32_e64 s4, v17, v10
	s_delay_alu instid0(VALU_DEP_3) | instskip(NEXT) | instid1(VALU_DEP_3)
	v_cmp_lt_i16_e64 s5, v16, v19
	v_cmp_lt_i32_e64 s6, v18, v5
                                        ; implicit-def: $vgpr16
	s_delay_alu instid0(VALU_DEP_2)
	s_or_b32 s4, s4, s5
	s_delay_alu instid0(VALU_DEP_1) | instid1(SALU_CYCLE_1)
	s_and_b32 s4, s6, s4
	s_delay_alu instid0(SALU_CYCLE_1) | instskip(NEXT) | instid1(SALU_CYCLE_1)
	s_xor_b32 s5, s4, -1
	s_and_saveexec_b32 s6, s5
	s_delay_alu instid0(SALU_CYCLE_1)
	s_xor_b32 s5, exec_lo, s6
	s_cbranch_execz .LBB67_68
; %bb.67:
	v_add_nc_u32_e32 v16, v0, v17
	ds_load_u8 v16, v16 offset:1
.LBB67_68:
	s_or_saveexec_b32 s5, s5
	v_mov_b32_e32 v19, v13
	s_xor_b32 exec_lo, exec_lo, s5
	s_cbranch_execz .LBB67_70
; %bb.69:
	s_waitcnt lgkmcnt(0)
	v_add_nc_u32_e32 v16, v0, v18
	ds_load_u8 v19, v16 offset:1
	v_mov_b32_e32 v16, v12
.LBB67_70:
	s_or_b32 exec_lo, exec_lo, s5
	v_add_nc_u32_e32 v20, 1, v17
	v_add_nc_u32_e32 v21, 1, v18
	s_waitcnt lgkmcnt(0)
	v_bfe_i32 v22, v16, 0, 8
	v_bfe_i32 v23, v19, 0, 8
	v_cndmask_b32_e64 v25, v20, v17, s4
	v_cndmask_b32_e64 v20, v18, v21, s4
                                        ; implicit-def: $vgpr21
	s_delay_alu instid0(VALU_DEP_3) | instskip(NEXT) | instid1(VALU_DEP_3)
	v_cmp_lt_i16_e64 s6, v23, v22
                                        ; implicit-def: $vgpr22
	v_cmp_ge_i32_e64 s5, v25, v10
	s_delay_alu instid0(VALU_DEP_3) | instskip(NEXT) | instid1(VALU_DEP_2)
	v_cmp_lt_i32_e64 s7, v20, v5
	s_or_b32 s5, s5, s6
	s_delay_alu instid0(VALU_DEP_1) | instid1(SALU_CYCLE_1)
	s_and_b32 s5, s7, s5
	s_delay_alu instid0(SALU_CYCLE_1) | instskip(NEXT) | instid1(SALU_CYCLE_1)
	s_xor_b32 s6, s5, -1
	s_and_saveexec_b32 s7, s6
	s_delay_alu instid0(SALU_CYCLE_1)
	s_xor_b32 s6, exec_lo, s7
	s_cbranch_execz .LBB67_72
; %bb.71:
	v_add_nc_u32_e32 v21, v0, v25
	ds_load_u8 v22, v21 offset:1
	v_add_nc_u32_e32 v21, 1, v25
.LBB67_72:
	s_or_saveexec_b32 s6, s6
	v_dual_mov_b32 v23, v25 :: v_dual_mov_b32 v24, v19
	s_xor_b32 exec_lo, exec_lo, s6
	s_cbranch_execz .LBB67_74
; %bb.73:
	s_waitcnt lgkmcnt(0)
	v_dual_mov_b32 v23, v20 :: v_dual_add_nc_u32 v22, 1, v20
	s_delay_alu instid0(VALU_DEP_1)
	v_dual_mov_b32 v20, v22 :: v_dual_add_nc_u32 v21, v0, v20
	v_mov_b32_e32 v22, v16
	ds_load_u8 v24, v21 offset:1
	v_mov_b32_e32 v21, v25
.LBB67_74:
	s_or_b32 exec_lo, exec_lo, s6
	v_cndmask_b32_e64 v14, v14, v15, s3
	s_delay_alu instid0(VALU_DEP_2)
	v_cmp_ge_i32_e64 s6, v21, v10
	; wave barrier
	ds_store_b8 v1, v4
	ds_store_b8 v1, v6 offset:1
	ds_store_b8 v1, v7 offset:2
	ds_store_b8 v1, v8 offset:3
	v_add_nc_u32_e32 v10, v0, v14
	; wave barrier
	s_waitcnt lgkmcnt(4)
	v_bfe_i32 v25, v22, 0, 8
	v_bfe_i32 v26, v24, 0, 8
	ds_load_u8 v1, v10
	v_cmp_lt_i32_e64 s8, v20, v5
	v_cndmask_b32_e64 v4, v17, v18, s4
	v_cndmask_b32_e64 v7, v9, v11, s3
	v_cmp_lt_i16_e64 s7, v26, v25
	v_add_nc_u32_e32 v8, v0, v23
	v_cndmask_b32_e64 v9, v16, v19, s5
	v_add_nc_u32_e32 v4, v0, v4
	s_delay_alu instid0(VALU_DEP_4) | instskip(NEXT) | instid1(SALU_CYCLE_1)
	s_or_b32 s6, s6, s7
	s_and_b32 s6, s8, s6
	s_delay_alu instid0(VALU_DEP_2) | instskip(SKIP_2) | instid1(VALU_DEP_2)
	v_and_b32_e32 v9, 0xff, v9
	v_cndmask_b32_e64 v6, v21, v20, s6
	v_cndmask_b32_e64 v5, v22, v24, s6
	v_add_nc_u32_e32 v0, v0, v6
	v_cndmask_b32_e64 v6, v12, v13, s4
	s_waitcnt lgkmcnt(0)
	v_add_nc_u16 v1, v1, v7
	v_and_b32_e32 v7, 0xff, v7
	v_lshlrev_b16 v5, 8, v5
	ds_load_u8 v4, v4
	ds_load_u8 v8, v8
	;; [unrolled: 1-line block ×3, first 2 shown]
	v_lshlrev_b16 v6, 8, v6
	v_and_b32_e32 v1, 0xff, v1
	v_or_b32_e32 v5, v9, v5
	s_delay_alu instid0(VALU_DEP_3) | instskip(NEXT) | instid1(VALU_DEP_3)
	v_or_b32_e32 v7, v7, v6
	v_or_b32_e32 v1, v1, v6
	s_delay_alu instid0(VALU_DEP_3) | instskip(NEXT) | instid1(VALU_DEP_3)
	v_lshlrev_b32_e32 v5, 16, v5
	v_and_b32_e32 v6, 0xffff, v7
	s_delay_alu instid0(VALU_DEP_3) | instskip(NEXT) | instid1(VALU_DEP_2)
	v_and_b32_e32 v1, 0xffff, v1
	v_or_b32_e32 v6, v6, v5
	s_delay_alu instid0(VALU_DEP_2) | instskip(NEXT) | instid1(VALU_DEP_1)
	v_or_b32_e32 v1, v1, v5
	v_cndmask_b32_e32 v1, v6, v1, vcc_lo
	s_delay_alu instid0(VALU_DEP_1) | instskip(SKIP_1) | instid1(VALU_DEP_1)
	v_lshrrev_b32_e32 v5, 8, v1
	s_waitcnt lgkmcnt(2)
	v_add_nc_u16 v4, v5, v4
	v_and_b32_e32 v5, 0xff, v1
	s_delay_alu instid0(VALU_DEP_2) | instskip(NEXT) | instid1(VALU_DEP_1)
	v_lshlrev_b16 v4, 8, v4
	v_or_b32_e32 v4, v5, v4
	s_delay_alu instid0(VALU_DEP_1) | instskip(NEXT) | instid1(VALU_DEP_1)
	v_and_b32_e32 v4, 0xffff, v4
	v_and_or_b32 v4, 0xffff0000, v1, v4
	s_delay_alu instid0(VALU_DEP_1) | instskip(NEXT) | instid1(VALU_DEP_1)
	v_cndmask_b32_e64 v1, v1, v4, s0
	v_lshrrev_b32_e32 v4, 16, v1
	s_waitcnt lgkmcnt(1)
	s_delay_alu instid0(VALU_DEP_1) | instskip(SKIP_1) | instid1(VALU_DEP_2)
	v_add_nc_u16 v5, v4, v8
	v_and_b32_e32 v4, 0xffffff00, v4
	v_and_b32_e32 v5, 0xff, v5
	s_delay_alu instid0(VALU_DEP_1) | instskip(NEXT) | instid1(VALU_DEP_1)
	v_or_b32_e32 v4, v5, v4
	v_lshlrev_b32_e32 v4, 16, v4
	s_delay_alu instid0(VALU_DEP_1) | instskip(NEXT) | instid1(VALU_DEP_1)
	v_and_or_b32 v4, 0xffff, v1, v4
	v_cndmask_b32_e64 v1, v1, v4, s1
	s_delay_alu instid0(VALU_DEP_1) | instskip(SKIP_2) | instid1(VALU_DEP_2)
	v_lshrrev_b32_e32 v4, 24, v1
	v_lshrrev_b32_e32 v5, 16, v1
	s_waitcnt lgkmcnt(0)
	v_add_nc_u16 v0, v4, v0
	s_delay_alu instid0(VALU_DEP_2) | instskip(NEXT) | instid1(VALU_DEP_2)
	v_and_b32_e32 v4, 0xff, v5
	v_lshlrev_b16 v0, 8, v0
	s_delay_alu instid0(VALU_DEP_1) | instskip(SKIP_1) | instid1(VALU_DEP_1)
	v_or_b32_e32 v0, v4, v0
	v_add_co_u32 v4, s3, s10, v3
	v_add_co_ci_u32_e64 v5, null, s11, 0, s3
	s_delay_alu instid0(VALU_DEP_3) | instskip(NEXT) | instid1(VALU_DEP_1)
	v_lshlrev_b32_e32 v0, 16, v0
	v_and_or_b32 v0, 0xffff, v1, v0
	s_delay_alu instid0(VALU_DEP_1) | instskip(SKIP_1) | instid1(VALU_DEP_1)
	v_cndmask_b32_e64 v3, v1, v0, s2
	v_add_co_u32 v0, s3, v4, v2
	v_add_co_ci_u32_e64 v1, s3, 0, v5, s3
	s_and_saveexec_b32 s3, vcc_lo
	s_cbranch_execnz .LBB67_79
; %bb.75:
	s_or_b32 exec_lo, exec_lo, s3
	s_and_saveexec_b32 s3, s0
	s_cbranch_execnz .LBB67_80
.LBB67_76:
	s_or_b32 exec_lo, exec_lo, s3
	s_and_saveexec_b32 s0, s1
	s_cbranch_execnz .LBB67_81
.LBB67_77:
	s_or_b32 exec_lo, exec_lo, s0
	s_and_saveexec_b32 s0, s2
	s_cbranch_execnz .LBB67_82
.LBB67_78:
	s_nop 0
	s_sendmsg sendmsg(MSG_DEALLOC_VGPRS)
	s_endpgm
.LBB67_79:
	global_store_b8 v[0:1], v3, off
	s_or_b32 exec_lo, exec_lo, s3
	s_and_saveexec_b32 s3, s0
	s_cbranch_execz .LBB67_76
.LBB67_80:
	v_lshrrev_b32_e32 v2, 8, v3
	global_store_b8 v[0:1], v2, off offset:1
	s_or_b32 exec_lo, exec_lo, s3
	s_and_saveexec_b32 s0, s1
	s_cbranch_execz .LBB67_77
.LBB67_81:
	global_store_d16_hi_b8 v[0:1], v3, off offset:2
	s_or_b32 exec_lo, exec_lo, s0
	s_and_saveexec_b32 s0, s2
	s_cbranch_execz .LBB67_78
.LBB67_82:
	v_lshrrev_b32_e32 v2, 24, v3
	global_store_b8 v[0:1], v2, off offset:3
	s_nop 0
	s_sendmsg sendmsg(MSG_DEALLOC_VGPRS)
	s_endpgm
	.section	.rodata,"a",@progbits
	.p2align	6, 0x0
	.amdhsa_kernel _Z20sort_pairs_segmentedILj256ELj16ELj4EaN10test_utils4lessEEvPKT2_PS2_PKjT3_
		.amdhsa_group_segment_fixed_size 1040
		.amdhsa_private_segment_fixed_size 0
		.amdhsa_kernarg_size 28
		.amdhsa_user_sgpr_count 15
		.amdhsa_user_sgpr_dispatch_ptr 0
		.amdhsa_user_sgpr_queue_ptr 0
		.amdhsa_user_sgpr_kernarg_segment_ptr 1
		.amdhsa_user_sgpr_dispatch_id 0
		.amdhsa_user_sgpr_private_segment_size 0
		.amdhsa_wavefront_size32 1
		.amdhsa_uses_dynamic_stack 0
		.amdhsa_enable_private_segment 0
		.amdhsa_system_sgpr_workgroup_id_x 1
		.amdhsa_system_sgpr_workgroup_id_y 0
		.amdhsa_system_sgpr_workgroup_id_z 0
		.amdhsa_system_sgpr_workgroup_info 0
		.amdhsa_system_vgpr_workitem_id 0
		.amdhsa_next_free_vgpr 31
		.amdhsa_next_free_sgpr 16
		.amdhsa_reserve_vcc 1
		.amdhsa_float_round_mode_32 0
		.amdhsa_float_round_mode_16_64 0
		.amdhsa_float_denorm_mode_32 3
		.amdhsa_float_denorm_mode_16_64 3
		.amdhsa_dx10_clamp 1
		.amdhsa_ieee_mode 1
		.amdhsa_fp16_overflow 0
		.amdhsa_workgroup_processor_mode 1
		.amdhsa_memory_ordered 1
		.amdhsa_forward_progress 0
		.amdhsa_shared_vgpr_count 0
		.amdhsa_exception_fp_ieee_invalid_op 0
		.amdhsa_exception_fp_denorm_src 0
		.amdhsa_exception_fp_ieee_div_zero 0
		.amdhsa_exception_fp_ieee_overflow 0
		.amdhsa_exception_fp_ieee_underflow 0
		.amdhsa_exception_fp_ieee_inexact 0
		.amdhsa_exception_int_div_zero 0
	.end_amdhsa_kernel
	.section	.text._Z20sort_pairs_segmentedILj256ELj16ELj4EaN10test_utils4lessEEvPKT2_PS2_PKjT3_,"axG",@progbits,_Z20sort_pairs_segmentedILj256ELj16ELj4EaN10test_utils4lessEEvPKT2_PS2_PKjT3_,comdat
.Lfunc_end67:
	.size	_Z20sort_pairs_segmentedILj256ELj16ELj4EaN10test_utils4lessEEvPKT2_PS2_PKjT3_, .Lfunc_end67-_Z20sort_pairs_segmentedILj256ELj16ELj4EaN10test_utils4lessEEvPKT2_PS2_PKjT3_
                                        ; -- End function
	.section	.AMDGPU.csdata,"",@progbits
; Kernel info:
; codeLenInByte = 5916
; NumSgprs: 18
; NumVgprs: 31
; ScratchSize: 0
; MemoryBound: 0
; FloatMode: 240
; IeeeMode: 1
; LDSByteSize: 1040 bytes/workgroup (compile time only)
; SGPRBlocks: 2
; VGPRBlocks: 3
; NumSGPRsForWavesPerEU: 18
; NumVGPRsForWavesPerEU: 31
; Occupancy: 16
; WaveLimiterHint : 0
; COMPUTE_PGM_RSRC2:SCRATCH_EN: 0
; COMPUTE_PGM_RSRC2:USER_SGPR: 15
; COMPUTE_PGM_RSRC2:TRAP_HANDLER: 0
; COMPUTE_PGM_RSRC2:TGID_X_EN: 1
; COMPUTE_PGM_RSRC2:TGID_Y_EN: 0
; COMPUTE_PGM_RSRC2:TGID_Z_EN: 0
; COMPUTE_PGM_RSRC2:TIDIG_COMP_CNT: 0
	.section	.text._Z9sort_keysILj256ELj16ELj8EaN10test_utils4lessEEvPKT2_PS2_T3_,"axG",@progbits,_Z9sort_keysILj256ELj16ELj8EaN10test_utils4lessEEvPKT2_PS2_T3_,comdat
	.protected	_Z9sort_keysILj256ELj16ELj8EaN10test_utils4lessEEvPKT2_PS2_T3_ ; -- Begin function _Z9sort_keysILj256ELj16ELj8EaN10test_utils4lessEEvPKT2_PS2_T3_
	.globl	_Z9sort_keysILj256ELj16ELj8EaN10test_utils4lessEEvPKT2_PS2_T3_
	.p2align	8
	.type	_Z9sort_keysILj256ELj16ELj8EaN10test_utils4lessEEvPKT2_PS2_T3_,@function
_Z9sort_keysILj256ELj16ELj8EaN10test_utils4lessEEvPKT2_PS2_T3_: ; @_Z9sort_keysILj256ELj16ELj8EaN10test_utils4lessEEvPKT2_PS2_T3_
; %bb.0:
	s_load_b128 s[8:11], s[0:1], 0x0
	s_lshl_b32 s12, s15, 11
	v_lshlrev_b32_e32 v1, 3, v0
	v_lshrrev_b32_e32 v0, 4, v0
	s_waitcnt lgkmcnt(0)
	s_add_u32 s0, s8, s12
	s_addc_u32 s1, s9, 0
	global_load_b64 v[2:3], v1, s[0:1]
	; wave barrier
	s_waitcnt vmcnt(0)
	v_lshrrev_b32_e32 v4, 8, v2
	v_bfe_i32 v5, v2, 0, 8
	v_perm_b32 v6, v2, v2, 0x3020405
	s_delay_alu instid0(VALU_DEP_3) | instskip(NEXT) | instid1(VALU_DEP_1)
	v_bfe_i32 v4, v4, 0, 8
	v_cmp_lt_i16_e32 vcc_lo, v4, v5
	s_delay_alu instid0(VALU_DEP_3) | instskip(NEXT) | instid1(VALU_DEP_1)
	v_cndmask_b32_e32 v2, v2, v6, vcc_lo
	v_lshrrev_b32_e32 v6, 16, v2
	v_lshrrev_b32_e32 v8, 24, v2
	s_delay_alu instid0(VALU_DEP_2) | instskip(NEXT) | instid1(VALU_DEP_2)
	v_perm_b32 v7, 0, v6, 0xc0c0001
	v_bfe_i32 v8, v8, 0, 8
	v_bfe_i32 v6, v6, 0, 8
	s_delay_alu instid0(VALU_DEP_3) | instskip(NEXT) | instid1(VALU_DEP_2)
	v_lshlrev_b32_e32 v7, 16, v7
	v_cmp_lt_i16_e32 vcc_lo, v8, v6
	v_min_i16 v9, v8, v6
	v_max_i16 v6, v8, v6
	s_delay_alu instid0(VALU_DEP_4) | instskip(NEXT) | instid1(VALU_DEP_3)
	v_and_or_b32 v7, 0xffff, v2, v7
	v_lshlrev_b16 v12, 8, v9
	s_delay_alu instid0(VALU_DEP_2) | instskip(SKIP_2) | instid1(VALU_DEP_3)
	v_cndmask_b32_e32 v2, v2, v7, vcc_lo
	v_max_i16 v7, v4, v5
	v_min_i16 v4, v4, v5
	v_lshrrev_b32_e32 v10, 16, v2
	s_delay_alu instid0(VALU_DEP_3)
	v_and_b32_e32 v11, 0xff, v7
	v_and_b32_e32 v13, 0xff, v2
	v_cmp_lt_i16_e32 vcc_lo, v9, v7
	v_min_i16 v5, v9, v7
	v_and_b32_e32 v10, 0xffffff00, v10
	v_lshlrev_b16 v8, 8, v4
	v_or_b32_e32 v12, v13, v12
	v_max_i16 v7, v9, v7
	s_delay_alu instid0(VALU_DEP_4) | instskip(NEXT) | instid1(VALU_DEP_3)
	v_or_b32_e32 v10, v11, v10
	v_and_b32_e32 v11, 0xffff, v12
	v_lshrrev_b32_e32 v12, 8, v3
	s_delay_alu instid0(VALU_DEP_4) | instskip(NEXT) | instid1(VALU_DEP_4)
	v_lshlrev_b16 v17, 8, v7
	v_lshlrev_b32_e32 v10, 16, v10
	s_delay_alu instid0(VALU_DEP_3) | instskip(NEXT) | instid1(VALU_DEP_2)
	v_bfe_i32 v12, v12, 0, 8
	v_or_b32_e32 v10, v11, v10
	v_bfe_i32 v11, v3, 0, 8
	s_delay_alu instid0(VALU_DEP_2) | instskip(NEXT) | instid1(VALU_DEP_2)
	v_cndmask_b32_e32 v2, v2, v10, vcc_lo
	v_min_i16 v10, v12, v11
	v_cmp_lt_i16_e64 s0, v12, v11
	v_max_i16 v11, v12, v11
	s_delay_alu instid0(VALU_DEP_4) | instskip(NEXT) | instid1(VALU_DEP_4)
	v_lshrrev_b32_e32 v13, 16, v2
	v_lshlrev_b16 v14, 8, v10
	v_cmp_lt_i16_e32 vcc_lo, v10, v6
	v_min_i16 v15, v10, v6
	s_delay_alu instid0(VALU_DEP_4) | instskip(NEXT) | instid1(VALU_DEP_2)
	v_and_b32_e32 v13, 0xff, v13
	v_and_b32_e32 v16, 0xff, v15
	s_delay_alu instid0(VALU_DEP_2) | instskip(SKIP_1) | instid1(VALU_DEP_2)
	v_or_b32_e32 v13, v13, v14
	v_and_b32_e32 v14, 0xff, v5
	v_lshlrev_b32_e32 v13, 16, v13
	s_delay_alu instid0(VALU_DEP_2) | instskip(SKIP_1) | instid1(VALU_DEP_3)
	v_or_b32_e32 v8, v14, v8
	v_perm_b32 v14, v3, v3, 0x7060405
	v_and_or_b32 v13, 0xffff, v2, v13
	s_delay_alu instid0(VALU_DEP_3) | instskip(NEXT) | instid1(VALU_DEP_3)
	v_and_b32_e32 v8, 0xffff, v8
	v_cndmask_b32_e64 v3, v3, v14, s0
	v_cmp_lt_i16_e64 s0, v9, v4
	s_delay_alu instid0(VALU_DEP_4) | instskip(SKIP_1) | instid1(VALU_DEP_4)
	v_cndmask_b32_e32 v2, v2, v13, vcc_lo
	v_or_b32_e32 v13, v16, v17
	v_lshrrev_b32_e32 v12, 24, v3
	v_lshrrev_b32_e32 v14, 16, v3
	v_cndmask_b32_e64 v16, v5, v4, s0
	v_and_or_b32 v8, 0xffff0000, v2, v8
	v_lshlrev_b32_e32 v13, 16, v13
	v_cndmask_b32_e64 v4, v4, v5, s0
	v_bfe_i32 v9, v14, 0, 8
	v_and_b32_e32 v19, 0xff, v16
	v_cndmask_b32_e64 v2, v2, v8, s0
	v_bfe_i32 v8, v12, 0, 8
	v_perm_b32 v12, v3, v3, 0x6070504
	v_and_b32_e32 v14, 0xff, v11
	s_delay_alu instid0(VALU_DEP_4) | instskip(NEXT) | instid1(VALU_DEP_4)
	v_and_or_b32 v13, 0xffff, v2, v13
	v_cmp_lt_i16_e64 s1, v8, v9
	s_delay_alu instid0(VALU_DEP_1) | instskip(SKIP_3) | instid1(VALU_DEP_4)
	v_cndmask_b32_e64 v3, v3, v12, s1
	v_cmp_lt_i16_e64 s1, v15, v7
	v_max_i16 v12, v8, v9
	v_min_i16 v8, v8, v9
	v_perm_b32 v17, v6, v3, 0x3020104
	s_delay_alu instid0(VALU_DEP_4)
	v_cndmask_b32_e64 v2, v2, v13, s1
	v_min_i16 v13, v15, v7
	v_max_i16 v6, v10, v6
	v_min_i16 v21, v8, v11
	v_cndmask_b32_e32 v3, v3, v17, vcc_lo
	v_lshrrev_b32_e32 v9, 16, v2
	v_lshlrev_b16 v18, 8, v13
	v_and_b32_e32 v20, 0xff, v2
	v_cmp_lt_i16_e64 s1, v13, v16
	v_lshrrev_b32_e32 v27, 16, v3
	v_and_b32_e32 v9, 0xffffff00, v9
	v_lshlrev_b16 v10, 8, v8
	v_or_b32_e32 v18, v20, v18
	v_min_i16 v5, v13, v16
	v_and_b32_e32 v28, 0xff, v3
	v_or_b32_e32 v9, v19, v9
	v_and_b32_e32 v22, 0xff, v21
	v_and_b32_e32 v18, 0xffff, v18
	v_lshlrev_b16 v23, 8, v6
	v_max_i16 v7, v15, v7
	v_lshlrev_b32_e32 v9, 16, v9
	v_and_b32_e32 v29, 0xff, v5
	v_or_b32_e32 v10, v28, v10
	v_or_b32_e32 v22, v22, v23
	v_max_i16 v13, v13, v16
	v_or_b32_e32 v9, v18, v9
	v_min_i16 v18, v21, v6
	v_and_b32_e32 v10, 0xffff, v10
	v_max_i16 v19, v8, v11
	v_and_b32_e32 v17, 0xffff, v22
	v_cndmask_b32_e64 v2, v2, v9, s1
	v_lshlrev_b16 v9, 8, v18
	v_min_i16 v25, v18, v7
	v_cmp_lt_i16_e32 vcc_lo, v18, v7
	v_cmp_lt_i16_e64 s0, v8, v11
	v_lshrrev_b32_e32 v26, 16, v2
	v_and_b32_e32 v20, 0xff, v12
	v_and_b32_e32 v22, 0xff, v25
	v_lshlrev_b16 v15, 8, v19
	v_max_i16 v23, v18, v7
	v_and_b32_e32 v26, 0xff, v26
	v_min_i16 v18, v5, v4
	v_max_i16 v24, v21, v6
	v_or_b32_e32 v15, v20, v15
	s_mov_b32 s1, exec_lo
	v_or_b32_e32 v9, v26, v9
	v_and_b32_e32 v26, 0xffffff00, v27
	v_lshlrev_b16 v27, 8, v4
	v_lshlrev_b32_e32 v15, 16, v15
	v_and_b32_e32 v20, 0xff, v24
	v_lshlrev_b32_e32 v9, 16, v9
	v_or_b32_e32 v14, v14, v26
	v_or_b32_e32 v16, v29, v27
	v_lshlrev_b16 v26, 8, v13
	s_delay_alu instid0(VALU_DEP_4) | instskip(NEXT) | instid1(VALU_DEP_4)
	v_and_or_b32 v9, 0xffff, v2, v9
	v_lshlrev_b32_e32 v14, 16, v14
	s_delay_alu instid0(VALU_DEP_4) | instskip(NEXT) | instid1(VALU_DEP_3)
	v_and_b32_e32 v16, 0xffff, v16
	v_cndmask_b32_e32 v2, v2, v9, vcc_lo
	s_delay_alu instid0(VALU_DEP_3) | instskip(SKIP_2) | instid1(VALU_DEP_4)
	v_or_b32_e32 v10, v10, v14
	v_or_b32_e32 v14, v22, v26
	v_lshlrev_b16 v9, 8, v23
	v_and_or_b32 v16, 0xffff0000, v2, v16
	s_delay_alu instid0(VALU_DEP_4)
	v_cndmask_b32_e64 v3, v3, v10, s0
	v_cmp_lt_i16_e64 s0, v5, v4
	v_lshlrev_b32_e32 v8, 16, v14
	v_max_i16 v4, v5, v4
	v_min_i16 v14, v25, v13
	v_and_or_b32 v5, 0xffff0000, v3, v17
	v_cndmask_b32_e64 v2, v2, v16, s0
	v_cmp_lt_i16_e64 s0, v21, v6
	v_max_i16 v10, v25, v13
	v_lshlrev_b16 v6, 8, v14
	s_delay_alu instid0(VALU_DEP_4) | instskip(NEXT) | instid1(VALU_DEP_4)
	v_and_or_b32 v8, 0xffff, v2, v8
	v_cndmask_b32_e64 v3, v3, v5, s0
	v_cmp_lt_i16_e64 s0, v25, v13
	v_and_b32_e32 v5, 0xff, v4
	v_max_i16 v13, v14, v4
	s_delay_alu instid0(VALU_DEP_3)
	v_cndmask_b32_e64 v2, v2, v8, s0
	v_and_or_b32 v8, 0xffff, v3, v15
	v_cmp_gt_i16_e64 s0, v11, v12
	v_min_i16 v15, v14, v4
	v_lshlrev_b16 v21, 8, v13
	v_lshrrev_b32_e32 v16, 16, v2
	v_and_b32_e32 v11, 0xff, v2
	v_cndmask_b32_e64 v3, v3, v8, s0
	v_lshlrev_b16 v8, 8, v18
	v_and_b32_e32 v17, 0xff, v15
	v_and_b32_e32 v16, 0xffffff00, v16
	v_or_b32_e32 v6, v11, v6
	v_perm_b32 v7, v7, v3, 0x3020104
	v_cndmask_b32_e64 v11, v12, v19, s0
	v_or_b32_e32 v8, v17, v8
	v_or_b32_e32 v5, v5, v16
	s_delay_alu instid0(VALU_DEP_4) | instskip(SKIP_2) | instid1(VALU_DEP_4)
	v_dual_cndmask_b32 v3, v3, v7 :: v_dual_and_b32 v6, 0xffff, v6
	v_cndmask_b32_e64 v7, v19, v12, s0
	v_cmp_lt_i16_e32 vcc_lo, v14, v4
	v_lshlrev_b32_e32 v5, 16, v5
	s_delay_alu instid0(VALU_DEP_4) | instskip(NEXT) | instid1(VALU_DEP_4)
	v_lshrrev_b32_e32 v12, 16, v3
	v_lshlrev_b16 v16, 8, v7
	v_min_i16 v19, v7, v24
	s_delay_alu instid0(VALU_DEP_4) | instskip(SKIP_3) | instid1(VALU_DEP_4)
	v_or_b32_e32 v5, v6, v5
	v_and_b32_e32 v6, 0xff, v3
	v_and_b32_e32 v12, 0xffffff00, v12
	v_max_i16 v17, v7, v24
	v_cndmask_b32_e32 v2, v2, v5, vcc_lo
	s_delay_alu instid0(VALU_DEP_4) | instskip(NEXT) | instid1(VALU_DEP_4)
	v_or_b32_e32 v4, v6, v16
	v_or_b32_e32 v5, v20, v12
	v_and_b32_e32 v6, 0xff, v19
	v_min_i16 v12, v19, v23
	v_lshrrev_b32_e32 v16, 16, v2
	v_and_b32_e32 v4, 0xffff, v4
	v_lshlrev_b32_e32 v5, 16, v5
	v_or_b32_e32 v6, v6, v9
	v_lshlrev_b16 v9, 8, v12
	v_and_b32_e32 v16, 0xff, v16
	v_cmp_lt_i16_e32 vcc_lo, v7, v24
	v_or_b32_e32 v4, v4, v5
	v_and_b32_e32 v20, 0xff, v11
	v_lshlrev_b16 v5, 8, v17
	v_and_b32_e32 v6, 0xffff, v6
	v_or_b32_e32 v9, v16, v9
	v_cndmask_b32_e32 v3, v3, v4, vcc_lo
	v_cmp_lt_i16_e32 vcc_lo, v19, v23
	v_or_b32_e32 v5, v20, v5
	v_and_b32_e32 v4, 0xffff, v8
	v_lshlrev_b32_e32 v7, 16, v9
	v_and_or_b32 v6, 0xffff0000, v3, v6
	v_min_i16 v9, v12, v10
	v_lshlrev_b32_e32 v5, 16, v5
	v_cmp_lt_i16_e64 s0, v11, v17
	v_and_or_b32 v7, 0xffff, v2, v7
	v_cndmask_b32_e32 v3, v3, v6, vcc_lo
	v_cmp_lt_i16_e32 vcc_lo, v12, v10
	v_and_b32_e32 v6, 0xff, v9
	v_max_i16 v8, v19, v23
	v_min_i16 v16, v11, v17
	v_and_or_b32 v5, 0xffff, v3, v5
	v_cndmask_b32_e32 v2, v2, v7, vcc_lo
	v_or_b32_e32 v6, v6, v21
	v_max_i16 v7, v11, v17
	v_lshlrev_b16 v11, 8, v16
	v_cndmask_b32_e64 v3, v3, v5, s0
	v_and_or_b32 v4, 0xffff0000, v2, v4
	v_cmp_lt_i16_e64 s0, v14, v18
	v_lshlrev_b32_e32 v5, 16, v6
	s_delay_alu instid0(VALU_DEP_4) | instskip(SKIP_1) | instid1(VALU_DEP_4)
	v_perm_b32 v6, v10, v3, 0x3020104
	v_max_i16 v10, v12, v10
	v_cndmask_b32_e64 v2, v2, v4, s0
	v_and_b32_e32 v4, 0xff, v8
	v_cndmask_b32_e64 v15, v15, v18, s0
	v_cndmask_b32_e32 v3, v3, v6, vcc_lo
	v_cmp_lt_i16_e32 vcc_lo, v9, v13
	v_and_or_b32 v5, 0xffff, v2, v5
	v_min_i16 v6, v9, v13
	v_and_b32_e32 v20, 0xff, v15
	v_lshrrev_b32_e32 v14, 16, v3
	s_delay_alu instid0(VALU_DEP_4) | instskip(SKIP_2) | instid1(VALU_DEP_4)
	v_dual_cndmask_b32 v2, v2, v5 :: v_dual_and_b32 v19, 0xff, v3
	v_min_i16 v5, v16, v8
	v_lshlrev_b16 v17, 8, v6
	v_and_b32_e32 v14, 0xffffff00, v14
	s_delay_alu instid0(VALU_DEP_4)
	v_or_b32_e32 v11, v19, v11
	v_lshrrev_b32_e32 v18, 16, v2
	v_and_b32_e32 v21, 0xff, v2
	v_and_b32_e32 v22, 0xff, v5
	v_or_b32_e32 v4, v4, v14
	v_and_b32_e32 v11, 0xffff, v11
	v_and_b32_e32 v18, 0xffffff00, v18
	v_or_b32_e32 v14, v21, v17
	v_max_i16 v12, v16, v8
	v_lshlrev_b32_e32 v4, 16, v4
	v_cmp_lt_i16_e32 vcc_lo, v16, v8
	v_or_b32_e32 v17, v20, v18
	v_lshlrev_b16 v18, 8, v10
	v_and_b32_e32 v14, 0xffff, v14
	v_or_b32_e32 v4, v11, v4
	v_and_b32_e32 v19, 0xff, v7
	v_lshlrev_b32_e32 v17, 16, v17
	v_or_b32_e32 v18, v22, v18
	v_lshlrev_b16 v11, 8, v12
	v_cndmask_b32_e32 v3, v3, v4, vcc_lo
	v_cmp_lt_i16_e32 vcc_lo, v6, v15
	v_or_b32_e32 v14, v14, v17
	v_and_b32_e32 v17, 0xffff, v18
	v_or_b32_e32 v6, v19, v11
	v_min_i16 v4, v5, v10
	v_max_i16 v9, v9, v13
	v_cndmask_b32_e32 v2, v2, v14, vcc_lo
	v_and_or_b32 v11, 0xffff0000, v3, v17
	v_cmp_lt_i16_e32 vcc_lo, v5, v10
	v_lshlrev_b32_e32 v6, 16, v6
	v_lshlrev_b16 v15, 8, v4
	v_lshrrev_b32_e32 v14, 16, v2
	v_cmp_lt_i16_e64 s0, v4, v9
	v_cndmask_b32_e32 v3, v3, v11, vcc_lo
	v_cmp_gt_i16_e32 vcc_lo, v8, v7
	v_mbcnt_lo_u32_b32 v4, -1, 0
	v_and_b32_e32 v11, 0xff, v14
	v_max_i16 v14, v5, v10
	v_and_or_b32 v6, 0xffff, v3, v6
	v_cndmask_b32_e32 v12, v12, v7, vcc_lo
	v_lshlrev_b32_e32 v4, 3, v4
	v_or_b32_e32 v11, v11, v15
	s_delay_alu instid0(VALU_DEP_4) | instskip(NEXT) | instid1(VALU_DEP_3)
	v_cndmask_b32_e32 v3, v3, v6, vcc_lo
	v_and_b32_e32 v7, 0x70, v4
	s_delay_alu instid0(VALU_DEP_3) | instskip(NEXT) | instid1(VALU_DEP_3)
	v_lshlrev_b32_e32 v6, 16, v11
	v_perm_b32 v8, v9, v3, 0x3020104
	s_delay_alu instid0(VALU_DEP_3) | instskip(NEXT) | instid1(VALU_DEP_3)
	v_add_nc_u32_e32 v5, 16, v7
	v_and_or_b32 v6, 0xffff, v2, v6
	s_delay_alu instid0(VALU_DEP_3) | instskip(SKIP_2) | instid1(VALU_DEP_4)
	v_cndmask_b32_e64 v13, v3, v8, s0
	v_and_b32_e32 v3, 0xff, v14
	v_lshlrev_b16 v8, 8, v12
	v_cndmask_b32_e64 v11, v2, v6, s0
	v_or_b32_e32 v6, 8, v7
	v_lshrrev_b32_e32 v2, 16, v13
	v_and_b32_e32 v9, 0xff, v13
	s_mov_b32 s0, 0
	s_delay_alu instid0(VALU_DEP_3) | instskip(NEXT) | instid1(VALU_DEP_3)
	v_sub_nc_u32_e32 v15, v5, v6
	v_and_b32_e32 v2, 0xffffff00, v2
	s_delay_alu instid0(VALU_DEP_3) | instskip(SKIP_2) | instid1(VALU_DEP_4)
	v_or_b32_e32 v9, v9, v8
	v_and_b32_e32 v8, 8, v4
	v_sub_nc_u32_e32 v16, v6, v7
	v_or_b32_e32 v3, v3, v2
	s_delay_alu instid0(VALU_DEP_4) | instskip(NEXT) | instid1(VALU_DEP_4)
	v_and_b32_e32 v9, 0xffff, v9
	v_sub_nc_u32_e32 v17, v8, v15
	v_cmp_ge_i32_e32 vcc_lo, v8, v15
	v_and_b32_e32 v2, 0x78, v4
	v_lshlrev_b32_e32 v10, 16, v3
	s_delay_alu instid0(VALU_DEP_2) | instskip(NEXT) | instid1(VALU_DEP_2)
	v_mad_u32_u24 v3, 0x81, v0, v2
	v_or_b32_e32 v18, v9, v10
	v_cndmask_b32_e32 v9, 0, v17, vcc_lo
	v_cmp_lt_i16_e32 vcc_lo, v12, v14
	v_min_i32_e32 v10, v8, v16
	v_mul_u32_u24_e32 v0, 0x81, v0
	v_cndmask_b32_e32 v12, v13, v18, vcc_lo
	ds_store_b64 v3, v[11:12]
	; wave barrier
	v_cmpx_lt_i32_e64 v9, v10
	s_cbranch_execz .LBB68_4
; %bb.1:
	v_add_nc_u32_e32 v11, v0, v7
	s_delay_alu instid0(VALU_DEP_1)
	v_add3_u32 v12, v11, v8, 8
	.p2align	6
.LBB68_2:                               ; =>This Inner Loop Header: Depth=1
	v_sub_nc_u32_e32 v13, v10, v9
	s_delay_alu instid0(VALU_DEP_1) | instskip(NEXT) | instid1(VALU_DEP_1)
	v_lshrrev_b32_e32 v14, 31, v13
	v_add_nc_u32_e32 v13, v13, v14
	s_delay_alu instid0(VALU_DEP_1) | instskip(NEXT) | instid1(VALU_DEP_1)
	v_ashrrev_i32_e32 v13, 1, v13
	v_add_nc_u32_e32 v13, v13, v9
	s_delay_alu instid0(VALU_DEP_1)
	v_add_nc_u32_e32 v14, v11, v13
	v_xad_u32 v15, v13, -1, v12
	v_add_nc_u32_e32 v16, 1, v13
	ds_load_i8 v14, v14
	ds_load_i8 v15, v15
	s_waitcnt lgkmcnt(0)
	v_cmp_lt_i16_e32 vcc_lo, v15, v14
	v_cndmask_b32_e32 v10, v10, v13, vcc_lo
	v_cndmask_b32_e32 v9, v16, v9, vcc_lo
	s_delay_alu instid0(VALU_DEP_1) | instskip(SKIP_1) | instid1(SALU_CYCLE_1)
	v_cmp_ge_i32_e32 vcc_lo, v9, v10
	s_or_b32 s0, vcc_lo, s0
	s_and_not1_b32 exec_lo, exec_lo, s0
	s_cbranch_execnz .LBB68_2
; %bb.3:
	s_or_b32 exec_lo, exec_lo, s0
.LBB68_4:
	s_delay_alu instid0(SALU_CYCLE_1) | instskip(SKIP_4) | instid1(VALU_DEP_4)
	s_or_b32 exec_lo, exec_lo, s1
	v_add_nc_u32_e32 v10, v7, v8
	v_add_nc_u32_e32 v11, v9, v7
	v_add_nc_u32_e32 v14, v6, v8
	v_cmp_lt_i32_e32 vcc_lo, 7, v9
	v_sub_nc_u32_e32 v7, v10, v9
	s_delay_alu instid0(VALU_DEP_4) | instskip(NEXT) | instid1(VALU_DEP_2)
	v_add_nc_u32_e32 v10, v0, v11
	v_add_nc_u32_e32 v13, v0, v7
	ds_load_u8 v7, v10
	ds_load_u8 v12, v13 offset:8
	s_waitcnt lgkmcnt(1)
	v_bfe_i32 v7, v7, 0, 8
	s_waitcnt lgkmcnt(0)
	v_bfe_i32 v8, v12, 0, 8
	v_sub_nc_u32_e32 v12, v14, v9
                                        ; implicit-def: $vgpr9
	s_delay_alu instid0(VALU_DEP_2) | instskip(NEXT) | instid1(VALU_DEP_2)
	v_cmp_lt_i16_e64 s0, v8, v7
	v_cmp_gt_i32_e64 s1, v5, v12
	s_delay_alu instid0(VALU_DEP_2)
	s_or_b32 s0, vcc_lo, s0
	s_delay_alu instid0(VALU_DEP_1) | instid1(SALU_CYCLE_1)
	s_and_b32 vcc_lo, s1, s0
	s_delay_alu instid0(SALU_CYCLE_1) | instskip(NEXT) | instid1(SALU_CYCLE_1)
	s_xor_b32 s0, vcc_lo, -1
	s_and_saveexec_b32 s1, s0
	s_delay_alu instid0(SALU_CYCLE_1)
	s_xor_b32 s0, exec_lo, s1
	s_cbranch_execz .LBB68_6
; %bb.5:
	ds_load_u8 v9, v10 offset:1
                                        ; implicit-def: $vgpr13
.LBB68_6:
	s_or_saveexec_b32 s0, s0
	v_mov_b32_e32 v10, v8
	s_xor_b32 exec_lo, exec_lo, s0
	s_cbranch_execz .LBB68_8
; %bb.7:
	ds_load_u8 v10, v13 offset:9
	s_waitcnt lgkmcnt(1)
	v_mov_b32_e32 v9, v7
.LBB68_8:
	s_or_b32 exec_lo, exec_lo, s0
	v_add_nc_u32_e32 v13, 1, v11
	v_add_nc_u32_e32 v15, 1, v12
	s_waitcnt lgkmcnt(0)
	v_bfe_i32 v16, v9, 0, 8
	s_delay_alu instid0(VALU_DEP_3) | instskip(SKIP_2) | instid1(VALU_DEP_3)
	v_cndmask_b32_e32 v14, v13, v11, vcc_lo
	v_bfe_i32 v11, v10, 0, 8
	v_cndmask_b32_e32 v13, v12, v15, vcc_lo
	v_cmp_ge_i32_e64 s0, v14, v6
	s_delay_alu instid0(VALU_DEP_3) | instskip(NEXT) | instid1(VALU_DEP_3)
	v_cmp_lt_i16_e64 s1, v11, v16
	v_cmp_lt_i32_e64 s2, v13, v5
                                        ; implicit-def: $vgpr11
	s_delay_alu instid0(VALU_DEP_2)
	s_or_b32 s0, s0, s1
	s_delay_alu instid0(VALU_DEP_1) | instid1(SALU_CYCLE_1)
	s_and_b32 s0, s2, s0
	s_delay_alu instid0(SALU_CYCLE_1) | instskip(NEXT) | instid1(SALU_CYCLE_1)
	s_xor_b32 s1, s0, -1
	s_and_saveexec_b32 s2, s1
	s_delay_alu instid0(SALU_CYCLE_1)
	s_xor_b32 s1, exec_lo, s2
	s_cbranch_execz .LBB68_10
; %bb.9:
	v_add_nc_u32_e32 v11, v0, v14
	ds_load_u8 v11, v11 offset:1
.LBB68_10:
	s_or_saveexec_b32 s1, s1
	v_mov_b32_e32 v12, v10
	s_xor_b32 exec_lo, exec_lo, s1
	s_cbranch_execz .LBB68_12
; %bb.11:
	s_waitcnt lgkmcnt(0)
	v_add_nc_u32_e32 v11, v0, v13
	ds_load_u8 v12, v11 offset:1
	v_mov_b32_e32 v11, v9
.LBB68_12:
	s_or_b32 exec_lo, exec_lo, s1
	v_add_nc_u32_e32 v15, 1, v14
	v_add_nc_u32_e32 v17, 1, v13
	s_waitcnt lgkmcnt(0)
	v_bfe_i32 v18, v11, 0, 8
	s_delay_alu instid0(VALU_DEP_3) | instskip(SKIP_2) | instid1(VALU_DEP_3)
	v_cndmask_b32_e64 v16, v15, v14, s0
	v_bfe_i32 v14, v12, 0, 8
	v_cndmask_b32_e64 v15, v13, v17, s0
                                        ; implicit-def: $vgpr13
	v_cmp_ge_i32_e64 s1, v16, v6
	s_delay_alu instid0(VALU_DEP_3) | instskip(NEXT) | instid1(VALU_DEP_3)
	v_cmp_lt_i16_e64 s2, v14, v18
	v_cmp_lt_i32_e64 s3, v15, v5
	s_delay_alu instid0(VALU_DEP_2)
	s_or_b32 s1, s1, s2
	s_delay_alu instid0(VALU_DEP_1) | instid1(SALU_CYCLE_1)
	s_and_b32 s1, s3, s1
	s_delay_alu instid0(SALU_CYCLE_1) | instskip(NEXT) | instid1(SALU_CYCLE_1)
	s_xor_b32 s2, s1, -1
	s_and_saveexec_b32 s3, s2
	s_delay_alu instid0(SALU_CYCLE_1)
	s_xor_b32 s2, exec_lo, s3
	s_cbranch_execz .LBB68_14
; %bb.13:
	v_add_nc_u32_e32 v13, v0, v16
	ds_load_u8 v13, v13 offset:1
.LBB68_14:
	s_or_saveexec_b32 s2, s2
	v_mov_b32_e32 v14, v12
	s_xor_b32 exec_lo, exec_lo, s2
	s_cbranch_execz .LBB68_16
; %bb.15:
	s_waitcnt lgkmcnt(0)
	v_add_nc_u32_e32 v13, v0, v15
	ds_load_u8 v14, v13 offset:1
	v_mov_b32_e32 v13, v11
.LBB68_16:
	s_or_b32 exec_lo, exec_lo, s2
	v_add_nc_u32_e32 v17, 1, v16
	v_add_nc_u32_e32 v19, 1, v15
	s_waitcnt lgkmcnt(0)
	v_bfe_i32 v20, v13, 0, 8
	s_delay_alu instid0(VALU_DEP_3) | instskip(SKIP_2) | instid1(VALU_DEP_3)
	v_cndmask_b32_e64 v18, v17, v16, s1
	v_bfe_i32 v16, v14, 0, 8
	v_cndmask_b32_e64 v17, v15, v19, s1
                                        ; implicit-def: $vgpr15
	v_cmp_ge_i32_e64 s2, v18, v6
	s_delay_alu instid0(VALU_DEP_3) | instskip(NEXT) | instid1(VALU_DEP_3)
	v_cmp_lt_i16_e64 s3, v16, v20
	v_cmp_lt_i32_e64 s4, v17, v5
	s_delay_alu instid0(VALU_DEP_2)
	s_or_b32 s2, s2, s3
	s_delay_alu instid0(VALU_DEP_1) | instid1(SALU_CYCLE_1)
	s_and_b32 s2, s4, s2
	s_delay_alu instid0(SALU_CYCLE_1) | instskip(NEXT) | instid1(SALU_CYCLE_1)
	s_xor_b32 s3, s2, -1
	s_and_saveexec_b32 s4, s3
	s_delay_alu instid0(SALU_CYCLE_1)
	s_xor_b32 s3, exec_lo, s4
	s_cbranch_execz .LBB68_18
; %bb.17:
	v_add_nc_u32_e32 v15, v0, v18
	ds_load_u8 v15, v15 offset:1
.LBB68_18:
	s_or_saveexec_b32 s3, s3
	v_mov_b32_e32 v16, v14
	s_xor_b32 exec_lo, exec_lo, s3
	s_cbranch_execz .LBB68_20
; %bb.19:
	s_waitcnt lgkmcnt(0)
	v_add_nc_u32_e32 v15, v0, v17
	ds_load_u8 v16, v15 offset:1
	v_mov_b32_e32 v15, v13
.LBB68_20:
	s_or_b32 exec_lo, exec_lo, s3
	v_add_nc_u32_e32 v19, 1, v18
	v_add_nc_u32_e32 v21, 1, v17
	s_waitcnt lgkmcnt(0)
	v_bfe_i32 v22, v15, 0, 8
	s_delay_alu instid0(VALU_DEP_3) | instskip(SKIP_2) | instid1(VALU_DEP_3)
	v_cndmask_b32_e64 v20, v19, v18, s2
	v_bfe_i32 v18, v16, 0, 8
	v_cndmask_b32_e64 v19, v17, v21, s2
                                        ; implicit-def: $vgpr17
	v_cmp_ge_i32_e64 s3, v20, v6
	s_delay_alu instid0(VALU_DEP_3) | instskip(NEXT) | instid1(VALU_DEP_3)
	v_cmp_lt_i16_e64 s4, v18, v22
	v_cmp_lt_i32_e64 s5, v19, v5
	s_delay_alu instid0(VALU_DEP_2)
	s_or_b32 s3, s3, s4
	s_delay_alu instid0(VALU_DEP_1) | instid1(SALU_CYCLE_1)
	s_and_b32 s3, s5, s3
	s_delay_alu instid0(SALU_CYCLE_1) | instskip(NEXT) | instid1(SALU_CYCLE_1)
	s_xor_b32 s4, s3, -1
	s_and_saveexec_b32 s5, s4
	s_delay_alu instid0(SALU_CYCLE_1)
	s_xor_b32 s4, exec_lo, s5
	s_cbranch_execz .LBB68_22
; %bb.21:
	v_add_nc_u32_e32 v17, v0, v20
	ds_load_u8 v17, v17 offset:1
.LBB68_22:
	s_or_saveexec_b32 s4, s4
	v_mov_b32_e32 v18, v16
	s_xor_b32 exec_lo, exec_lo, s4
	s_cbranch_execz .LBB68_24
; %bb.23:
	s_waitcnt lgkmcnt(0)
	v_add_nc_u32_e32 v17, v0, v19
	ds_load_u8 v18, v17 offset:1
	v_mov_b32_e32 v17, v15
.LBB68_24:
	s_or_b32 exec_lo, exec_lo, s4
	v_add_nc_u32_e32 v21, 1, v20
	v_add_nc_u32_e32 v23, 1, v19
	s_waitcnt lgkmcnt(0)
	v_bfe_i32 v24, v17, 0, 8
	s_delay_alu instid0(VALU_DEP_3) | instskip(SKIP_2) | instid1(VALU_DEP_3)
	v_cndmask_b32_e64 v22, v21, v20, s3
	v_bfe_i32 v21, v18, 0, 8
	v_cndmask_b32_e64 v20, v19, v23, s3
                                        ; implicit-def: $vgpr19
	v_cmp_ge_i32_e64 s4, v22, v6
	s_delay_alu instid0(VALU_DEP_3) | instskip(NEXT) | instid1(VALU_DEP_3)
	v_cmp_lt_i16_e64 s5, v21, v24
	v_cmp_lt_i32_e64 s6, v20, v5
	s_delay_alu instid0(VALU_DEP_2)
	s_or_b32 s4, s4, s5
	s_delay_alu instid0(VALU_DEP_1) | instid1(SALU_CYCLE_1)
	s_and_b32 s4, s6, s4
	s_delay_alu instid0(SALU_CYCLE_1) | instskip(NEXT) | instid1(SALU_CYCLE_1)
	s_xor_b32 s5, s4, -1
	s_and_saveexec_b32 s6, s5
	s_delay_alu instid0(SALU_CYCLE_1)
	s_xor_b32 s5, exec_lo, s6
	s_cbranch_execz .LBB68_26
; %bb.25:
	v_add_nc_u32_e32 v19, v0, v22
	ds_load_u8 v19, v19 offset:1
.LBB68_26:
	s_or_saveexec_b32 s5, s5
	v_mov_b32_e32 v21, v18
	s_xor_b32 exec_lo, exec_lo, s5
	s_cbranch_execz .LBB68_28
; %bb.27:
	s_waitcnt lgkmcnt(0)
	v_add_nc_u32_e32 v19, v0, v20
	ds_load_u8 v21, v19 offset:1
	v_mov_b32_e32 v19, v17
.LBB68_28:
	s_or_b32 exec_lo, exec_lo, s5
	v_add_nc_u32_e32 v23, 1, v22
	v_add_nc_u32_e32 v24, 1, v20
	s_waitcnt lgkmcnt(0)
	v_bfe_i32 v25, v19, 0, 8
	v_bfe_i32 v26, v21, 0, 8
	v_cndmask_b32_e64 v23, v23, v22, s4
	v_cndmask_b32_e64 v22, v20, v24, s4
                                        ; implicit-def: $vgpr20
	s_delay_alu instid0(VALU_DEP_3) | instskip(NEXT) | instid1(VALU_DEP_3)
	v_cmp_lt_i16_e64 s6, v26, v25
	v_cmp_ge_i32_e64 s5, v23, v6
	s_delay_alu instid0(VALU_DEP_3) | instskip(NEXT) | instid1(VALU_DEP_2)
	v_cmp_lt_i32_e64 s7, v22, v5
	s_or_b32 s5, s5, s6
	s_delay_alu instid0(VALU_DEP_1) | instid1(SALU_CYCLE_1)
	s_and_b32 s5, s7, s5
	s_delay_alu instid0(SALU_CYCLE_1) | instskip(NEXT) | instid1(SALU_CYCLE_1)
	s_xor_b32 s6, s5, -1
	s_and_saveexec_b32 s7, s6
	s_delay_alu instid0(SALU_CYCLE_1)
	s_xor_b32 s6, exec_lo, s7
	s_cbranch_execz .LBB68_30
; %bb.29:
	v_add_nc_u32_e32 v20, v0, v23
	ds_load_u8 v20, v20 offset:1
.LBB68_30:
	s_or_saveexec_b32 s6, s6
	v_mov_b32_e32 v24, v21
	s_xor_b32 exec_lo, exec_lo, s6
	s_cbranch_execz .LBB68_32
; %bb.31:
	s_waitcnt lgkmcnt(0)
	v_add_nc_u32_e32 v20, v0, v22
	ds_load_u8 v24, v20 offset:1
	v_mov_b32_e32 v20, v19
.LBB68_32:
	s_or_b32 exec_lo, exec_lo, s6
	v_add_nc_u32_e32 v25, 1, v23
	v_cndmask_b32_e64 v19, v19, v21, s5
	v_add_nc_u32_e32 v21, 1, v22
	v_cndmask_b32_e64 v17, v17, v18, s4
	s_waitcnt lgkmcnt(0)
	v_bfe_i32 v18, v20, 0, 8
	v_cndmask_b32_e64 v23, v25, v23, s5
	v_bfe_i32 v25, v24, 0, 8
	v_cndmask_b32_e64 v13, v13, v14, s2
	v_cndmask_b32_e64 v14, v22, v21, s5
	;; [unrolled: 1-line block ×3, first 2 shown]
	v_cmp_ge_i32_e64 s2, v23, v6
	v_cmp_lt_i16_e64 s3, v25, v18
	v_cndmask_b32_e32 v7, v7, v8, vcc_lo
	v_cmp_lt_i32_e32 vcc_lo, v14, v5
	v_cndmask_b32_e64 v6, v9, v10, s0
	v_cndmask_b32_e64 v8, v11, v12, s1
	v_and_b32_e32 v12, 0xff, v15
	s_or_b32 s0, s2, s3
	v_lshlrev_b16 v9, 8, v13
	s_and_b32 vcc_lo, vcc_lo, s0
	v_lshlrev_b16 v5, 8, v6
	v_and_b32_e32 v6, 0xff, v7
	v_and_b32_e32 v8, 0xff, v8
	v_cndmask_b32_e32 v10, v20, v24, vcc_lo
	v_and_b32_e32 v7, 0x60, v4
	v_and_b32_e32 v13, 0xff, v19
	v_or_b32_e32 v11, v6, v5
	v_or_b32_e32 v9, v8, v9
	v_lshlrev_b16 v8, 8, v17
	v_or_b32_e32 v6, 16, v7
	v_add_nc_u32_e32 v5, 32, v7
	v_lshlrev_b16 v10, 8, v10
	v_and_b32_e32 v11, 0xffff, v11
	v_or_b32_e32 v12, v12, v8
	v_and_b32_e32 v8, 24, v4
	v_sub_nc_u32_e32 v14, v5, v6
	v_or_b32_e32 v10, v13, v10
	v_lshlrev_b32_e32 v9, 16, v9
	v_and_b32_e32 v12, 0xffff, v12
	v_sub_nc_u32_e32 v15, v6, v7
	v_sub_nc_u32_e32 v13, v8, v14
	v_lshlrev_b32_e32 v16, 16, v10
	v_cmp_ge_i32_e32 vcc_lo, v8, v14
	v_or_b32_e32 v11, v11, v9
	v_min_i32_e32 v10, v8, v15
	s_mov_b32 s1, 0
	v_or_b32_e32 v12, v12, v16
	v_cndmask_b32_e32 v9, 0, v13, vcc_lo
	s_mov_b32 s0, exec_lo
	; wave barrier
	ds_store_b64 v3, v[11:12]
	; wave barrier
	v_cmpx_lt_i32_e64 v9, v10
	s_cbranch_execz .LBB68_36
; %bb.33:
	v_add_nc_u32_e32 v11, v0, v7
	s_delay_alu instid0(VALU_DEP_1)
	v_add3_u32 v12, v11, v8, 16
	.p2align	6
.LBB68_34:                              ; =>This Inner Loop Header: Depth=1
	v_sub_nc_u32_e32 v13, v10, v9
	s_delay_alu instid0(VALU_DEP_1) | instskip(NEXT) | instid1(VALU_DEP_1)
	v_lshrrev_b32_e32 v14, 31, v13
	v_add_nc_u32_e32 v13, v13, v14
	s_delay_alu instid0(VALU_DEP_1) | instskip(NEXT) | instid1(VALU_DEP_1)
	v_ashrrev_i32_e32 v13, 1, v13
	v_add_nc_u32_e32 v13, v13, v9
	s_delay_alu instid0(VALU_DEP_1)
	v_add_nc_u32_e32 v14, v11, v13
	v_xad_u32 v15, v13, -1, v12
	v_add_nc_u32_e32 v16, 1, v13
	ds_load_i8 v14, v14
	ds_load_i8 v15, v15
	s_waitcnt lgkmcnt(0)
	v_cmp_lt_i16_e32 vcc_lo, v15, v14
	v_cndmask_b32_e32 v10, v10, v13, vcc_lo
	v_cndmask_b32_e32 v9, v16, v9, vcc_lo
	s_delay_alu instid0(VALU_DEP_1) | instskip(SKIP_1) | instid1(SALU_CYCLE_1)
	v_cmp_ge_i32_e32 vcc_lo, v9, v10
	s_or_b32 s1, vcc_lo, s1
	s_and_not1_b32 exec_lo, exec_lo, s1
	s_cbranch_execnz .LBB68_34
; %bb.35:
	s_or_b32 exec_lo, exec_lo, s1
.LBB68_36:
	s_delay_alu instid0(SALU_CYCLE_1) | instskip(SKIP_4) | instid1(VALU_DEP_4)
	s_or_b32 exec_lo, exec_lo, s0
	v_add_nc_u32_e32 v10, v7, v8
	v_add_nc_u32_e32 v11, v9, v7
	;; [unrolled: 1-line block ×3, first 2 shown]
	v_cmp_lt_i32_e32 vcc_lo, 15, v9
	v_sub_nc_u32_e32 v7, v10, v9
	s_delay_alu instid0(VALU_DEP_4) | instskip(NEXT) | instid1(VALU_DEP_2)
	v_add_nc_u32_e32 v10, v0, v11
	v_add_nc_u32_e32 v13, v0, v7
	ds_load_u8 v7, v10
	ds_load_u8 v12, v13 offset:16
	s_waitcnt lgkmcnt(1)
	v_bfe_i32 v7, v7, 0, 8
	s_waitcnt lgkmcnt(0)
	v_bfe_i32 v8, v12, 0, 8
	v_sub_nc_u32_e32 v12, v14, v9
                                        ; implicit-def: $vgpr9
	s_delay_alu instid0(VALU_DEP_2) | instskip(NEXT) | instid1(VALU_DEP_2)
	v_cmp_lt_i16_e64 s0, v8, v7
	v_cmp_gt_i32_e64 s1, v5, v12
	s_delay_alu instid0(VALU_DEP_2)
	s_or_b32 s0, vcc_lo, s0
	s_delay_alu instid0(VALU_DEP_1) | instid1(SALU_CYCLE_1)
	s_and_b32 vcc_lo, s1, s0
	s_delay_alu instid0(SALU_CYCLE_1) | instskip(NEXT) | instid1(SALU_CYCLE_1)
	s_xor_b32 s0, vcc_lo, -1
	s_and_saveexec_b32 s1, s0
	s_delay_alu instid0(SALU_CYCLE_1)
	s_xor_b32 s0, exec_lo, s1
	s_cbranch_execz .LBB68_38
; %bb.37:
	ds_load_u8 v9, v10 offset:1
                                        ; implicit-def: $vgpr13
.LBB68_38:
	s_or_saveexec_b32 s0, s0
	v_mov_b32_e32 v10, v8
	s_xor_b32 exec_lo, exec_lo, s0
	s_cbranch_execz .LBB68_40
; %bb.39:
	ds_load_u8 v10, v13 offset:17
	s_waitcnt lgkmcnt(1)
	v_mov_b32_e32 v9, v7
.LBB68_40:
	s_or_b32 exec_lo, exec_lo, s0
	v_add_nc_u32_e32 v13, 1, v11
	v_add_nc_u32_e32 v15, 1, v12
	s_waitcnt lgkmcnt(0)
	v_bfe_i32 v16, v9, 0, 8
	s_delay_alu instid0(VALU_DEP_3) | instskip(SKIP_2) | instid1(VALU_DEP_3)
	v_cndmask_b32_e32 v14, v13, v11, vcc_lo
	v_bfe_i32 v11, v10, 0, 8
	v_cndmask_b32_e32 v13, v12, v15, vcc_lo
	v_cmp_ge_i32_e64 s0, v14, v6
	s_delay_alu instid0(VALU_DEP_3) | instskip(NEXT) | instid1(VALU_DEP_3)
	v_cmp_lt_i16_e64 s1, v11, v16
	v_cmp_lt_i32_e64 s2, v13, v5
                                        ; implicit-def: $vgpr11
	s_delay_alu instid0(VALU_DEP_2)
	s_or_b32 s0, s0, s1
	s_delay_alu instid0(VALU_DEP_1) | instid1(SALU_CYCLE_1)
	s_and_b32 s0, s2, s0
	s_delay_alu instid0(SALU_CYCLE_1) | instskip(NEXT) | instid1(SALU_CYCLE_1)
	s_xor_b32 s1, s0, -1
	s_and_saveexec_b32 s2, s1
	s_delay_alu instid0(SALU_CYCLE_1)
	s_xor_b32 s1, exec_lo, s2
	s_cbranch_execz .LBB68_42
; %bb.41:
	v_add_nc_u32_e32 v11, v0, v14
	ds_load_u8 v11, v11 offset:1
.LBB68_42:
	s_or_saveexec_b32 s1, s1
	v_mov_b32_e32 v12, v10
	s_xor_b32 exec_lo, exec_lo, s1
	s_cbranch_execz .LBB68_44
; %bb.43:
	s_waitcnt lgkmcnt(0)
	v_add_nc_u32_e32 v11, v0, v13
	ds_load_u8 v12, v11 offset:1
	v_mov_b32_e32 v11, v9
.LBB68_44:
	s_or_b32 exec_lo, exec_lo, s1
	v_add_nc_u32_e32 v15, 1, v14
	v_add_nc_u32_e32 v17, 1, v13
	s_waitcnt lgkmcnt(0)
	v_bfe_i32 v18, v11, 0, 8
	s_delay_alu instid0(VALU_DEP_3) | instskip(SKIP_2) | instid1(VALU_DEP_3)
	v_cndmask_b32_e64 v16, v15, v14, s0
	v_bfe_i32 v14, v12, 0, 8
	v_cndmask_b32_e64 v15, v13, v17, s0
                                        ; implicit-def: $vgpr13
	v_cmp_ge_i32_e64 s1, v16, v6
	s_delay_alu instid0(VALU_DEP_3) | instskip(NEXT) | instid1(VALU_DEP_3)
	v_cmp_lt_i16_e64 s2, v14, v18
	v_cmp_lt_i32_e64 s3, v15, v5
	s_delay_alu instid0(VALU_DEP_2)
	s_or_b32 s1, s1, s2
	s_delay_alu instid0(VALU_DEP_1) | instid1(SALU_CYCLE_1)
	s_and_b32 s1, s3, s1
	s_delay_alu instid0(SALU_CYCLE_1) | instskip(NEXT) | instid1(SALU_CYCLE_1)
	s_xor_b32 s2, s1, -1
	s_and_saveexec_b32 s3, s2
	s_delay_alu instid0(SALU_CYCLE_1)
	s_xor_b32 s2, exec_lo, s3
	s_cbranch_execz .LBB68_46
; %bb.45:
	v_add_nc_u32_e32 v13, v0, v16
	ds_load_u8 v13, v13 offset:1
.LBB68_46:
	s_or_saveexec_b32 s2, s2
	v_mov_b32_e32 v14, v12
	s_xor_b32 exec_lo, exec_lo, s2
	s_cbranch_execz .LBB68_48
; %bb.47:
	s_waitcnt lgkmcnt(0)
	v_add_nc_u32_e32 v13, v0, v15
	ds_load_u8 v14, v13 offset:1
	v_mov_b32_e32 v13, v11
.LBB68_48:
	s_or_b32 exec_lo, exec_lo, s2
	v_add_nc_u32_e32 v17, 1, v16
	v_add_nc_u32_e32 v19, 1, v15
	s_waitcnt lgkmcnt(0)
	v_bfe_i32 v20, v13, 0, 8
	s_delay_alu instid0(VALU_DEP_3) | instskip(SKIP_2) | instid1(VALU_DEP_3)
	v_cndmask_b32_e64 v18, v17, v16, s1
	v_bfe_i32 v16, v14, 0, 8
	v_cndmask_b32_e64 v17, v15, v19, s1
                                        ; implicit-def: $vgpr15
	v_cmp_ge_i32_e64 s2, v18, v6
	s_delay_alu instid0(VALU_DEP_3) | instskip(NEXT) | instid1(VALU_DEP_3)
	v_cmp_lt_i16_e64 s3, v16, v20
	v_cmp_lt_i32_e64 s4, v17, v5
	s_delay_alu instid0(VALU_DEP_2)
	s_or_b32 s2, s2, s3
	s_delay_alu instid0(VALU_DEP_1) | instid1(SALU_CYCLE_1)
	s_and_b32 s2, s4, s2
	s_delay_alu instid0(SALU_CYCLE_1) | instskip(NEXT) | instid1(SALU_CYCLE_1)
	s_xor_b32 s3, s2, -1
	s_and_saveexec_b32 s4, s3
	s_delay_alu instid0(SALU_CYCLE_1)
	s_xor_b32 s3, exec_lo, s4
	s_cbranch_execz .LBB68_50
; %bb.49:
	v_add_nc_u32_e32 v15, v0, v18
	ds_load_u8 v15, v15 offset:1
.LBB68_50:
	s_or_saveexec_b32 s3, s3
	v_mov_b32_e32 v16, v14
	s_xor_b32 exec_lo, exec_lo, s3
	s_cbranch_execz .LBB68_52
; %bb.51:
	s_waitcnt lgkmcnt(0)
	v_add_nc_u32_e32 v15, v0, v17
	ds_load_u8 v16, v15 offset:1
	v_mov_b32_e32 v15, v13
.LBB68_52:
	s_or_b32 exec_lo, exec_lo, s3
	v_add_nc_u32_e32 v19, 1, v18
	v_add_nc_u32_e32 v21, 1, v17
	s_waitcnt lgkmcnt(0)
	v_bfe_i32 v22, v15, 0, 8
	s_delay_alu instid0(VALU_DEP_3) | instskip(SKIP_2) | instid1(VALU_DEP_3)
	v_cndmask_b32_e64 v20, v19, v18, s2
	v_bfe_i32 v18, v16, 0, 8
	v_cndmask_b32_e64 v19, v17, v21, s2
                                        ; implicit-def: $vgpr17
	v_cmp_ge_i32_e64 s3, v20, v6
	s_delay_alu instid0(VALU_DEP_3) | instskip(NEXT) | instid1(VALU_DEP_3)
	v_cmp_lt_i16_e64 s4, v18, v22
	v_cmp_lt_i32_e64 s5, v19, v5
	s_delay_alu instid0(VALU_DEP_2)
	s_or_b32 s3, s3, s4
	s_delay_alu instid0(VALU_DEP_1) | instid1(SALU_CYCLE_1)
	s_and_b32 s3, s5, s3
	s_delay_alu instid0(SALU_CYCLE_1) | instskip(NEXT) | instid1(SALU_CYCLE_1)
	s_xor_b32 s4, s3, -1
	s_and_saveexec_b32 s5, s4
	s_delay_alu instid0(SALU_CYCLE_1)
	s_xor_b32 s4, exec_lo, s5
	s_cbranch_execz .LBB68_54
; %bb.53:
	v_add_nc_u32_e32 v17, v0, v20
	ds_load_u8 v17, v17 offset:1
.LBB68_54:
	s_or_saveexec_b32 s4, s4
	v_mov_b32_e32 v18, v16
	s_xor_b32 exec_lo, exec_lo, s4
	s_cbranch_execz .LBB68_56
; %bb.55:
	s_waitcnt lgkmcnt(0)
	v_add_nc_u32_e32 v17, v0, v19
	ds_load_u8 v18, v17 offset:1
	v_mov_b32_e32 v17, v15
.LBB68_56:
	s_or_b32 exec_lo, exec_lo, s4
	v_add_nc_u32_e32 v21, 1, v20
	v_add_nc_u32_e32 v23, 1, v19
	s_waitcnt lgkmcnt(0)
	v_bfe_i32 v24, v17, 0, 8
	s_delay_alu instid0(VALU_DEP_3) | instskip(SKIP_2) | instid1(VALU_DEP_3)
	v_cndmask_b32_e64 v22, v21, v20, s3
	v_bfe_i32 v21, v18, 0, 8
	v_cndmask_b32_e64 v20, v19, v23, s3
                                        ; implicit-def: $vgpr19
	v_cmp_ge_i32_e64 s4, v22, v6
	s_delay_alu instid0(VALU_DEP_3) | instskip(NEXT) | instid1(VALU_DEP_3)
	v_cmp_lt_i16_e64 s5, v21, v24
	v_cmp_lt_i32_e64 s6, v20, v5
	s_delay_alu instid0(VALU_DEP_2)
	s_or_b32 s4, s4, s5
	s_delay_alu instid0(VALU_DEP_1) | instid1(SALU_CYCLE_1)
	s_and_b32 s4, s6, s4
	s_delay_alu instid0(SALU_CYCLE_1) | instskip(NEXT) | instid1(SALU_CYCLE_1)
	s_xor_b32 s5, s4, -1
	s_and_saveexec_b32 s6, s5
	s_delay_alu instid0(SALU_CYCLE_1)
	s_xor_b32 s5, exec_lo, s6
	s_cbranch_execz .LBB68_58
; %bb.57:
	v_add_nc_u32_e32 v19, v0, v22
	ds_load_u8 v19, v19 offset:1
.LBB68_58:
	s_or_saveexec_b32 s5, s5
	v_mov_b32_e32 v21, v18
	s_xor_b32 exec_lo, exec_lo, s5
	s_cbranch_execz .LBB68_60
; %bb.59:
	s_waitcnt lgkmcnt(0)
	v_add_nc_u32_e32 v19, v0, v20
	ds_load_u8 v21, v19 offset:1
	v_mov_b32_e32 v19, v17
.LBB68_60:
	s_or_b32 exec_lo, exec_lo, s5
	v_add_nc_u32_e32 v23, 1, v22
	v_add_nc_u32_e32 v24, 1, v20
	s_waitcnt lgkmcnt(0)
	v_bfe_i32 v25, v19, 0, 8
	v_bfe_i32 v26, v21, 0, 8
	v_cndmask_b32_e64 v23, v23, v22, s4
	v_cndmask_b32_e64 v22, v20, v24, s4
                                        ; implicit-def: $vgpr20
	s_delay_alu instid0(VALU_DEP_3) | instskip(NEXT) | instid1(VALU_DEP_3)
	v_cmp_lt_i16_e64 s6, v26, v25
	v_cmp_ge_i32_e64 s5, v23, v6
	s_delay_alu instid0(VALU_DEP_3) | instskip(NEXT) | instid1(VALU_DEP_2)
	v_cmp_lt_i32_e64 s7, v22, v5
	s_or_b32 s5, s5, s6
	s_delay_alu instid0(VALU_DEP_1) | instid1(SALU_CYCLE_1)
	s_and_b32 s5, s7, s5
	s_delay_alu instid0(SALU_CYCLE_1) | instskip(NEXT) | instid1(SALU_CYCLE_1)
	s_xor_b32 s6, s5, -1
	s_and_saveexec_b32 s7, s6
	s_delay_alu instid0(SALU_CYCLE_1)
	s_xor_b32 s6, exec_lo, s7
	s_cbranch_execz .LBB68_62
; %bb.61:
	v_add_nc_u32_e32 v20, v0, v23
	ds_load_u8 v20, v20 offset:1
.LBB68_62:
	s_or_saveexec_b32 s6, s6
	v_mov_b32_e32 v24, v21
	s_xor_b32 exec_lo, exec_lo, s6
	s_cbranch_execz .LBB68_64
; %bb.63:
	s_waitcnt lgkmcnt(0)
	v_add_nc_u32_e32 v20, v0, v22
	ds_load_u8 v24, v20 offset:1
	v_mov_b32_e32 v20, v19
.LBB68_64:
	s_or_b32 exec_lo, exec_lo, s6
	v_add_nc_u32_e32 v25, 1, v23
	v_cndmask_b32_e64 v19, v19, v21, s5
	v_add_nc_u32_e32 v21, 1, v22
	v_cndmask_b32_e64 v17, v17, v18, s4
	s_waitcnt lgkmcnt(0)
	v_bfe_i32 v18, v20, 0, 8
	v_cndmask_b32_e64 v23, v25, v23, s5
	v_bfe_i32 v25, v24, 0, 8
	v_cndmask_b32_e64 v13, v13, v14, s2
	v_cndmask_b32_e64 v14, v22, v21, s5
	;; [unrolled: 1-line block ×3, first 2 shown]
	v_cmp_ge_i32_e64 s2, v23, v6
	v_cmp_lt_i16_e64 s3, v25, v18
	v_cndmask_b32_e32 v7, v7, v8, vcc_lo
	v_cmp_lt_i32_e32 vcc_lo, v14, v5
	v_cndmask_b32_e64 v6, v9, v10, s0
	v_cndmask_b32_e64 v8, v11, v12, s1
	v_and_b32_e32 v12, 0xff, v15
	s_or_b32 s0, s2, s3
	v_lshlrev_b16 v9, 8, v13
	s_and_b32 vcc_lo, vcc_lo, s0
	v_lshlrev_b16 v5, 8, v6
	v_and_b32_e32 v6, 0xff, v7
	v_and_b32_e32 v8, 0xff, v8
	v_cndmask_b32_e32 v10, v20, v24, vcc_lo
	v_and_b32_e32 v7, 64, v4
	v_and_b32_e32 v13, 0xff, v19
	v_or_b32_e32 v11, v6, v5
	v_or_b32_e32 v8, v8, v9
	v_lshlrev_b16 v9, 8, v17
	v_or_b32_e32 v6, 32, v7
	v_add_nc_u32_e32 v5, 64, v7
	v_lshlrev_b16 v10, 8, v10
	v_and_b32_e32 v4, 56, v4
	v_or_b32_e32 v9, v12, v9
	v_and_b32_e32 v11, 0xffff, v11
	v_sub_nc_u32_e32 v12, v5, v6
	v_or_b32_e32 v10, v13, v10
	v_lshlrev_b32_e32 v8, 16, v8
	v_and_b32_e32 v13, 0xffff, v9
	v_sub_nc_u32_e32 v14, v6, v7
	v_sub_nc_u32_e32 v9, v4, v12
	v_lshlrev_b32_e32 v15, 16, v10
	v_cmp_ge_i32_e32 vcc_lo, v4, v12
	v_or_b32_e32 v10, v11, v8
	s_mov_b32 s1, 0
	s_mov_b32 s0, exec_lo
	v_or_b32_e32 v11, v13, v15
	v_cndmask_b32_e32 v8, 0, v9, vcc_lo
	v_min_i32_e32 v9, v4, v14
	; wave barrier
	ds_store_b64 v3, v[10:11]
	; wave barrier
	v_cmpx_lt_i32_e64 v8, v9
	s_cbranch_execz .LBB68_68
; %bb.65:
	v_add_nc_u32_e32 v10, v0, v7
	s_delay_alu instid0(VALU_DEP_1)
	v_add3_u32 v11, v10, v4, 32
	.p2align	6
.LBB68_66:                              ; =>This Inner Loop Header: Depth=1
	v_sub_nc_u32_e32 v12, v9, v8
	s_delay_alu instid0(VALU_DEP_1) | instskip(NEXT) | instid1(VALU_DEP_1)
	v_lshrrev_b32_e32 v13, 31, v12
	v_add_nc_u32_e32 v12, v12, v13
	s_delay_alu instid0(VALU_DEP_1) | instskip(NEXT) | instid1(VALU_DEP_1)
	v_ashrrev_i32_e32 v12, 1, v12
	v_add_nc_u32_e32 v12, v12, v8
	s_delay_alu instid0(VALU_DEP_1)
	v_add_nc_u32_e32 v13, v10, v12
	v_xad_u32 v14, v12, -1, v11
	v_add_nc_u32_e32 v15, 1, v12
	ds_load_i8 v13, v13
	ds_load_i8 v14, v14
	s_waitcnt lgkmcnt(0)
	v_cmp_lt_i16_e32 vcc_lo, v14, v13
	v_cndmask_b32_e32 v9, v9, v12, vcc_lo
	v_cndmask_b32_e32 v8, v15, v8, vcc_lo
	s_delay_alu instid0(VALU_DEP_1) | instskip(SKIP_1) | instid1(SALU_CYCLE_1)
	v_cmp_ge_i32_e32 vcc_lo, v8, v9
	s_or_b32 s1, vcc_lo, s1
	s_and_not1_b32 exec_lo, exec_lo, s1
	s_cbranch_execnz .LBB68_66
; %bb.67:
	s_or_b32 exec_lo, exec_lo, s1
.LBB68_68:
	s_delay_alu instid0(SALU_CYCLE_1) | instskip(SKIP_4) | instid1(VALU_DEP_4)
	s_or_b32 exec_lo, exec_lo, s0
	v_add_nc_u32_e32 v9, v7, v4
	v_add_nc_u32_e32 v10, v8, v7
	;; [unrolled: 1-line block ×3, first 2 shown]
	v_cmp_lt_i32_e32 vcc_lo, 31, v8
	v_sub_nc_u32_e32 v7, v9, v8
	s_delay_alu instid0(VALU_DEP_4) | instskip(NEXT) | instid1(VALU_DEP_2)
	v_add_nc_u32_e32 v9, v0, v10
	v_add_nc_u32_e32 v12, v0, v7
	ds_load_u8 v7, v9
	ds_load_u8 v11, v12 offset:32
	s_waitcnt lgkmcnt(1)
	v_bfe_i32 v4, v7, 0, 8
	s_waitcnt lgkmcnt(0)
	v_bfe_i32 v7, v11, 0, 8
	v_sub_nc_u32_e32 v11, v13, v8
                                        ; implicit-def: $vgpr8
	s_delay_alu instid0(VALU_DEP_2) | instskip(NEXT) | instid1(VALU_DEP_2)
	v_cmp_lt_i16_e64 s0, v7, v4
	v_cmp_gt_i32_e64 s1, v5, v11
	s_delay_alu instid0(VALU_DEP_2)
	s_or_b32 s0, vcc_lo, s0
	s_delay_alu instid0(VALU_DEP_1) | instid1(SALU_CYCLE_1)
	s_and_b32 vcc_lo, s1, s0
	s_delay_alu instid0(SALU_CYCLE_1) | instskip(NEXT) | instid1(SALU_CYCLE_1)
	s_xor_b32 s0, vcc_lo, -1
	s_and_saveexec_b32 s1, s0
	s_delay_alu instid0(SALU_CYCLE_1)
	s_xor_b32 s0, exec_lo, s1
	s_cbranch_execz .LBB68_70
; %bb.69:
	ds_load_u8 v8, v9 offset:1
                                        ; implicit-def: $vgpr12
.LBB68_70:
	s_or_saveexec_b32 s0, s0
	v_mov_b32_e32 v9, v7
	s_xor_b32 exec_lo, exec_lo, s0
	s_cbranch_execz .LBB68_72
; %bb.71:
	ds_load_u8 v9, v12 offset:33
	s_waitcnt lgkmcnt(1)
	v_mov_b32_e32 v8, v4
.LBB68_72:
	s_or_b32 exec_lo, exec_lo, s0
	v_add_nc_u32_e32 v12, 1, v10
	v_add_nc_u32_e32 v14, 1, v11
	s_waitcnt lgkmcnt(0)
	v_bfe_i32 v15, v8, 0, 8
	s_delay_alu instid0(VALU_DEP_3) | instskip(SKIP_2) | instid1(VALU_DEP_3)
	v_cndmask_b32_e32 v13, v12, v10, vcc_lo
	v_bfe_i32 v10, v9, 0, 8
	v_cndmask_b32_e32 v12, v11, v14, vcc_lo
	v_cmp_ge_i32_e64 s0, v13, v6
	s_delay_alu instid0(VALU_DEP_3) | instskip(NEXT) | instid1(VALU_DEP_3)
	v_cmp_lt_i16_e64 s1, v10, v15
	v_cmp_lt_i32_e64 s2, v12, v5
                                        ; implicit-def: $vgpr10
	s_delay_alu instid0(VALU_DEP_2)
	s_or_b32 s0, s0, s1
	s_delay_alu instid0(VALU_DEP_1) | instid1(SALU_CYCLE_1)
	s_and_b32 s0, s2, s0
	s_delay_alu instid0(SALU_CYCLE_1) | instskip(NEXT) | instid1(SALU_CYCLE_1)
	s_xor_b32 s1, s0, -1
	s_and_saveexec_b32 s2, s1
	s_delay_alu instid0(SALU_CYCLE_1)
	s_xor_b32 s1, exec_lo, s2
	s_cbranch_execz .LBB68_74
; %bb.73:
	v_add_nc_u32_e32 v10, v0, v13
	ds_load_u8 v10, v10 offset:1
.LBB68_74:
	s_or_saveexec_b32 s1, s1
	v_mov_b32_e32 v11, v9
	s_xor_b32 exec_lo, exec_lo, s1
	s_cbranch_execz .LBB68_76
; %bb.75:
	s_waitcnt lgkmcnt(0)
	v_add_nc_u32_e32 v10, v0, v12
	ds_load_u8 v11, v10 offset:1
	v_mov_b32_e32 v10, v8
.LBB68_76:
	s_or_b32 exec_lo, exec_lo, s1
	v_add_nc_u32_e32 v14, 1, v13
	v_add_nc_u32_e32 v16, 1, v12
	s_waitcnt lgkmcnt(0)
	v_bfe_i32 v17, v10, 0, 8
	s_delay_alu instid0(VALU_DEP_3) | instskip(SKIP_2) | instid1(VALU_DEP_3)
	v_cndmask_b32_e64 v15, v14, v13, s0
	v_bfe_i32 v13, v11, 0, 8
	v_cndmask_b32_e64 v14, v12, v16, s0
                                        ; implicit-def: $vgpr12
	v_cmp_ge_i32_e64 s1, v15, v6
	s_delay_alu instid0(VALU_DEP_3) | instskip(NEXT) | instid1(VALU_DEP_3)
	v_cmp_lt_i16_e64 s2, v13, v17
	v_cmp_lt_i32_e64 s3, v14, v5
	s_delay_alu instid0(VALU_DEP_2)
	s_or_b32 s1, s1, s2
	s_delay_alu instid0(VALU_DEP_1) | instid1(SALU_CYCLE_1)
	s_and_b32 s1, s3, s1
	s_delay_alu instid0(SALU_CYCLE_1) | instskip(NEXT) | instid1(SALU_CYCLE_1)
	s_xor_b32 s2, s1, -1
	s_and_saveexec_b32 s3, s2
	s_delay_alu instid0(SALU_CYCLE_1)
	s_xor_b32 s2, exec_lo, s3
	s_cbranch_execz .LBB68_78
; %bb.77:
	v_add_nc_u32_e32 v12, v0, v15
	ds_load_u8 v12, v12 offset:1
.LBB68_78:
	s_or_saveexec_b32 s2, s2
	v_mov_b32_e32 v13, v11
	s_xor_b32 exec_lo, exec_lo, s2
	s_cbranch_execz .LBB68_80
; %bb.79:
	s_waitcnt lgkmcnt(0)
	v_add_nc_u32_e32 v12, v0, v14
	ds_load_u8 v13, v12 offset:1
	v_mov_b32_e32 v12, v10
.LBB68_80:
	s_or_b32 exec_lo, exec_lo, s2
	v_add_nc_u32_e32 v16, 1, v15
	v_add_nc_u32_e32 v18, 1, v14
	s_waitcnt lgkmcnt(0)
	v_bfe_i32 v19, v12, 0, 8
	s_delay_alu instid0(VALU_DEP_3) | instskip(SKIP_2) | instid1(VALU_DEP_3)
	v_cndmask_b32_e64 v17, v16, v15, s1
	v_bfe_i32 v15, v13, 0, 8
	v_cndmask_b32_e64 v16, v14, v18, s1
                                        ; implicit-def: $vgpr14
	v_cmp_ge_i32_e64 s2, v17, v6
	s_delay_alu instid0(VALU_DEP_3) | instskip(NEXT) | instid1(VALU_DEP_3)
	v_cmp_lt_i16_e64 s3, v15, v19
	v_cmp_lt_i32_e64 s4, v16, v5
	s_delay_alu instid0(VALU_DEP_2)
	s_or_b32 s2, s2, s3
	s_delay_alu instid0(VALU_DEP_1) | instid1(SALU_CYCLE_1)
	s_and_b32 s2, s4, s2
	s_delay_alu instid0(SALU_CYCLE_1) | instskip(NEXT) | instid1(SALU_CYCLE_1)
	s_xor_b32 s3, s2, -1
	s_and_saveexec_b32 s4, s3
	s_delay_alu instid0(SALU_CYCLE_1)
	s_xor_b32 s3, exec_lo, s4
	s_cbranch_execz .LBB68_82
; %bb.81:
	v_add_nc_u32_e32 v14, v0, v17
	ds_load_u8 v14, v14 offset:1
.LBB68_82:
	s_or_saveexec_b32 s3, s3
	v_mov_b32_e32 v15, v13
	s_xor_b32 exec_lo, exec_lo, s3
	s_cbranch_execz .LBB68_84
; %bb.83:
	s_waitcnt lgkmcnt(0)
	v_add_nc_u32_e32 v14, v0, v16
	ds_load_u8 v15, v14 offset:1
	v_mov_b32_e32 v14, v12
.LBB68_84:
	s_or_b32 exec_lo, exec_lo, s3
	v_add_nc_u32_e32 v18, 1, v17
	v_add_nc_u32_e32 v20, 1, v16
	s_waitcnt lgkmcnt(0)
	v_bfe_i32 v21, v14, 0, 8
	s_delay_alu instid0(VALU_DEP_3) | instskip(SKIP_2) | instid1(VALU_DEP_3)
	v_cndmask_b32_e64 v19, v18, v17, s2
	v_bfe_i32 v17, v15, 0, 8
	v_cndmask_b32_e64 v18, v16, v20, s2
                                        ; implicit-def: $vgpr16
	v_cmp_ge_i32_e64 s3, v19, v6
	s_delay_alu instid0(VALU_DEP_3) | instskip(NEXT) | instid1(VALU_DEP_3)
	v_cmp_lt_i16_e64 s4, v17, v21
	v_cmp_lt_i32_e64 s5, v18, v5
	s_delay_alu instid0(VALU_DEP_2)
	s_or_b32 s3, s3, s4
	s_delay_alu instid0(VALU_DEP_1) | instid1(SALU_CYCLE_1)
	s_and_b32 s3, s5, s3
	s_delay_alu instid0(SALU_CYCLE_1) | instskip(NEXT) | instid1(SALU_CYCLE_1)
	s_xor_b32 s4, s3, -1
	s_and_saveexec_b32 s5, s4
	s_delay_alu instid0(SALU_CYCLE_1)
	s_xor_b32 s4, exec_lo, s5
	s_cbranch_execz .LBB68_86
; %bb.85:
	v_add_nc_u32_e32 v16, v0, v19
	ds_load_u8 v16, v16 offset:1
.LBB68_86:
	s_or_saveexec_b32 s4, s4
	v_mov_b32_e32 v17, v15
	s_xor_b32 exec_lo, exec_lo, s4
	s_cbranch_execz .LBB68_88
; %bb.87:
	s_waitcnt lgkmcnt(0)
	v_add_nc_u32_e32 v16, v0, v18
	ds_load_u8 v17, v16 offset:1
	v_mov_b32_e32 v16, v14
.LBB68_88:
	s_or_b32 exec_lo, exec_lo, s4
	v_add_nc_u32_e32 v20, 1, v19
	v_add_nc_u32_e32 v22, 1, v18
	s_waitcnt lgkmcnt(0)
	v_bfe_i32 v23, v16, 0, 8
	s_delay_alu instid0(VALU_DEP_3) | instskip(SKIP_2) | instid1(VALU_DEP_3)
	v_cndmask_b32_e64 v21, v20, v19, s3
	v_bfe_i32 v19, v17, 0, 8
	v_cndmask_b32_e64 v20, v18, v22, s3
                                        ; implicit-def: $vgpr18
	v_cmp_ge_i32_e64 s4, v21, v6
	s_delay_alu instid0(VALU_DEP_3) | instskip(NEXT) | instid1(VALU_DEP_3)
	v_cmp_lt_i16_e64 s5, v19, v23
	v_cmp_lt_i32_e64 s6, v20, v5
	s_delay_alu instid0(VALU_DEP_2)
	s_or_b32 s4, s4, s5
	s_delay_alu instid0(VALU_DEP_1) | instid1(SALU_CYCLE_1)
	s_and_b32 s4, s6, s4
	s_delay_alu instid0(SALU_CYCLE_1) | instskip(NEXT) | instid1(SALU_CYCLE_1)
	s_xor_b32 s5, s4, -1
	s_and_saveexec_b32 s6, s5
	s_delay_alu instid0(SALU_CYCLE_1)
	s_xor_b32 s5, exec_lo, s6
	s_cbranch_execz .LBB68_90
; %bb.89:
	v_add_nc_u32_e32 v18, v0, v21
	ds_load_u8 v18, v18 offset:1
.LBB68_90:
	s_or_saveexec_b32 s5, s5
	v_mov_b32_e32 v19, v17
	s_xor_b32 exec_lo, exec_lo, s5
	s_cbranch_execz .LBB68_92
; %bb.91:
	s_waitcnt lgkmcnt(0)
	v_add_nc_u32_e32 v18, v0, v20
	ds_load_u8 v19, v18 offset:1
	v_mov_b32_e32 v18, v16
.LBB68_92:
	s_or_b32 exec_lo, exec_lo, s5
	v_add_nc_u32_e32 v22, 1, v21
	v_add_nc_u32_e32 v23, 1, v20
	s_waitcnt lgkmcnt(0)
	v_bfe_i32 v24, v18, 0, 8
	s_delay_alu instid0(VALU_DEP_3) | instskip(SKIP_2) | instid1(VALU_DEP_3)
	v_cndmask_b32_e64 v21, v22, v21, s4
	v_bfe_i32 v22, v19, 0, 8
	v_cndmask_b32_e64 v20, v20, v23, s4
	v_cmp_ge_i32_e64 s5, v21, v6
	s_delay_alu instid0(VALU_DEP_3) | instskip(NEXT) | instid1(VALU_DEP_3)
	v_cmp_lt_i16_e64 s6, v22, v24
	v_cmp_lt_i32_e64 s7, v20, v5
                                        ; implicit-def: $vgpr22
	s_delay_alu instid0(VALU_DEP_2)
	s_or_b32 s5, s5, s6
	s_delay_alu instid0(VALU_DEP_1) | instid1(SALU_CYCLE_1)
	s_and_b32 s5, s7, s5
	s_delay_alu instid0(SALU_CYCLE_1) | instskip(NEXT) | instid1(SALU_CYCLE_1)
	s_xor_b32 s6, s5, -1
	s_and_saveexec_b32 s7, s6
	s_delay_alu instid0(SALU_CYCLE_1)
	s_xor_b32 s6, exec_lo, s7
	s_cbranch_execz .LBB68_94
; %bb.93:
	v_add_nc_u32_e32 v22, v0, v21
	ds_load_u8 v22, v22 offset:1
.LBB68_94:
	s_or_saveexec_b32 s6, s6
	v_mov_b32_e32 v23, v19
	s_xor_b32 exec_lo, exec_lo, s6
	s_cbranch_execz .LBB68_96
; %bb.95:
	s_waitcnt lgkmcnt(0)
	v_add_nc_u32_e32 v22, v0, v20
	ds_load_u8 v23, v22 offset:1
	v_mov_b32_e32 v22, v18
.LBB68_96:
	s_or_b32 exec_lo, exec_lo, s6
	v_add_nc_u32_e32 v24, 1, v21
	v_cndmask_b32_e64 v18, v18, v19, s5
	v_dual_cndmask_b32 v4, v4, v7 :: v_dual_add_nc_u32 v19, 1, v20
	s_waitcnt lgkmcnt(0)
	v_bfe_i32 v25, v22, 0, 8
	v_bfe_i32 v26, v23, 0, 8
	v_cndmask_b32_e64 v21, v24, v21, s5
	v_cndmask_b32_e64 v16, v16, v17, s4
	;; [unrolled: 1-line block ×4, first 2 shown]
	v_cmp_lt_i16_e64 s3, v26, v25
	v_cmp_ge_i32_e64 s4, v21, v6
	v_cndmask_b32_e64 v6, v12, v13, s2
	v_cmp_lt_i32_e64 s2, v17, v5
	v_cndmask_b32_e64 v5, v8, v9, s0
	v_cndmask_b32_e64 v7, v10, v11, s1
	s_or_b32 s0, s4, s3
	v_and_b32_e32 v4, 0xff, v4
	s_and_b32 vcc_lo, s2, s0
	v_lshlrev_b16 v5, 8, v5
	v_dual_cndmask_b32 v8, v22, v23 :: v_dual_and_b32 v11, 0xff, v18
	v_lshlrev_b16 v6, 8, v6
	v_and_b32_e32 v7, 0xff, v7
	v_lshlrev_b16 v9, 8, v16
	v_and_b32_e32 v10, 0xff, v14
	v_lshlrev_b16 v8, 8, v8
	v_or_b32_e32 v4, v4, v5
	v_or_b32_e32 v5, v7, v6
	s_mov_b32 s0, exec_lo
	v_or_b32_e32 v6, v10, v9
	v_or_b32_e32 v7, v11, v8
	v_and_b32_e32 v8, 0xffff, v4
	v_lshlrev_b32_e32 v5, 16, v5
	v_min_i32_e32 v4, 64, v2
	v_and_b32_e32 v9, 0xffff, v6
	v_lshlrev_b32_e32 v10, 16, v7
	v_sub_nc_u32_e64 v6, v2, 64 clamp
	v_or_b32_e32 v7, v8, v5
	; wave barrier
	s_delay_alu instid0(VALU_DEP_3)
	v_or_b32_e32 v8, v9, v10
	ds_store_b64 v3, v[7:8]
	; wave barrier
	v_cmpx_lt_u32_e64 v6, v4
	s_cbranch_execz .LBB68_100
; %bb.97:
	s_mov_b32 s1, 0
	.p2align	6
.LBB68_98:                              ; =>This Inner Loop Header: Depth=1
	v_sub_nc_u32_e32 v5, v4, v6
	s_delay_alu instid0(VALU_DEP_1) | instskip(NEXT) | instid1(VALU_DEP_1)
	v_lshrrev_b32_e32 v7, 31, v5
	v_add_nc_u32_e32 v5, v5, v7
	s_delay_alu instid0(VALU_DEP_1) | instskip(NEXT) | instid1(VALU_DEP_1)
	v_ashrrev_i32_e32 v5, 1, v5
	v_add_nc_u32_e32 v5, v5, v6
	s_delay_alu instid0(VALU_DEP_1)
	v_add_nc_u32_e32 v9, 1, v5
	v_add_nc_u32_e32 v7, v0, v5
	v_xad_u32 v8, v5, -1, v3
	ds_load_i8 v7, v7
	ds_load_i8 v8, v8 offset:64
	s_waitcnt lgkmcnt(0)
	v_cmp_lt_i16_e32 vcc_lo, v8, v7
	v_cndmask_b32_e32 v6, v9, v6, vcc_lo
	v_cndmask_b32_e32 v4, v4, v5, vcc_lo
	s_delay_alu instid0(VALU_DEP_1) | instskip(SKIP_1) | instid1(SALU_CYCLE_1)
	v_cmp_ge_i32_e32 vcc_lo, v6, v4
	s_or_b32 s1, vcc_lo, s1
	s_and_not1_b32 exec_lo, exec_lo, s1
	s_cbranch_execnz .LBB68_98
; %bb.99:
	s_or_b32 exec_lo, exec_lo, s1
.LBB68_100:
	s_delay_alu instid0(SALU_CYCLE_1) | instskip(SKIP_3) | instid1(VALU_DEP_3)
	s_or_b32 exec_lo, exec_lo, s0
	v_sub_nc_u32_e32 v4, v2, v6
	v_add_nc_u32_e32 v5, v0, v6
	v_cmp_lt_i32_e32 vcc_lo, 63, v6
	v_add_nc_u32_e32 v8, v0, v4
	v_add_nc_u32_e32 v7, 64, v4
                                        ; implicit-def: $vgpr4
	ds_load_u8 v2, v5
	ds_load_u8 v3, v8 offset:64
	v_cmp_gt_i32_e64 s1, 0x80, v7
	s_waitcnt lgkmcnt(1)
	v_bfe_i32 v2, v2, 0, 8
	s_waitcnt lgkmcnt(0)
	v_bfe_i32 v3, v3, 0, 8
	s_delay_alu instid0(VALU_DEP_1) | instskip(NEXT) | instid1(VALU_DEP_1)
	v_cmp_lt_i16_e64 s0, v3, v2
	s_or_b32 s0, vcc_lo, s0
	s_delay_alu instid0(SALU_CYCLE_1) | instskip(NEXT) | instid1(SALU_CYCLE_1)
	s_and_b32 vcc_lo, s1, s0
	s_xor_b32 s0, vcc_lo, -1
	s_delay_alu instid0(SALU_CYCLE_1) | instskip(NEXT) | instid1(SALU_CYCLE_1)
	s_and_saveexec_b32 s1, s0
	s_xor_b32 s0, exec_lo, s1
	s_cbranch_execz .LBB68_102
; %bb.101:
	ds_load_u8 v4, v5 offset:1
                                        ; implicit-def: $vgpr8
.LBB68_102:
	s_or_saveexec_b32 s0, s0
	v_mov_b32_e32 v5, v3
	s_xor_b32 exec_lo, exec_lo, s0
	s_cbranch_execz .LBB68_104
; %bb.103:
	ds_load_u8 v5, v8 offset:65
	s_waitcnt lgkmcnt(1)
	v_mov_b32_e32 v4, v2
.LBB68_104:
	s_or_b32 exec_lo, exec_lo, s0
	v_add_nc_u32_e32 v8, 1, v6
	v_add_nc_u32_e32 v10, 1, v7
	s_waitcnt lgkmcnt(0)
	v_bfe_i32 v11, v4, 0, 8
	s_delay_alu instid0(VALU_DEP_3) | instskip(SKIP_2) | instid1(VALU_DEP_3)
	v_cndmask_b32_e32 v9, v8, v6, vcc_lo
	v_bfe_i32 v6, v5, 0, 8
	v_cndmask_b32_e32 v8, v7, v10, vcc_lo
	v_cmp_lt_i32_e64 s0, 63, v9
	s_delay_alu instid0(VALU_DEP_3) | instskip(NEXT) | instid1(VALU_DEP_3)
	v_cmp_lt_i16_e64 s1, v6, v11
	v_cmp_gt_i32_e64 s2, 0x80, v8
                                        ; implicit-def: $vgpr6
	s_delay_alu instid0(VALU_DEP_2)
	s_or_b32 s0, s0, s1
	s_delay_alu instid0(VALU_DEP_1) | instid1(SALU_CYCLE_1)
	s_and_b32 s0, s2, s0
	s_delay_alu instid0(SALU_CYCLE_1) | instskip(NEXT) | instid1(SALU_CYCLE_1)
	s_xor_b32 s1, s0, -1
	s_and_saveexec_b32 s2, s1
	s_delay_alu instid0(SALU_CYCLE_1)
	s_xor_b32 s1, exec_lo, s2
	s_cbranch_execz .LBB68_106
; %bb.105:
	v_add_nc_u32_e32 v6, v0, v9
	ds_load_u8 v6, v6 offset:1
.LBB68_106:
	s_or_saveexec_b32 s1, s1
	v_mov_b32_e32 v7, v5
	s_xor_b32 exec_lo, exec_lo, s1
	s_cbranch_execz .LBB68_108
; %bb.107:
	s_waitcnt lgkmcnt(0)
	v_add_nc_u32_e32 v6, v0, v8
	ds_load_u8 v7, v6 offset:1
	v_mov_b32_e32 v6, v4
.LBB68_108:
	s_or_b32 exec_lo, exec_lo, s1
	v_add_nc_u32_e32 v10, 1, v9
	v_add_nc_u32_e32 v12, 1, v8
	s_waitcnt lgkmcnt(0)
	v_bfe_i32 v13, v6, 0, 8
	s_delay_alu instid0(VALU_DEP_3) | instskip(SKIP_2) | instid1(VALU_DEP_3)
	v_cndmask_b32_e64 v11, v10, v9, s0
	v_bfe_i32 v9, v7, 0, 8
	v_cndmask_b32_e64 v10, v8, v12, s0
                                        ; implicit-def: $vgpr8
	v_cmp_lt_i32_e64 s1, 63, v11
	s_delay_alu instid0(VALU_DEP_3) | instskip(NEXT) | instid1(VALU_DEP_3)
	v_cmp_lt_i16_e64 s2, v9, v13
	v_cmp_gt_i32_e64 s3, 0x80, v10
	s_delay_alu instid0(VALU_DEP_2)
	s_or_b32 s1, s1, s2
	s_delay_alu instid0(VALU_DEP_1) | instid1(SALU_CYCLE_1)
	s_and_b32 s1, s3, s1
	s_delay_alu instid0(SALU_CYCLE_1) | instskip(NEXT) | instid1(SALU_CYCLE_1)
	s_xor_b32 s2, s1, -1
	s_and_saveexec_b32 s3, s2
	s_delay_alu instid0(SALU_CYCLE_1)
	s_xor_b32 s2, exec_lo, s3
	s_cbranch_execz .LBB68_110
; %bb.109:
	v_add_nc_u32_e32 v8, v0, v11
	ds_load_u8 v8, v8 offset:1
.LBB68_110:
	s_or_saveexec_b32 s2, s2
	v_mov_b32_e32 v9, v7
	s_xor_b32 exec_lo, exec_lo, s2
	s_cbranch_execz .LBB68_112
; %bb.111:
	s_waitcnt lgkmcnt(0)
	v_add_nc_u32_e32 v8, v0, v10
	ds_load_u8 v9, v8 offset:1
	v_mov_b32_e32 v8, v6
.LBB68_112:
	s_or_b32 exec_lo, exec_lo, s2
	v_add_nc_u32_e32 v12, 1, v11
	v_add_nc_u32_e32 v14, 1, v10
	s_waitcnt lgkmcnt(0)
	v_bfe_i32 v15, v8, 0, 8
	s_delay_alu instid0(VALU_DEP_3) | instskip(SKIP_2) | instid1(VALU_DEP_3)
	v_cndmask_b32_e64 v13, v12, v11, s1
	v_bfe_i32 v11, v9, 0, 8
	v_cndmask_b32_e64 v12, v10, v14, s1
                                        ; implicit-def: $vgpr10
	v_cmp_lt_i32_e64 s2, 63, v13
	s_delay_alu instid0(VALU_DEP_3) | instskip(NEXT) | instid1(VALU_DEP_3)
	v_cmp_lt_i16_e64 s3, v11, v15
	v_cmp_gt_i32_e64 s4, 0x80, v12
	s_delay_alu instid0(VALU_DEP_2)
	s_or_b32 s2, s2, s3
	s_delay_alu instid0(VALU_DEP_1) | instid1(SALU_CYCLE_1)
	s_and_b32 s2, s4, s2
	s_delay_alu instid0(SALU_CYCLE_1) | instskip(NEXT) | instid1(SALU_CYCLE_1)
	s_xor_b32 s3, s2, -1
	s_and_saveexec_b32 s4, s3
	s_delay_alu instid0(SALU_CYCLE_1)
	s_xor_b32 s3, exec_lo, s4
	s_cbranch_execz .LBB68_114
; %bb.113:
	v_add_nc_u32_e32 v10, v0, v13
	ds_load_u8 v10, v10 offset:1
.LBB68_114:
	s_or_saveexec_b32 s3, s3
	v_mov_b32_e32 v11, v9
	s_xor_b32 exec_lo, exec_lo, s3
	s_cbranch_execz .LBB68_116
; %bb.115:
	s_waitcnt lgkmcnt(0)
	v_add_nc_u32_e32 v10, v0, v12
	ds_load_u8 v11, v10 offset:1
	v_mov_b32_e32 v10, v8
.LBB68_116:
	s_or_b32 exec_lo, exec_lo, s3
	v_add_nc_u32_e32 v14, 1, v13
	v_add_nc_u32_e32 v16, 1, v12
	s_waitcnt lgkmcnt(0)
	v_bfe_i32 v17, v10, 0, 8
	s_delay_alu instid0(VALU_DEP_3) | instskip(SKIP_2) | instid1(VALU_DEP_3)
	v_cndmask_b32_e64 v15, v14, v13, s2
	v_bfe_i32 v13, v11, 0, 8
	v_cndmask_b32_e64 v14, v12, v16, s2
                                        ; implicit-def: $vgpr12
	v_cmp_lt_i32_e64 s3, 63, v15
	s_delay_alu instid0(VALU_DEP_3) | instskip(NEXT) | instid1(VALU_DEP_3)
	v_cmp_lt_i16_e64 s4, v13, v17
	v_cmp_gt_i32_e64 s5, 0x80, v14
	s_delay_alu instid0(VALU_DEP_2)
	s_or_b32 s3, s3, s4
	s_delay_alu instid0(VALU_DEP_1) | instid1(SALU_CYCLE_1)
	s_and_b32 s3, s5, s3
	s_delay_alu instid0(SALU_CYCLE_1) | instskip(NEXT) | instid1(SALU_CYCLE_1)
	s_xor_b32 s4, s3, -1
	s_and_saveexec_b32 s5, s4
	s_delay_alu instid0(SALU_CYCLE_1)
	s_xor_b32 s4, exec_lo, s5
	s_cbranch_execz .LBB68_118
; %bb.117:
	v_add_nc_u32_e32 v12, v0, v15
	ds_load_u8 v12, v12 offset:1
.LBB68_118:
	s_or_saveexec_b32 s4, s4
	v_mov_b32_e32 v13, v11
	s_xor_b32 exec_lo, exec_lo, s4
	s_cbranch_execz .LBB68_120
; %bb.119:
	s_waitcnt lgkmcnt(0)
	v_add_nc_u32_e32 v12, v0, v14
	ds_load_u8 v13, v12 offset:1
	v_mov_b32_e32 v12, v10
.LBB68_120:
	s_or_b32 exec_lo, exec_lo, s4
	v_add_nc_u32_e32 v16, 1, v15
	v_add_nc_u32_e32 v18, 1, v14
	s_waitcnt lgkmcnt(0)
	v_bfe_i32 v19, v12, 0, 8
	s_delay_alu instid0(VALU_DEP_3) | instskip(SKIP_2) | instid1(VALU_DEP_3)
	v_cndmask_b32_e64 v17, v16, v15, s3
	v_bfe_i32 v15, v13, 0, 8
	v_cndmask_b32_e64 v16, v14, v18, s3
	v_cmp_lt_i32_e64 s4, 63, v17
	s_delay_alu instid0(VALU_DEP_3) | instskip(NEXT) | instid1(VALU_DEP_3)
	v_cmp_lt_i16_e64 s5, v15, v19
	v_cmp_gt_i32_e64 s6, 0x80, v16
                                        ; implicit-def: $vgpr15
	s_delay_alu instid0(VALU_DEP_2)
	s_or_b32 s4, s4, s5
	s_delay_alu instid0(VALU_DEP_1) | instid1(SALU_CYCLE_1)
	s_and_b32 s4, s6, s4
	s_delay_alu instid0(SALU_CYCLE_1) | instskip(NEXT) | instid1(SALU_CYCLE_1)
	s_xor_b32 s5, s4, -1
	s_and_saveexec_b32 s6, s5
	s_delay_alu instid0(SALU_CYCLE_1)
	s_xor_b32 s5, exec_lo, s6
	s_cbranch_execz .LBB68_122
; %bb.121:
	v_add_nc_u32_e32 v14, v0, v17
	ds_load_u8 v15, v14 offset:1
.LBB68_122:
	s_or_saveexec_b32 s5, s5
	v_mov_b32_e32 v14, v13
	s_xor_b32 exec_lo, exec_lo, s5
	s_cbranch_execz .LBB68_124
; %bb.123:
	v_add_nc_u32_e32 v14, v0, v16
	s_waitcnt lgkmcnt(0)
	v_mov_b32_e32 v15, v12
	ds_load_u8 v14, v14 offset:1
.LBB68_124:
	s_or_b32 exec_lo, exec_lo, s5
	v_add_nc_u32_e32 v18, 1, v17
	v_add_nc_u32_e32 v19, 1, v16
	s_waitcnt lgkmcnt(0)
	v_bfe_i32 v21, v15, 0, 8
	s_delay_alu instid0(VALU_DEP_3) | instskip(SKIP_2) | instid1(VALU_DEP_3)
	v_cndmask_b32_e64 v20, v18, v17, s4
	v_bfe_i32 v17, v14, 0, 8
	v_cndmask_b32_e64 v16, v16, v19, s4
                                        ; implicit-def: $vgpr19
	v_cmp_gt_i32_e64 s5, 64, v20
	s_delay_alu instid0(VALU_DEP_3) | instskip(NEXT) | instid1(VALU_DEP_3)
	v_cmp_ge_i16_e64 s6, v17, v21
	v_cmp_lt_i32_e64 s7, 0x7f, v16
                                        ; implicit-def: $vgpr17
	s_delay_alu instid0(VALU_DEP_2)
	s_and_b32 s5, s5, s6
	s_delay_alu instid0(VALU_DEP_1) | instid1(SALU_CYCLE_1)
	s_or_b32 s5, s7, s5
	s_delay_alu instid0(SALU_CYCLE_1) | instskip(NEXT) | instid1(SALU_CYCLE_1)
	s_and_saveexec_b32 s6, s5
	s_xor_b32 s5, exec_lo, s6
	s_cbranch_execz .LBB68_126
; %bb.125:
	v_add_nc_u32_e32 v0, v0, v20
	v_add_nc_u32_e32 v19, 1, v20
                                        ; implicit-def: $vgpr20
	ds_load_u8 v17, v0 offset:1
                                        ; implicit-def: $vgpr0
.LBB68_126:
	s_or_saveexec_b32 s5, s5
	v_mov_b32_e32 v18, v15
	s_xor_b32 exec_lo, exec_lo, s5
	s_cbranch_execz .LBB68_128
; %bb.127:
	s_waitcnt lgkmcnt(0)
	v_dual_mov_b32 v17, v15 :: v_dual_add_nc_u32 v0, v0, v16
	v_dual_mov_b32 v19, v20 :: v_dual_add_nc_u32 v16, 1, v16
	v_mov_b32_e32 v18, v14
	ds_load_u8 v0, v0 offset:1
	s_waitcnt lgkmcnt(0)
	v_mov_b32_e32 v14, v0
.LBB68_128:
	s_or_b32 exec_lo, exec_lo, s5
	s_waitcnt lgkmcnt(0)
	v_bfe_i32 v0, v17, 0, 8
	s_delay_alu instid0(VALU_DEP_2)
	v_bfe_i32 v15, v14, 0, 8
	v_cndmask_b32_e64 v12, v12, v13, s4
	v_cndmask_b32_e64 v10, v10, v11, s3
	v_cmp_lt_i32_e64 s3, 63, v19
	v_cndmask_b32_e64 v4, v4, v5, s0
	v_cmp_lt_i16_e64 s4, v15, v0
	v_cndmask_b32_e64 v0, v8, v9, s2
	v_cmp_gt_i32_e64 s2, 0x80, v16
	v_cndmask_b32_e32 v2, v2, v3, vcc_lo
	v_cndmask_b32_e64 v3, v6, v7, s1
	s_or_b32 s0, s3, s4
	v_lshlrev_b16 v4, 8, v4
	s_and_b32 vcc_lo, s2, s0
	v_lshlrev_b16 v0, 8, v0
	v_cndmask_b32_e32 v5, v17, v14, vcc_lo
	v_and_b32_e32 v2, 0xff, v2
	v_and_b32_e32 v3, 0xff, v3
	v_lshlrev_b16 v6, 8, v12
	v_and_b32_e32 v7, 0xff, v10
	v_lshlrev_b16 v5, 8, v5
	v_and_b32_e32 v8, 0xff, v18
	v_or_b32_e32 v2, v2, v4
	v_or_b32_e32 v0, v3, v0
	v_or_b32_e32 v3, v7, v6
	s_add_u32 s0, s10, s12
	v_or_b32_e32 v4, v8, v5
	v_and_b32_e32 v2, 0xffff, v2
	v_lshlrev_b32_e32 v5, 16, v0
	v_and_b32_e32 v3, 0xffff, v3
	s_addc_u32 s1, s11, 0
	v_lshlrev_b32_e32 v4, 16, v4
	v_add_co_u32 v0, s0, s0, v1
	s_delay_alu instid0(VALU_DEP_1) | instskip(SKIP_1) | instid1(VALU_DEP_4)
	v_add_co_ci_u32_e64 v1, null, s1, 0, s0
	v_or_b32_e32 v2, v2, v5
	v_or_b32_e32 v3, v3, v4
	global_store_b64 v[0:1], v[2:3], off
	s_nop 0
	s_sendmsg sendmsg(MSG_DEALLOC_VGPRS)
	s_endpgm
	.section	.rodata,"a",@progbits
	.p2align	6, 0x0
	.amdhsa_kernel _Z9sort_keysILj256ELj16ELj8EaN10test_utils4lessEEvPKT2_PS2_T3_
		.amdhsa_group_segment_fixed_size 2064
		.amdhsa_private_segment_fixed_size 0
		.amdhsa_kernarg_size 20
		.amdhsa_user_sgpr_count 15
		.amdhsa_user_sgpr_dispatch_ptr 0
		.amdhsa_user_sgpr_queue_ptr 0
		.amdhsa_user_sgpr_kernarg_segment_ptr 1
		.amdhsa_user_sgpr_dispatch_id 0
		.amdhsa_user_sgpr_private_segment_size 0
		.amdhsa_wavefront_size32 1
		.amdhsa_uses_dynamic_stack 0
		.amdhsa_enable_private_segment 0
		.amdhsa_system_sgpr_workgroup_id_x 1
		.amdhsa_system_sgpr_workgroup_id_y 0
		.amdhsa_system_sgpr_workgroup_id_z 0
		.amdhsa_system_sgpr_workgroup_info 0
		.amdhsa_system_vgpr_workitem_id 0
		.amdhsa_next_free_vgpr 30
		.amdhsa_next_free_sgpr 16
		.amdhsa_reserve_vcc 1
		.amdhsa_float_round_mode_32 0
		.amdhsa_float_round_mode_16_64 0
		.amdhsa_float_denorm_mode_32 3
		.amdhsa_float_denorm_mode_16_64 3
		.amdhsa_dx10_clamp 1
		.amdhsa_ieee_mode 1
		.amdhsa_fp16_overflow 0
		.amdhsa_workgroup_processor_mode 1
		.amdhsa_memory_ordered 1
		.amdhsa_forward_progress 0
		.amdhsa_shared_vgpr_count 0
		.amdhsa_exception_fp_ieee_invalid_op 0
		.amdhsa_exception_fp_denorm_src 0
		.amdhsa_exception_fp_ieee_div_zero 0
		.amdhsa_exception_fp_ieee_overflow 0
		.amdhsa_exception_fp_ieee_underflow 0
		.amdhsa_exception_fp_ieee_inexact 0
		.amdhsa_exception_int_div_zero 0
	.end_amdhsa_kernel
	.section	.text._Z9sort_keysILj256ELj16ELj8EaN10test_utils4lessEEvPKT2_PS2_T3_,"axG",@progbits,_Z9sort_keysILj256ELj16ELj8EaN10test_utils4lessEEvPKT2_PS2_T3_,comdat
.Lfunc_end68:
	.size	_Z9sort_keysILj256ELj16ELj8EaN10test_utils4lessEEvPKT2_PS2_T3_, .Lfunc_end68-_Z9sort_keysILj256ELj16ELj8EaN10test_utils4lessEEvPKT2_PS2_T3_
                                        ; -- End function
	.section	.AMDGPU.csdata,"",@progbits
; Kernel info:
; codeLenInByte = 8748
; NumSgprs: 18
; NumVgprs: 30
; ScratchSize: 0
; MemoryBound: 0
; FloatMode: 240
; IeeeMode: 1
; LDSByteSize: 2064 bytes/workgroup (compile time only)
; SGPRBlocks: 2
; VGPRBlocks: 3
; NumSGPRsForWavesPerEU: 18
; NumVGPRsForWavesPerEU: 30
; Occupancy: 16
; WaveLimiterHint : 0
; COMPUTE_PGM_RSRC2:SCRATCH_EN: 0
; COMPUTE_PGM_RSRC2:USER_SGPR: 15
; COMPUTE_PGM_RSRC2:TRAP_HANDLER: 0
; COMPUTE_PGM_RSRC2:TGID_X_EN: 1
; COMPUTE_PGM_RSRC2:TGID_Y_EN: 0
; COMPUTE_PGM_RSRC2:TGID_Z_EN: 0
; COMPUTE_PGM_RSRC2:TIDIG_COMP_CNT: 0
	.section	.text._Z10sort_pairsILj256ELj16ELj8EaN10test_utils4lessEEvPKT2_PS2_T3_,"axG",@progbits,_Z10sort_pairsILj256ELj16ELj8EaN10test_utils4lessEEvPKT2_PS2_T3_,comdat
	.protected	_Z10sort_pairsILj256ELj16ELj8EaN10test_utils4lessEEvPKT2_PS2_T3_ ; -- Begin function _Z10sort_pairsILj256ELj16ELj8EaN10test_utils4lessEEvPKT2_PS2_T3_
	.globl	_Z10sort_pairsILj256ELj16ELj8EaN10test_utils4lessEEvPKT2_PS2_T3_
	.p2align	8
	.type	_Z10sort_pairsILj256ELj16ELj8EaN10test_utils4lessEEvPKT2_PS2_T3_,@function
_Z10sort_pairsILj256ELj16ELj8EaN10test_utils4lessEEvPKT2_PS2_T3_: ; @_Z10sort_pairsILj256ELj16ELj8EaN10test_utils4lessEEvPKT2_PS2_T3_
; %bb.0:
	s_load_b128 s[36:39], s[0:1], 0x0
	s_lshl_b32 s40, s15, 11
	v_lshlrev_b32_e32 v3, 3, v0
	v_lshrrev_b32_e32 v0, 4, v0
	s_mov_b32 s28, 0
	s_mov_b32 s29, exec_lo
	s_waitcnt lgkmcnt(0)
	s_add_u32 s0, s36, s40
	s_addc_u32 s1, s37, 0
	global_load_b64 v[1:2], v3, s[0:1]
	; wave barrier
	s_waitcnt vmcnt(0)
	v_lshrrev_b32_e32 v4, 8, v1
	v_bfe_i32 v7, v1, 0, 8
	v_lshrrev_b32_e32 v9, 8, v2
	v_bfe_i32 v11, v2, 0, 8
	v_perm_b32 v13, v2, v2, 0x7060405
	v_bfe_i32 v8, v4, 0, 8
	v_perm_b32 v4, v1, v1, 0x3020405
	v_bfe_i32 v12, v9, 0, 8
	s_delay_alu instid0(VALU_DEP_3) | instskip(NEXT) | instid1(VALU_DEP_2)
	v_cmp_lt_i16_e32 vcc_lo, v8, v7
	v_cmp_lt_i16_e64 s1, v12, v11
	s_delay_alu instid0(VALU_DEP_4) | instskip(NEXT) | instid1(VALU_DEP_1)
	v_cndmask_b32_e32 v4, v1, v4, vcc_lo
	v_lshrrev_b32_e32 v5, 16, v4
	v_lshrrev_b32_e32 v10, 24, v4
	s_delay_alu instid0(VALU_DEP_2) | instskip(NEXT) | instid1(VALU_DEP_2)
	v_perm_b32 v6, 0, v5, 0xc0c0001
	v_bfe_i32 v10, v10, 0, 8
	v_bfe_i32 v5, v5, 0, 8
	s_delay_alu instid0(VALU_DEP_3) | instskip(NEXT) | instid1(VALU_DEP_2)
	v_lshlrev_b32_e32 v6, 16, v6
	v_cmp_lt_i16_e64 s0, v10, v5
	v_cndmask_b32_e64 v5, v2, v13, s1
	s_delay_alu instid0(VALU_DEP_3) | instskip(NEXT) | instid1(VALU_DEP_2)
	v_and_or_b32 v6, 0xffff, v4, v6
	v_lshrrev_b32_e32 v11, 24, v5
	v_lshrrev_b32_e32 v12, 16, v5
	s_delay_alu instid0(VALU_DEP_3) | instskip(SKIP_1) | instid1(VALU_DEP_4)
	v_cndmask_b32_e64 v4, v4, v6, s0
	v_perm_b32 v14, v5, v5, 0x6070504
	v_bfe_i32 v11, v11, 0, 8
	s_delay_alu instid0(VALU_DEP_4) | instskip(NEXT) | instid1(VALU_DEP_4)
	v_bfe_i32 v12, v12, 0, 8
	v_lshrrev_b32_e32 v6, 16, v4
	v_lshrrev_b32_e32 v10, 8, v4
	v_perm_b32 v13, v4, v4, 0x7050604
	s_delay_alu instid0(VALU_DEP_4) | instskip(NEXT) | instid1(VALU_DEP_4)
	v_cmp_lt_i16_e64 s4, v11, v12
	v_bfe_i32 v6, v6, 0, 8
	s_delay_alu instid0(VALU_DEP_4) | instskip(NEXT) | instid1(VALU_DEP_3)
	v_bfe_i32 v10, v10, 0, 8
	v_cndmask_b32_e64 v5, v5, v14, s4
	s_delay_alu instid0(VALU_DEP_2) | instskip(NEXT) | instid1(VALU_DEP_2)
	v_cmp_lt_i16_e64 s3, v6, v10
	v_lshlrev_b16 v10, 8, v5
	v_bfe_i32 v11, v5, 0, 8
	s_delay_alu instid0(VALU_DEP_3) | instskip(NEXT) | instid1(VALU_DEP_1)
	v_cndmask_b32_e64 v4, v4, v13, s3
	v_lshrrev_b32_e32 v6, 16, v4
	s_delay_alu instid0(VALU_DEP_1) | instskip(NEXT) | instid1(VALU_DEP_1)
	v_and_b32_e32 v6, 0xff, v6
	v_or_b32_e32 v6, v6, v10
	v_lshrrev_b32_e32 v10, 24, v4
	s_delay_alu instid0(VALU_DEP_2) | instskip(NEXT) | instid1(VALU_DEP_2)
	v_lshlrev_b32_e32 v6, 16, v6
	v_bfe_i32 v10, v10, 0, 8
	s_delay_alu instid0(VALU_DEP_2) | instskip(NEXT) | instid1(VALU_DEP_2)
	v_and_or_b32 v6, 0xffff, v4, v6
	v_cmp_lt_i16_e64 s2, v11, v10
	s_delay_alu instid0(VALU_DEP_1) | instskip(SKIP_1) | instid1(VALU_DEP_2)
	v_cndmask_b32_e64 v6, v4, v6, s2
	v_perm_b32 v4, v4, v5, 0x3020107
	v_lshrrev_b32_e32 v10, 8, v6
	v_perm_b32 v11, 0, v6, 0xc0c0001
	s_delay_alu instid0(VALU_DEP_3) | instskip(SKIP_1) | instid1(VALU_DEP_4)
	v_cndmask_b32_e64 v4, v5, v4, s2
	v_bfe_i32 v5, v6, 0, 8
	v_bfe_i32 v10, v10, 0, 8
	s_delay_alu instid0(VALU_DEP_4) | instskip(NEXT) | instid1(VALU_DEP_4)
	v_and_or_b32 v11, 0xffff0000, v6, v11
	v_lshrrev_b32_e32 v12, 16, v4
	s_delay_alu instid0(VALU_DEP_3) | instskip(NEXT) | instid1(VALU_DEP_2)
	v_cmp_lt_i16_e64 s5, v10, v5
	v_bfe_i32 v10, v12, 0, 8
	v_perm_b32 v12, v4, v4, 0x7050604
	s_delay_alu instid0(VALU_DEP_3) | instskip(SKIP_1) | instid1(VALU_DEP_2)
	v_cndmask_b32_e64 v5, v6, v11, s5
	v_lshrrev_b32_e32 v6, 8, v4
	v_lshrrev_b32_e32 v11, 16, v5
	s_delay_alu instid0(VALU_DEP_2) | instskip(NEXT) | instid1(VALU_DEP_2)
	v_bfe_i32 v6, v6, 0, 8
	v_perm_b32 v13, 0, v11, 0xc0c0001
	s_delay_alu instid0(VALU_DEP_2) | instskip(SKIP_2) | instid1(VALU_DEP_4)
	v_cmp_lt_i16_e64 s6, v10, v6
	v_lshrrev_b32_e32 v6, 24, v5
	v_bfe_i32 v11, v11, 0, 8
	v_lshlrev_b32_e32 v10, 16, v13
	s_delay_alu instid0(VALU_DEP_4) | instskip(NEXT) | instid1(VALU_DEP_4)
	v_cndmask_b32_e64 v4, v4, v12, s6
	v_bfe_i32 v6, v6, 0, 8
	s_delay_alu instid0(VALU_DEP_3) | instskip(NEXT) | instid1(VALU_DEP_3)
	v_and_or_b32 v10, 0xffff, v5, v10
	v_lshrrev_b32_e32 v12, 8, v4
	v_bfe_i32 v13, v4, 0, 8
	s_delay_alu instid0(VALU_DEP_4) | instskip(SKIP_1) | instid1(VALU_DEP_4)
	v_cmp_lt_i16_e64 s8, v6, v11
	v_perm_b32 v14, v4, v4, 0x7060405
	v_bfe_i32 v12, v12, 0, 8
	s_delay_alu instid0(VALU_DEP_3) | instskip(NEXT) | instid1(VALU_DEP_2)
	v_cndmask_b32_e64 v5, v5, v10, s8
	v_cmp_lt_i16_e64 s9, v12, v13
	s_delay_alu instid0(VALU_DEP_2) | instskip(SKIP_2) | instid1(VALU_DEP_4)
	v_lshrrev_b32_e32 v6, 16, v5
	v_lshrrev_b32_e32 v10, 8, v5
	v_perm_b32 v13, v5, v5, 0x7050604
	v_cndmask_b32_e64 v4, v4, v14, s9
	s_delay_alu instid0(VALU_DEP_4) | instskip(NEXT) | instid1(VALU_DEP_4)
	v_bfe_i32 v6, v6, 0, 8
	v_bfe_i32 v10, v10, 0, 8
	s_delay_alu instid0(VALU_DEP_3) | instskip(SKIP_2) | instid1(VALU_DEP_4)
	v_lshrrev_b32_e32 v11, 24, v4
	v_lshrrev_b32_e32 v12, 16, v4
	v_perm_b32 v14, v4, v4, 0x6070504
	v_cmp_lt_i16_e64 s13, v6, v10
	s_delay_alu instid0(VALU_DEP_4) | instskip(NEXT) | instid1(VALU_DEP_4)
	v_bfe_i32 v11, v11, 0, 8
	v_bfe_i32 v12, v12, 0, 8
	s_delay_alu instid0(VALU_DEP_3) | instskip(NEXT) | instid1(VALU_DEP_2)
	v_cndmask_b32_e64 v5, v5, v13, s13
	v_cmp_lt_i16_e64 s14, v11, v12
	s_delay_alu instid0(VALU_DEP_2) | instskip(NEXT) | instid1(VALU_DEP_2)
	v_lshrrev_b32_e32 v6, 16, v5
	v_cndmask_b32_e64 v4, v4, v14, s14
	s_delay_alu instid0(VALU_DEP_2) | instskip(NEXT) | instid1(VALU_DEP_2)
	v_and_b32_e32 v6, 0xff, v6
	v_lshlrev_b16 v10, 8, v4
	v_bfe_i32 v11, v4, 0, 8
	s_delay_alu instid0(VALU_DEP_2) | instskip(SKIP_1) | instid1(VALU_DEP_2)
	v_or_b32_e32 v6, v6, v10
	v_lshrrev_b32_e32 v10, 24, v5
	v_lshlrev_b32_e32 v6, 16, v6
	s_delay_alu instid0(VALU_DEP_2) | instskip(NEXT) | instid1(VALU_DEP_2)
	v_bfe_i32 v10, v10, 0, 8
	v_and_or_b32 v6, 0xffff, v5, v6
	s_delay_alu instid0(VALU_DEP_2) | instskip(NEXT) | instid1(VALU_DEP_1)
	v_cmp_lt_i16_e64 s12, v11, v10
	v_cndmask_b32_e64 v6, v5, v6, s12
	v_perm_b32 v5, v5, v4, 0x3020107
	s_delay_alu instid0(VALU_DEP_2) | instskip(SKIP_1) | instid1(VALU_DEP_3)
	v_lshrrev_b32_e32 v10, 8, v6
	v_perm_b32 v11, 0, v6, 0xc0c0001
	v_cndmask_b32_e64 v4, v4, v5, s12
	v_bfe_i32 v5, v6, 0, 8
	s_delay_alu instid0(VALU_DEP_4) | instskip(NEXT) | instid1(VALU_DEP_4)
	v_bfe_i32 v10, v10, 0, 8
	v_and_or_b32 v11, 0xffff0000, v6, v11
	s_delay_alu instid0(VALU_DEP_4) | instskip(NEXT) | instid1(VALU_DEP_3)
	v_lshrrev_b32_e32 v12, 16, v4
	v_cmp_lt_i16_e64 s18, v10, v5
	s_delay_alu instid0(VALU_DEP_2) | instskip(SKIP_1) | instid1(VALU_DEP_3)
	v_bfe_i32 v10, v12, 0, 8
	v_perm_b32 v12, v4, v4, 0x7050604
	v_cndmask_b32_e64 v5, v6, v11, s18
	v_lshrrev_b32_e32 v6, 8, v4
	s_delay_alu instid0(VALU_DEP_2) | instskip(NEXT) | instid1(VALU_DEP_2)
	v_lshrrev_b32_e32 v11, 16, v5
	v_bfe_i32 v6, v6, 0, 8
	s_delay_alu instid0(VALU_DEP_2) | instskip(NEXT) | instid1(VALU_DEP_2)
	v_perm_b32 v13, 0, v11, 0xc0c0001
	v_cmp_lt_i16_e64 s19, v10, v6
	v_lshrrev_b32_e32 v6, 24, v5
	v_bfe_i32 v11, v11, 0, 8
	s_delay_alu instid0(VALU_DEP_4) | instskip(NEXT) | instid1(VALU_DEP_4)
	v_lshlrev_b32_e32 v10, 16, v13
	v_cndmask_b32_e64 v4, v4, v12, s19
	s_delay_alu instid0(VALU_DEP_4) | instskip(NEXT) | instid1(VALU_DEP_3)
	v_bfe_i32 v6, v6, 0, 8
	v_and_or_b32 v10, 0xffff, v5, v10
	s_delay_alu instid0(VALU_DEP_3) | instskip(SKIP_1) | instid1(VALU_DEP_4)
	v_lshrrev_b32_e32 v12, 8, v4
	v_bfe_i32 v13, v4, 0, 8
	v_cmp_lt_i16_e64 s20, v6, v11
	v_perm_b32 v14, v4, v4, 0x7060405
	s_delay_alu instid0(VALU_DEP_4) | instskip(NEXT) | instid1(VALU_DEP_3)
	v_bfe_i32 v12, v12, 0, 8
	v_cndmask_b32_e64 v5, v5, v10, s20
	s_delay_alu instid0(VALU_DEP_2) | instskip(NEXT) | instid1(VALU_DEP_2)
	v_cmp_lt_i16_e64 s21, v12, v13
	v_lshrrev_b32_e32 v6, 16, v5
	v_lshrrev_b32_e32 v10, 8, v5
	v_perm_b32 v13, v5, v5, 0x7050604
	s_delay_alu instid0(VALU_DEP_4) | instskip(NEXT) | instid1(VALU_DEP_4)
	v_cndmask_b32_e64 v4, v4, v14, s21
	v_bfe_i32 v6, v6, 0, 8
	s_delay_alu instid0(VALU_DEP_4) | instskip(NEXT) | instid1(VALU_DEP_3)
	v_bfe_i32 v10, v10, 0, 8
	v_lshrrev_b32_e32 v11, 24, v4
	v_lshrrev_b32_e32 v12, 16, v4
	v_perm_b32 v14, v4, v4, 0x6070504
	s_delay_alu instid0(VALU_DEP_4) | instskip(NEXT) | instid1(VALU_DEP_4)
	v_cmp_lt_i16_e64 s24, v6, v10
	v_bfe_i32 v11, v11, 0, 8
	s_delay_alu instid0(VALU_DEP_4) | instskip(NEXT) | instid1(VALU_DEP_3)
	v_bfe_i32 v12, v12, 0, 8
	v_cndmask_b32_e64 v5, v5, v13, s24
	s_delay_alu instid0(VALU_DEP_2) | instskip(NEXT) | instid1(VALU_DEP_2)
	v_cmp_lt_i16_e64 s25, v11, v12
	v_lshrrev_b32_e32 v6, 16, v5
	s_delay_alu instid0(VALU_DEP_2) | instskip(NEXT) | instid1(VALU_DEP_2)
	v_cndmask_b32_e64 v4, v4, v14, s25
	v_and_b32_e32 v6, 0xff, v6
	s_delay_alu instid0(VALU_DEP_2) | instskip(SKIP_1) | instid1(VALU_DEP_2)
	v_lshlrev_b16 v10, 8, v4
	v_bfe_i32 v11, v4, 0, 8
	v_or_b32_e32 v6, v6, v10
	v_lshrrev_b32_e32 v10, 24, v5
	s_delay_alu instid0(VALU_DEP_2) | instskip(NEXT) | instid1(VALU_DEP_2)
	v_lshlrev_b32_e32 v6, 16, v6
	v_bfe_i32 v10, v10, 0, 8
	s_delay_alu instid0(VALU_DEP_2) | instskip(NEXT) | instid1(VALU_DEP_2)
	v_and_or_b32 v6, 0xffff, v5, v6
	v_cmp_lt_i16_e64 s22, v11, v10
	s_delay_alu instid0(VALU_DEP_1) | instskip(SKIP_1) | instid1(VALU_DEP_2)
	v_cndmask_b32_e64 v6, v5, v6, s22
	v_perm_b32 v5, v5, v4, 0x3020107
	v_lshrrev_b32_e32 v10, 8, v6
	v_perm_b32 v11, 0, v6, 0xc0c0001
	s_delay_alu instid0(VALU_DEP_3) | instskip(SKIP_1) | instid1(VALU_DEP_4)
	v_cndmask_b32_e64 v4, v4, v5, s22
	v_bfe_i32 v5, v6, 0, 8
	v_bfe_i32 v10, v10, 0, 8
	s_delay_alu instid0(VALU_DEP_4) | instskip(NEXT) | instid1(VALU_DEP_4)
	v_and_or_b32 v11, 0xffff0000, v6, v11
	v_lshrrev_b32_e32 v12, 16, v4
	s_delay_alu instid0(VALU_DEP_3) | instskip(NEXT) | instid1(VALU_DEP_2)
	v_cmp_lt_i16_e64 s26, v10, v5
	v_bfe_i32 v10, v12, 0, 8
	v_perm_b32 v12, v4, v4, 0x7050604
	s_delay_alu instid0(VALU_DEP_3) | instskip(SKIP_1) | instid1(VALU_DEP_2)
	v_cndmask_b32_e64 v5, v6, v11, s26
	v_lshrrev_b32_e32 v6, 8, v4
	v_lshrrev_b32_e32 v11, 16, v5
	s_delay_alu instid0(VALU_DEP_2) | instskip(NEXT) | instid1(VALU_DEP_2)
	v_bfe_i32 v6, v6, 0, 8
	v_perm_b32 v13, 0, v11, 0xc0c0001
	s_delay_alu instid0(VALU_DEP_2) | instskip(SKIP_2) | instid1(VALU_DEP_4)
	v_cmp_lt_i16_e64 s7, v10, v6
	v_lshrrev_b32_e32 v6, 24, v5
	v_bfe_i32 v11, v11, 0, 8
	v_lshlrev_b32_e32 v10, 16, v13
	s_delay_alu instid0(VALU_DEP_4) | instskip(NEXT) | instid1(VALU_DEP_4)
	v_cndmask_b32_e64 v4, v4, v12, s7
	v_bfe_i32 v6, v6, 0, 8
	s_delay_alu instid0(VALU_DEP_3) | instskip(NEXT) | instid1(VALU_DEP_3)
	v_and_or_b32 v10, 0xffff, v5, v10
	v_lshrrev_b32_e32 v12, 8, v4
	v_bfe_i32 v13, v4, 0, 8
	s_delay_alu instid0(VALU_DEP_4) | instskip(SKIP_1) | instid1(VALU_DEP_4)
	v_cmp_lt_i16_e64 s11, v6, v11
	v_perm_b32 v14, v4, v4, 0x7060405
	v_bfe_i32 v12, v12, 0, 8
	s_delay_alu instid0(VALU_DEP_3) | instskip(NEXT) | instid1(VALU_DEP_2)
	v_cndmask_b32_e64 v5, v5, v10, s11
	v_cmp_lt_i16_e64 s10, v12, v13
	s_delay_alu instid0(VALU_DEP_2) | instskip(SKIP_2) | instid1(VALU_DEP_4)
	v_lshrrev_b32_e32 v6, 16, v5
	v_lshrrev_b32_e32 v10, 8, v5
	v_perm_b32 v13, v5, v5, 0x7050604
	v_cndmask_b32_e64 v4, v4, v14, s10
	s_delay_alu instid0(VALU_DEP_4) | instskip(NEXT) | instid1(VALU_DEP_4)
	v_bfe_i32 v6, v6, 0, 8
	v_bfe_i32 v10, v10, 0, 8
	s_delay_alu instid0(VALU_DEP_3) | instskip(SKIP_2) | instid1(VALU_DEP_4)
	v_lshrrev_b32_e32 v11, 24, v4
	v_lshrrev_b32_e32 v12, 16, v4
	v_perm_b32 v14, v4, v4, 0x6070504
	v_cmp_lt_i16_e64 s16, v6, v10
	s_delay_alu instid0(VALU_DEP_4) | instskip(NEXT) | instid1(VALU_DEP_4)
	v_bfe_i32 v11, v11, 0, 8
	v_bfe_i32 v12, v12, 0, 8
	s_delay_alu instid0(VALU_DEP_3) | instskip(NEXT) | instid1(VALU_DEP_2)
	v_cndmask_b32_e64 v5, v5, v13, s16
	v_cmp_lt_i16_e64 s15, v11, v12
	v_mbcnt_lo_u32_b32 v11, -1, 0
	s_delay_alu instid0(VALU_DEP_3) | instskip(SKIP_1) | instid1(VALU_DEP_4)
	v_lshrrev_b32_e32 v6, 16, v5
	v_lshrrev_b32_e32 v12, 24, v5
	v_cndmask_b32_e64 v4, v4, v14, s15
	s_delay_alu instid0(VALU_DEP_3) | instskip(NEXT) | instid1(VALU_DEP_3)
	v_and_b32_e32 v6, 0xff, v6
	v_bfe_i32 v13, v12, 0, 8
	s_delay_alu instid0(VALU_DEP_3) | instskip(SKIP_1) | instid1(VALU_DEP_2)
	v_lshlrev_b16 v10, 8, v4
	v_perm_b32 v14, v5, v4, 0x3020107
	v_or_b32_e32 v10, v6, v10
	v_lshlrev_b32_e32 v6, 3, v11
	v_bfe_i32 v11, v4, 0, 8
	s_delay_alu instid0(VALU_DEP_3) | instskip(NEXT) | instid1(VALU_DEP_3)
	v_lshlrev_b32_e32 v10, 16, v10
	v_and_b32_e32 v12, 0x70, v6
	s_delay_alu instid0(VALU_DEP_3) | instskip(SKIP_1) | instid1(VALU_DEP_4)
	v_cmp_lt_i16_e64 s17, v11, v13
	v_and_b32_e32 v13, 8, v6
	v_and_or_b32 v15, 0xffff, v5, v10
	s_delay_alu instid0(VALU_DEP_4) | instskip(SKIP_2) | instid1(VALU_DEP_4)
	v_or_b32_e32 v11, 8, v12
	v_add_nc_u32_e32 v10, 16, v12
	v_cndmask_b32_e64 v17, v4, v14, s17
	v_cndmask_b32_e64 v16, v5, v15, s17
	v_and_b32_e32 v5, 0x78, v6
	s_delay_alu instid0(VALU_DEP_4) | instskip(NEXT) | instid1(VALU_DEP_4)
	v_sub_nc_u32_e32 v15, v10, v11
	v_lshrrev_b32_e32 v14, 16, v17
	v_lshrrev_b32_e32 v18, 8, v17
	v_sub_nc_u32_e32 v19, v11, v12
	v_perm_b32 v22, v17, v17, 0x7050604
	v_sub_nc_u32_e32 v20, v13, v15
	v_bfe_i32 v21, v14, 0, 8
	v_bfe_i32 v18, v18, 0, 8
	v_cmp_ge_i32_e64 s23, v13, v15
	v_mad_u32_u24 v4, 0x81, v0, v5
	v_min_i32_e32 v14, v13, v19
	v_mul_u32_u24_e32 v0, 0x81, v0
	s_delay_alu instid0(VALU_DEP_4) | instskip(SKIP_1) | instid1(VALU_DEP_1)
	v_cndmask_b32_e64 v15, 0, v20, s23
	v_cmp_lt_i16_e64 s23, v21, v18
	v_cndmask_b32_e64 v17, v17, v22, s23
	ds_store_b64 v4, v[16:17]
	; wave barrier
	v_cmpx_lt_i32_e64 v15, v14
	s_cbranch_execz .LBB69_4
; %bb.1:
	v_add_nc_u32_e32 v16, v0, v12
	s_delay_alu instid0(VALU_DEP_1)
	v_add3_u32 v17, v16, v13, 8
	.p2align	6
.LBB69_2:                               ; =>This Inner Loop Header: Depth=1
	v_sub_nc_u32_e32 v18, v14, v15
	s_delay_alu instid0(VALU_DEP_1) | instskip(NEXT) | instid1(VALU_DEP_1)
	v_lshrrev_b32_e32 v19, 31, v18
	v_add_nc_u32_e32 v18, v18, v19
	s_delay_alu instid0(VALU_DEP_1) | instskip(NEXT) | instid1(VALU_DEP_1)
	v_ashrrev_i32_e32 v18, 1, v18
	v_add_nc_u32_e32 v18, v18, v15
	s_delay_alu instid0(VALU_DEP_1)
	v_add_nc_u32_e32 v19, v16, v18
	v_xad_u32 v20, v18, -1, v17
	v_add_nc_u32_e32 v21, 1, v18
	ds_load_i8 v19, v19
	ds_load_i8 v20, v20
	s_waitcnt lgkmcnt(0)
	v_cmp_lt_i16_e64 s27, v20, v19
	s_delay_alu instid0(VALU_DEP_1) | instskip(SKIP_1) | instid1(VALU_DEP_1)
	v_cndmask_b32_e64 v14, v14, v18, s27
	v_cndmask_b32_e64 v15, v21, v15, s27
	v_cmp_ge_i32_e64 s27, v15, v14
	s_delay_alu instid0(VALU_DEP_1) | instskip(NEXT) | instid1(SALU_CYCLE_1)
	s_or_b32 s28, s27, s28
	s_and_not1_b32 exec_lo, exec_lo, s28
	s_cbranch_execnz .LBB69_2
; %bb.3:
	s_or_b32 exec_lo, exec_lo, s28
.LBB69_4:
	s_delay_alu instid0(SALU_CYCLE_1)
	s_or_b32 exec_lo, exec_lo, s29
	v_add_nc_u32_e32 v14, v12, v13
	v_lshrrev_b32_e32 v26, 16, v1
	v_lshrrev_b32_e32 v27, 24, v1
	v_add_nc_u32_e32 v1, v15, v12
	v_add_nc_u32_e32 v18, v11, v13
	v_sub_nc_u32_e32 v12, v14, v15
	v_cmp_lt_i32_e64 s27, 7, v15
	v_lshrrev_b32_e32 v24, 16, v2
	v_add_nc_u32_e32 v16, v0, v1
	v_lshrrev_b32_e32 v25, 24, v2
	v_add_nc_u32_e32 v17, v0, v12
	ds_load_u8 v12, v16
	ds_load_u8 v14, v17 offset:8
	s_waitcnt lgkmcnt(1)
	v_bfe_i32 v13, v12, 0, 8
	s_waitcnt lgkmcnt(0)
	v_bfe_i32 v14, v14, 0, 8
	v_sub_nc_u32_e32 v12, v18, v15
                                        ; implicit-def: $vgpr15
	s_delay_alu instid0(VALU_DEP_2) | instskip(NEXT) | instid1(VALU_DEP_2)
	v_cmp_lt_i16_e64 s28, v14, v13
	v_cmp_gt_i32_e64 s29, v10, v12
	s_delay_alu instid0(VALU_DEP_2)
	s_or_b32 s27, s27, s28
	s_delay_alu instid0(VALU_DEP_1) | instid1(SALU_CYCLE_1)
	s_and_b32 s27, s29, s27
	s_delay_alu instid0(SALU_CYCLE_1) | instskip(NEXT) | instid1(SALU_CYCLE_1)
	s_xor_b32 s28, s27, -1
	s_and_saveexec_b32 s29, s28
	s_delay_alu instid0(SALU_CYCLE_1)
	s_xor_b32 s28, exec_lo, s29
	s_cbranch_execz .LBB69_6
; %bb.5:
	ds_load_u8 v15, v16 offset:1
                                        ; implicit-def: $vgpr17
.LBB69_6:
	s_or_saveexec_b32 s28, s28
	v_mov_b32_e32 v16, v14
	s_xor_b32 exec_lo, exec_lo, s28
	s_cbranch_execz .LBB69_8
; %bb.7:
	ds_load_u8 v16, v17 offset:9
	s_waitcnt lgkmcnt(1)
	v_mov_b32_e32 v15, v13
.LBB69_8:
	s_or_b32 exec_lo, exec_lo, s28
	v_add_nc_u32_e32 v17, 1, v1
	v_add_nc_u32_e32 v18, 1, v12
	s_waitcnt lgkmcnt(0)
	v_bfe_i32 v19, v15, 0, 8
	v_bfe_i32 v20, v16, 0, 8
	v_cndmask_b32_e64 v17, v17, v1, s27
	v_cndmask_b32_e64 v18, v12, v18, s27
	s_delay_alu instid0(VALU_DEP_3) | instskip(NEXT) | instid1(VALU_DEP_3)
	v_cmp_lt_i16_e64 s29, v20, v19
                                        ; implicit-def: $vgpr19
	v_cmp_ge_i32_e64 s28, v17, v11
	s_delay_alu instid0(VALU_DEP_3) | instskip(NEXT) | instid1(VALU_DEP_2)
	v_cmp_lt_i32_e64 s30, v18, v10
	s_or_b32 s28, s28, s29
	s_delay_alu instid0(VALU_DEP_1) | instid1(SALU_CYCLE_1)
	s_and_b32 s28, s30, s28
	s_delay_alu instid0(SALU_CYCLE_1) | instskip(NEXT) | instid1(SALU_CYCLE_1)
	s_xor_b32 s29, s28, -1
	s_and_saveexec_b32 s30, s29
	s_delay_alu instid0(SALU_CYCLE_1)
	s_xor_b32 s29, exec_lo, s30
	s_cbranch_execz .LBB69_10
; %bb.9:
	v_add_nc_u32_e32 v19, v0, v17
	ds_load_u8 v19, v19 offset:1
.LBB69_10:
	s_or_saveexec_b32 s29, s29
	v_mov_b32_e32 v20, v16
	s_xor_b32 exec_lo, exec_lo, s29
	s_cbranch_execz .LBB69_12
; %bb.11:
	s_waitcnt lgkmcnt(0)
	v_add_nc_u32_e32 v19, v0, v18
	ds_load_u8 v20, v19 offset:1
	v_mov_b32_e32 v19, v15
.LBB69_12:
	s_or_b32 exec_lo, exec_lo, s29
	v_add_nc_u32_e32 v21, 1, v17
	v_add_nc_u32_e32 v22, 1, v18
	s_waitcnt lgkmcnt(0)
	v_bfe_i32 v23, v19, 0, 8
	v_bfe_i32 v28, v20, 0, 8
	v_cndmask_b32_e64 v21, v21, v17, s28
	v_cndmask_b32_e64 v22, v18, v22, s28
	s_delay_alu instid0(VALU_DEP_3) | instskip(NEXT) | instid1(VALU_DEP_3)
	v_cmp_lt_i16_e64 s30, v28, v23
                                        ; implicit-def: $vgpr23
	v_cmp_ge_i32_e64 s29, v21, v11
	s_delay_alu instid0(VALU_DEP_3) | instskip(NEXT) | instid1(VALU_DEP_2)
	v_cmp_lt_i32_e64 s31, v22, v10
	s_or_b32 s29, s29, s30
	s_delay_alu instid0(VALU_DEP_1) | instid1(SALU_CYCLE_1)
	s_and_b32 s29, s31, s29
	s_delay_alu instid0(SALU_CYCLE_1) | instskip(NEXT) | instid1(SALU_CYCLE_1)
	s_xor_b32 s30, s29, -1
	s_and_saveexec_b32 s31, s30
	s_delay_alu instid0(SALU_CYCLE_1)
	s_xor_b32 s30, exec_lo, s31
	s_cbranch_execz .LBB69_14
; %bb.13:
	v_add_nc_u32_e32 v23, v0, v21
	ds_load_u8 v23, v23 offset:1
.LBB69_14:
	s_or_saveexec_b32 s30, s30
	v_mov_b32_e32 v28, v20
	s_xor_b32 exec_lo, exec_lo, s30
	s_cbranch_execz .LBB69_16
; %bb.15:
	s_waitcnt lgkmcnt(0)
	v_add_nc_u32_e32 v23, v0, v22
	ds_load_u8 v28, v23 offset:1
	v_mov_b32_e32 v23, v19
.LBB69_16:
	s_or_b32 exec_lo, exec_lo, s30
	v_add_nc_u32_e32 v29, 1, v21
	v_add_nc_u32_e32 v30, 1, v22
	s_waitcnt lgkmcnt(0)
	v_bfe_i32 v31, v23, 0, 8
	v_bfe_i32 v32, v28, 0, 8
	v_cndmask_b32_e64 v29, v29, v21, s29
	v_cndmask_b32_e64 v30, v22, v30, s29
	s_delay_alu instid0(VALU_DEP_3) | instskip(NEXT) | instid1(VALU_DEP_3)
	v_cmp_lt_i16_e64 s31, v32, v31
                                        ; implicit-def: $vgpr31
	v_cmp_ge_i32_e64 s30, v29, v11
	s_delay_alu instid0(VALU_DEP_3) | instskip(NEXT) | instid1(VALU_DEP_2)
	v_cmp_lt_i32_e64 s33, v30, v10
	s_or_b32 s30, s30, s31
	s_delay_alu instid0(VALU_DEP_1) | instid1(SALU_CYCLE_1)
	s_and_b32 s30, s33, s30
	s_delay_alu instid0(SALU_CYCLE_1) | instskip(NEXT) | instid1(SALU_CYCLE_1)
	s_xor_b32 s31, s30, -1
	s_and_saveexec_b32 s33, s31
	s_delay_alu instid0(SALU_CYCLE_1)
	s_xor_b32 s31, exec_lo, s33
	s_cbranch_execz .LBB69_18
; %bb.17:
	v_add_nc_u32_e32 v31, v0, v29
	ds_load_u8 v31, v31 offset:1
.LBB69_18:
	s_or_saveexec_b32 s31, s31
	v_mov_b32_e32 v33, v28
	s_xor_b32 exec_lo, exec_lo, s31
	s_cbranch_execz .LBB69_20
; %bb.19:
	s_waitcnt lgkmcnt(0)
	v_add_nc_u32_e32 v31, v0, v30
	ds_load_u8 v33, v31 offset:1
	v_mov_b32_e32 v31, v23
.LBB69_20:
	s_or_b32 exec_lo, exec_lo, s31
	v_add_nc_u32_e32 v32, 1, v29
	v_add_nc_u32_e32 v34, 1, v30
	s_waitcnt lgkmcnt(0)
	v_bfe_i32 v35, v31, 0, 8
                                        ; implicit-def: $vgpr39
	s_delay_alu instid0(VALU_DEP_3) | instskip(SKIP_2) | instid1(VALU_DEP_3)
	v_cndmask_b32_e64 v37, v32, v29, s30
	v_bfe_i32 v32, v33, 0, 8
	v_cndmask_b32_e64 v38, v30, v34, s30
	v_cmp_ge_i32_e64 s31, v37, v11
	s_delay_alu instid0(VALU_DEP_3) | instskip(NEXT) | instid1(VALU_DEP_3)
	v_cmp_lt_i16_e64 s33, v32, v35
	v_cmp_lt_i32_e64 s34, v38, v10
	s_delay_alu instid0(VALU_DEP_2)
	s_or_b32 s31, s31, s33
	s_delay_alu instid0(VALU_DEP_1) | instid1(SALU_CYCLE_1)
	s_and_b32 s33, s34, s31
	s_delay_alu instid0(SALU_CYCLE_1) | instskip(NEXT) | instid1(SALU_CYCLE_1)
	s_xor_b32 s31, s33, -1
	s_and_saveexec_b32 s34, s31
	s_delay_alu instid0(SALU_CYCLE_1)
	s_xor_b32 s31, exec_lo, s34
	s_cbranch_execz .LBB69_22
; %bb.21:
	v_add_nc_u32_e32 v32, v0, v37
	ds_load_u8 v39, v32 offset:1
.LBB69_22:
	s_or_saveexec_b32 s31, s31
	v_mov_b32_e32 v40, v33
	s_xor_b32 exec_lo, exec_lo, s31
	s_cbranch_execz .LBB69_24
; %bb.23:
	s_waitcnt lgkmcnt(0)
	v_dual_mov_b32 v39, v31 :: v_dual_add_nc_u32 v32, v0, v38
	ds_load_u8 v40, v32 offset:1
.LBB69_24:
	s_or_b32 exec_lo, exec_lo, s31
	v_add_nc_u32_e32 v32, 1, v37
	v_add_nc_u32_e32 v34, 1, v38
	s_waitcnt lgkmcnt(0)
	v_bfe_i32 v35, v39, 0, 8
                                        ; implicit-def: $vgpr43
	s_delay_alu instid0(VALU_DEP_3) | instskip(SKIP_2) | instid1(VALU_DEP_3)
	v_cndmask_b32_e64 v41, v32, v37, s33
	v_bfe_i32 v32, v40, 0, 8
	v_cndmask_b32_e64 v42, v38, v34, s33
	v_cmp_ge_i32_e64 s31, v41, v11
	s_delay_alu instid0(VALU_DEP_3) | instskip(NEXT) | instid1(VALU_DEP_3)
	v_cmp_lt_i16_e64 s34, v32, v35
	v_cmp_lt_i32_e64 s35, v42, v10
	s_delay_alu instid0(VALU_DEP_2)
	s_or_b32 s31, s31, s34
	s_delay_alu instid0(VALU_DEP_1) | instid1(SALU_CYCLE_1)
	s_and_b32 s34, s35, s31
	s_delay_alu instid0(SALU_CYCLE_1) | instskip(NEXT) | instid1(SALU_CYCLE_1)
	s_xor_b32 s31, s34, -1
	s_and_saveexec_b32 s35, s31
	s_delay_alu instid0(SALU_CYCLE_1)
	s_xor_b32 s31, exec_lo, s35
	s_cbranch_execz .LBB69_26
; %bb.25:
	v_add_nc_u32_e32 v32, v0, v41
	ds_load_u8 v43, v32 offset:1
.LBB69_26:
	s_or_saveexec_b32 s31, s31
	v_mov_b32_e32 v44, v40
	s_xor_b32 exec_lo, exec_lo, s31
	s_cbranch_execz .LBB69_28
; %bb.27:
	s_waitcnt lgkmcnt(0)
	v_dual_mov_b32 v43, v39 :: v_dual_add_nc_u32 v32, v0, v42
	ds_load_u8 v44, v32 offset:1
.LBB69_28:
	s_or_b32 exec_lo, exec_lo, s31
	v_add_nc_u32_e32 v32, 1, v41
	v_add_nc_u32_e32 v34, 1, v42
	s_waitcnt lgkmcnt(0)
	v_bfe_i32 v45, v43, 0, 8
	s_delay_alu instid0(VALU_DEP_3) | instskip(SKIP_2) | instid1(VALU_DEP_3)
	v_cndmask_b32_e64 v35, v32, v41, s34
	v_bfe_i32 v32, v44, 0, 8
	v_cndmask_b32_e64 v36, v42, v34, s34
	v_cmp_ge_i32_e64 s31, v35, v11
	s_delay_alu instid0(VALU_DEP_3) | instskip(NEXT) | instid1(VALU_DEP_3)
	v_cmp_lt_i16_e64 s35, v32, v45
	v_cmp_lt_i32_e64 s36, v36, v10
                                        ; implicit-def: $vgpr32
	s_delay_alu instid0(VALU_DEP_2)
	s_or_b32 s31, s31, s35
	s_delay_alu instid0(VALU_DEP_1) | instid1(SALU_CYCLE_1)
	s_and_b32 s31, s36, s31
	s_delay_alu instid0(SALU_CYCLE_1) | instskip(NEXT) | instid1(SALU_CYCLE_1)
	s_xor_b32 s35, s31, -1
	s_and_saveexec_b32 s36, s35
	s_delay_alu instid0(SALU_CYCLE_1)
	s_xor_b32 s35, exec_lo, s36
	s_cbranch_execz .LBB69_30
; %bb.29:
	v_add_nc_u32_e32 v32, v0, v35
	ds_load_u8 v32, v32 offset:1
.LBB69_30:
	s_or_saveexec_b32 s35, s35
	v_mov_b32_e32 v34, v44
	s_xor_b32 exec_lo, exec_lo, s35
	s_cbranch_execz .LBB69_32
; %bb.31:
	s_waitcnt lgkmcnt(0)
	v_add_nc_u32_e32 v32, v0, v36
	ds_load_u8 v34, v32 offset:1
	v_mov_b32_e32 v32, v43
.LBB69_32:
	s_or_b32 exec_lo, exec_lo, s35
	v_add_nc_u16 v7, v7, 1
	v_add_nc_u16 v8, v8, 1
	;; [unrolled: 1-line block ×4, first 2 shown]
	v_lshlrev_b16 v9, 8, v9
	v_and_b32_e32 v46, 0xff, v7
	v_lshlrev_b16 v45, 8, v8
	v_lshlrev_b16 v7, 8, v7
	v_and_b32_e32 v8, 0xff, v8
	v_and_b32_e32 v2, 0xff, v2
	v_lshlrev_b16 v27, 8, v27
	v_or_b32_e32 v45, v46, v45
	v_add_nc_u16 v24, v24, 1
	v_or_b32_e32 v7, v8, v7
	v_or_b32_e32 v2, v9, v2
	v_lshlrev_b16 v25, 8, v25
	v_and_b32_e32 v9, 0xffff, v45
	v_and_b32_e32 v24, 0xff, v24
	;; [unrolled: 1-line block ×4, first 2 shown]
	v_add_nc_u16 v2, v2, 0x100
	v_cndmask_b32_e64 v19, v19, v20, s29
	v_or_b32_e32 v8, v25, v24
	v_cndmask_b32_e32 v7, v9, v7, vcc_lo
	v_or_b32_e32 v26, v27, v26
	v_and_b32_e32 v2, 0xffff, v2
	v_cndmask_b32_e64 v20, v21, v22, s29
	v_add_nc_u16 v8, v8, 0x100
	v_cndmask_b32_e64 v22, v15, v16, s28
	v_add_nc_u16 v24, v26, 0x100
	v_cndmask_b32_e64 v17, v17, v18, s28
	v_cndmask_b32_e64 v13, v13, v14, s27
	v_lshlrev_b32_e32 v8, 16, v8
	v_cndmask_b32_e64 v1, v1, v12, s27
	v_lshlrev_b32_e32 v25, 16, v24
	v_perm_b32 v9, 0, v24, 0xc0c0001
	s_waitcnt lgkmcnt(0)
	v_bfe_i32 v12, v32, 0, 8
	v_or_b32_e32 v2, v2, v8
	v_bfe_i32 v14, v34, 0, 8
	v_or_b32_e32 v7, v7, v25
	v_lshlrev_b32_e32 v9, 16, v9
	v_add_nc_u32_e32 v25, 1, v36
	v_add_nc_u32_e32 v26, 1, v35
	v_cmp_lt_i16_e32 vcc_lo, v14, v12
	v_add_nc_u32_e32 v12, v0, v1
	v_and_or_b32 v8, 0xffff, v7, v9
	v_perm_b32 v9, v2, v2, 0x7060405
	v_cndmask_b32_e64 v18, v36, v25, s31
	v_lshlrev_b16 v22, 8, v22
	v_and_b32_e32 v13, 0xff, v13
	v_cndmask_b32_e64 v7, v7, v8, s0
	v_cndmask_b32_e64 v2, v2, v9, s1
	v_cmp_lt_i32_e64 s1, v18, v10
	v_cndmask_b32_e64 v31, v31, v33, s33
	v_cndmask_b32_e64 v33, v37, v38, s33
	v_perm_b32 v8, v7, v7, 0x7050604
	v_perm_b32 v9, v2, v2, 0x6070504
	v_or_b32_e32 v22, v13, v22
	v_cndmask_b32_e64 v27, v35, v36, s31
	v_cndmask_b32_e64 v39, v39, v40, s34
	;; [unrolled: 1-line block ×5, first 2 shown]
	v_add_nc_u32_e32 v14, v0, v17
	v_add_nc_u32_e32 v17, v0, v20
	v_lshrrev_b32_e32 v8, 16, v7
	v_lshlrev_b16 v9, 8, v2
	; wave barrier
	v_cndmask_b32_e64 v23, v23, v28, s30
	s_delay_alu instid0(VALU_DEP_3)
	v_and_b32_e32 v8, 0xff, v8
	v_and_b32_e32 v15, 0x60, v6
	;; [unrolled: 1-line block ×4, first 2 shown]
	v_lshlrev_b16 v23, 8, v23
	v_or_b32_e32 v8, v8, v9
	s_delay_alu instid0(VALU_DEP_1) | instskip(NEXT) | instid1(VALU_DEP_1)
	v_lshlrev_b32_e32 v8, 16, v8
	v_and_or_b32 v8, 0xffff, v7, v8
	s_delay_alu instid0(VALU_DEP_1) | instskip(SKIP_1) | instid1(VALU_DEP_2)
	v_cndmask_b32_e64 v8, v7, v8, s2
	v_perm_b32 v7, v7, v2, 0x3020107
	v_perm_b32 v9, 0, v8, 0xc0c0001
	s_delay_alu instid0(VALU_DEP_2) | instskip(NEXT) | instid1(VALU_DEP_2)
	v_cndmask_b32_e64 v2, v2, v7, s2
	v_and_or_b32 v9, 0xffff0000, v8, v9
	s_delay_alu instid0(VALU_DEP_1) | instskip(NEXT) | instid1(VALU_DEP_1)
	v_cndmask_b32_e64 v8, v8, v9, s5
	v_lshrrev_b32_e32 v9, 16, v8
	s_delay_alu instid0(VALU_DEP_1) | instskip(SKIP_1) | instid1(VALU_DEP_2)
	v_perm_b32 v7, 0, v9, 0xc0c0001
	v_perm_b32 v9, v2, v2, 0x7050604
	v_lshlrev_b32_e32 v7, 16, v7
	s_delay_alu instid0(VALU_DEP_2) | instskip(NEXT) | instid1(VALU_DEP_2)
	v_cndmask_b32_e64 v2, v2, v9, s6
	v_and_or_b32 v7, 0xffff, v8, v7
	s_delay_alu instid0(VALU_DEP_2) | instskip(NEXT) | instid1(VALU_DEP_2)
	v_perm_b32 v9, v2, v2, 0x7060405
	v_cndmask_b32_e64 v7, v8, v7, s8
	s_delay_alu instid0(VALU_DEP_2) | instskip(NEXT) | instid1(VALU_DEP_2)
	v_cndmask_b32_e64 v2, v2, v9, s9
	v_perm_b32 v8, v7, v7, 0x7050604
	s_delay_alu instid0(VALU_DEP_2) | instskip(NEXT) | instid1(VALU_DEP_2)
	v_perm_b32 v9, v2, v2, 0x6070504
	v_cndmask_b32_e64 v7, v7, v8, s13
	s_delay_alu instid0(VALU_DEP_2) | instskip(NEXT) | instid1(VALU_DEP_2)
	v_cndmask_b32_e64 v2, v2, v9, s14
	v_lshrrev_b32_e32 v8, 16, v7
	s_delay_alu instid0(VALU_DEP_2) | instskip(NEXT) | instid1(VALU_DEP_2)
	v_lshlrev_b16 v9, 8, v2
	v_and_b32_e32 v8, 0xff, v8
	s_delay_alu instid0(VALU_DEP_1) | instskip(NEXT) | instid1(VALU_DEP_1)
	v_or_b32_e32 v8, v8, v9
	v_lshlrev_b32_e32 v8, 16, v8
	s_delay_alu instid0(VALU_DEP_1) | instskip(NEXT) | instid1(VALU_DEP_1)
	v_and_or_b32 v8, 0xffff, v7, v8
	v_cndmask_b32_e64 v8, v7, v8, s12
	v_perm_b32 v7, v7, v2, 0x3020107
	s_delay_alu instid0(VALU_DEP_2) | instskip(NEXT) | instid1(VALU_DEP_2)
	v_perm_b32 v9, 0, v8, 0xc0c0001
	v_cndmask_b32_e64 v2, v2, v7, s12
	s_delay_alu instid0(VALU_DEP_2) | instskip(NEXT) | instid1(VALU_DEP_1)
	v_and_or_b32 v9, 0xffff0000, v8, v9
	v_cndmask_b32_e64 v8, v8, v9, s18
	s_delay_alu instid0(VALU_DEP_1) | instskip(NEXT) | instid1(VALU_DEP_1)
	v_lshrrev_b32_e32 v9, 16, v8
	v_perm_b32 v7, 0, v9, 0xc0c0001
	v_perm_b32 v9, v2, v2, 0x7050604
	s_delay_alu instid0(VALU_DEP_2) | instskip(NEXT) | instid1(VALU_DEP_2)
	v_lshlrev_b32_e32 v7, 16, v7
	v_cndmask_b32_e64 v2, v2, v9, s19
	s_delay_alu instid0(VALU_DEP_2) | instskip(NEXT) | instid1(VALU_DEP_2)
	v_and_or_b32 v7, 0xffff, v8, v7
	v_perm_b32 v9, v2, v2, 0x7060405
	s_delay_alu instid0(VALU_DEP_2) | instskip(NEXT) | instid1(VALU_DEP_2)
	v_cndmask_b32_e64 v7, v8, v7, s20
	v_cndmask_b32_e64 v2, v2, v9, s21
	s_delay_alu instid0(VALU_DEP_2) | instskip(NEXT) | instid1(VALU_DEP_2)
	v_perm_b32 v8, v7, v7, 0x7050604
	v_perm_b32 v9, v2, v2, 0x6070504
	s_delay_alu instid0(VALU_DEP_2) | instskip(NEXT) | instid1(VALU_DEP_2)
	v_cndmask_b32_e64 v7, v7, v8, s24
	v_cndmask_b32_e64 v2, v2, v9, s25
	s_delay_alu instid0(VALU_DEP_2) | instskip(NEXT) | instid1(VALU_DEP_2)
	v_lshrrev_b32_e32 v8, 16, v7
	v_lshlrev_b16 v9, 8, v2
	s_delay_alu instid0(VALU_DEP_2) | instskip(NEXT) | instid1(VALU_DEP_1)
	v_and_b32_e32 v8, 0xff, v8
	v_or_b32_e32 v8, v8, v9
	v_cndmask_b32_e64 v9, v43, v44, s31
	s_delay_alu instid0(VALU_DEP_2) | instskip(NEXT) | instid1(VALU_DEP_1)
	v_lshlrev_b32_e32 v8, 16, v8
	v_and_or_b32 v8, 0xffff, v7, v8
	s_delay_alu instid0(VALU_DEP_1) | instskip(SKIP_1) | instid1(VALU_DEP_2)
	v_cndmask_b32_e64 v8, v7, v8, s22
	v_perm_b32 v7, v7, v2, 0x3020107
	v_perm_b32 v24, 0, v8, 0xc0c0001
	s_delay_alu instid0(VALU_DEP_2) | instskip(NEXT) | instid1(VALU_DEP_2)
	v_cndmask_b32_e64 v2, v2, v7, s22
	v_and_or_b32 v24, 0xffff0000, v8, v24
	s_delay_alu instid0(VALU_DEP_2) | instskip(NEXT) | instid1(VALU_DEP_2)
	v_perm_b32 v16, v2, v2, 0x7050604
	v_cndmask_b32_e64 v8, v8, v24, s26
	s_delay_alu instid0(VALU_DEP_2)
	v_cndmask_b32_e64 v2, v2, v16, s7
	v_cndmask_b32_e64 v24, v29, v30, s30
	v_and_b32_e32 v29, 0xff, v9
	v_and_b32_e32 v16, 24, v6
	v_lshrrev_b32_e32 v21, 16, v8
	v_perm_b32 v25, v2, v2, 0x7060405
	v_add_nc_u32_e32 v20, v0, v24
	v_add_nc_u32_e32 v24, v0, v33
	s_delay_alu instid0(VALU_DEP_4) | instskip(NEXT) | instid1(VALU_DEP_4)
	v_perm_b32 v7, 0, v21, 0xc0c0001
	v_cndmask_b32_e64 v1, v2, v25, s10
	v_cndmask_b32_e64 v21, v26, v35, s31
	v_add_nc_u32_e32 v25, v0, v40
	v_add_nc_u32_e32 v26, v0, v27
	v_lshlrev_b32_e32 v7, 16, v7
	v_lshlrev_b16 v27, 8, v39
	v_cmp_ge_i32_e64 s0, v21, v11
	s_delay_alu instid0(VALU_DEP_3) | instskip(NEXT) | instid1(VALU_DEP_2)
	v_and_or_b32 v7, 0xffff, v8, v7
	s_or_b32 s0, s0, vcc_lo
	s_delay_alu instid0(SALU_CYCLE_1) | instskip(NEXT) | instid1(VALU_DEP_1)
	s_and_b32 vcc_lo, s1, s0
	v_cndmask_b32_e64 v7, v8, v7, s11
	v_perm_b32 v8, v1, v1, 0x6070504
	v_cndmask_b32_e32 v13, v21, v18, vcc_lo
	v_cndmask_b32_e32 v11, v32, v34, vcc_lo
	v_or_b32_e32 v18, v19, v23
	v_perm_b32 v2, v7, v7, 0x7050604
	v_cndmask_b32_e64 v8, v1, v8, s15
	v_add_nc_u32_e32 v13, v0, v13
	v_lshlrev_b16 v21, 8, v11
	v_lshlrev_b32_e32 v18, 16, v18
	v_cndmask_b32_e64 v7, v7, v2, s16
	v_lshlrev_b16 v2, 8, v8
	s_mov_b32 s0, 0
	v_or_b32_e32 v21, v29, v21
	s_mov_b32 s1, exec_lo
	v_lshrrev_b32_e32 v1, 16, v7
	v_perm_b32 v9, v7, v8, 0x3020107
	s_delay_alu instid0(VALU_DEP_3) | instskip(NEXT) | instid1(VALU_DEP_3)
	v_lshlrev_b32_e32 v21, 16, v21
	v_and_b32_e32 v1, 0xff, v1
	s_delay_alu instid0(VALU_DEP_3) | instskip(NEXT) | instid1(VALU_DEP_2)
	v_cndmask_b32_e64 v8, v8, v9, s17
	v_or_b32_e32 v30, v1, v2
	s_delay_alu instid0(VALU_DEP_2) | instskip(SKIP_2) | instid1(VALU_DEP_4)
	v_perm_b32 v10, v8, v8, 0x7050604
	v_or_b32_e32 v2, 16, v15
	v_add_nc_u32_e32 v1, 32, v15
	v_lshlrev_b32_e32 v9, 16, v30
	s_delay_alu instid0(VALU_DEP_4) | instskip(NEXT) | instid1(VALU_DEP_4)
	v_cndmask_b32_e64 v8, v8, v10, s23
	v_sub_nc_u32_e32 v23, v2, v15
	s_delay_alu instid0(VALU_DEP_4) | instskip(NEXT) | instid1(VALU_DEP_4)
	v_sub_nc_u32_e32 v19, v1, v2
	v_and_or_b32 v9, 0xffff, v7, v9
	s_delay_alu instid0(VALU_DEP_2) | instskip(NEXT) | instid1(VALU_DEP_2)
	v_cmp_ge_i32_e32 vcc_lo, v16, v19
	v_cndmask_b32_e64 v7, v7, v9, s17
	ds_store_b64 v4, v[7:8]
	; wave barrier
	ds_load_u8 v8, v12
	ds_load_u8 v10, v14
	ds_load_u8 v7, v17
	ds_load_u8 v9, v20
	ds_load_u8 v12, v24
	ds_load_u8 v14, v25
	ds_load_u8 v11, v26
	ds_load_u8 v13, v13
	v_or_b32_e32 v17, v28, v27
	v_and_b32_e32 v20, 0xffff, v22
	v_sub_nc_u32_e32 v22, v16, v19
	; wave barrier
	s_delay_alu instid0(VALU_DEP_3) | instskip(SKIP_1) | instid1(VALU_DEP_3)
	v_and_b32_e32 v24, 0xffff, v17
	v_min_i32_e32 v17, v16, v23
	v_cndmask_b32_e32 v19, 0, v22, vcc_lo
	v_or_b32_e32 v20, v20, v18
	s_delay_alu instid0(VALU_DEP_4)
	v_or_b32_e32 v21, v24, v21
	ds_store_b64 v4, v[20:21]
	; wave barrier
	v_cmpx_lt_i32_e64 v19, v17
	s_cbranch_execz .LBB69_36
; %bb.33:
	v_add_nc_u32_e32 v18, v0, v15
	s_delay_alu instid0(VALU_DEP_1)
	v_add3_u32 v20, v18, v16, 16
	.p2align	6
.LBB69_34:                              ; =>This Inner Loop Header: Depth=1
	v_sub_nc_u32_e32 v21, v17, v19
	s_delay_alu instid0(VALU_DEP_1) | instskip(NEXT) | instid1(VALU_DEP_1)
	v_lshrrev_b32_e32 v22, 31, v21
	v_add_nc_u32_e32 v21, v21, v22
	s_delay_alu instid0(VALU_DEP_1) | instskip(NEXT) | instid1(VALU_DEP_1)
	v_ashrrev_i32_e32 v21, 1, v21
	v_add_nc_u32_e32 v21, v21, v19
	s_delay_alu instid0(VALU_DEP_1)
	v_add_nc_u32_e32 v24, 1, v21
	v_add_nc_u32_e32 v22, v18, v21
	v_xad_u32 v23, v21, -1, v20
	ds_load_i8 v22, v22
	ds_load_i8 v23, v23
	s_waitcnt lgkmcnt(0)
	v_cmp_lt_i16_e32 vcc_lo, v23, v22
	v_cndmask_b32_e32 v19, v24, v19, vcc_lo
	v_cndmask_b32_e32 v17, v17, v21, vcc_lo
	s_delay_alu instid0(VALU_DEP_1) | instskip(SKIP_1) | instid1(SALU_CYCLE_1)
	v_cmp_ge_i32_e32 vcc_lo, v19, v17
	s_or_b32 s0, vcc_lo, s0
	s_and_not1_b32 exec_lo, exec_lo, s0
	s_cbranch_execnz .LBB69_34
; %bb.35:
	s_or_b32 exec_lo, exec_lo, s0
.LBB69_36:
	s_delay_alu instid0(SALU_CYCLE_1) | instskip(SKIP_4) | instid1(VALU_DEP_4)
	s_or_b32 exec_lo, exec_lo, s1
	v_add_nc_u32_e32 v17, v15, v16
	v_add_nc_u32_e32 v15, v19, v15
	;; [unrolled: 1-line block ×3, first 2 shown]
	v_cmp_lt_i32_e32 vcc_lo, 15, v19
	v_sub_nc_u32_e32 v17, v17, v19
	s_delay_alu instid0(VALU_DEP_4) | instskip(NEXT) | instid1(VALU_DEP_4)
	v_add_nc_u32_e32 v20, v0, v15
	v_sub_nc_u32_e32 v16, v16, v19
                                        ; implicit-def: $vgpr19
	s_delay_alu instid0(VALU_DEP_3)
	v_add_nc_u32_e32 v21, v0, v17
	ds_load_u8 v17, v20
	ds_load_u8 v18, v21 offset:16
	v_cmp_gt_i32_e64 s1, v1, v16
	s_waitcnt lgkmcnt(1)
	v_bfe_i32 v17, v17, 0, 8
	s_waitcnt lgkmcnt(0)
	v_bfe_i32 v18, v18, 0, 8
	s_delay_alu instid0(VALU_DEP_1) | instskip(NEXT) | instid1(VALU_DEP_1)
	v_cmp_lt_i16_e64 s0, v18, v17
	s_or_b32 s0, vcc_lo, s0
	s_delay_alu instid0(SALU_CYCLE_1) | instskip(NEXT) | instid1(SALU_CYCLE_1)
	s_and_b32 vcc_lo, s1, s0
	s_xor_b32 s0, vcc_lo, -1
	s_delay_alu instid0(SALU_CYCLE_1) | instskip(NEXT) | instid1(SALU_CYCLE_1)
	s_and_saveexec_b32 s1, s0
	s_xor_b32 s0, exec_lo, s1
	s_cbranch_execz .LBB69_38
; %bb.37:
	ds_load_u8 v19, v20 offset:1
                                        ; implicit-def: $vgpr21
.LBB69_38:
	s_or_saveexec_b32 s0, s0
	v_mov_b32_e32 v20, v18
	s_xor_b32 exec_lo, exec_lo, s0
	s_cbranch_execz .LBB69_40
; %bb.39:
	ds_load_u8 v20, v21 offset:17
	s_waitcnt lgkmcnt(1)
	v_mov_b32_e32 v19, v17
.LBB69_40:
	s_or_b32 exec_lo, exec_lo, s0
	v_add_nc_u32_e32 v22, 1, v16
	v_add_nc_u32_e32 v21, 1, v15
	s_waitcnt lgkmcnt(0)
	v_bfe_i32 v23, v19, 0, 8
	v_bfe_i32 v24, v20, 0, 8
	s_delay_alu instid0(VALU_DEP_3) | instskip(NEXT) | instid1(VALU_DEP_2)
	v_dual_cndmask_b32 v22, v16, v22 :: v_dual_cndmask_b32 v21, v21, v15
	v_cmp_lt_i16_e64 s1, v24, v23
                                        ; implicit-def: $vgpr23
	s_delay_alu instid0(VALU_DEP_2) | instskip(NEXT) | instid1(VALU_DEP_3)
	v_cmp_lt_i32_e64 s2, v22, v1
	v_cmp_ge_i32_e64 s0, v21, v2
	s_delay_alu instid0(VALU_DEP_1)
	s_or_b32 s0, s0, s1
	s_delay_alu instid0(VALU_DEP_2) | instid1(SALU_CYCLE_1)
	s_and_b32 s0, s2, s0
	s_delay_alu instid0(SALU_CYCLE_1) | instskip(NEXT) | instid1(SALU_CYCLE_1)
	s_xor_b32 s1, s0, -1
	s_and_saveexec_b32 s2, s1
	s_delay_alu instid0(SALU_CYCLE_1)
	s_xor_b32 s1, exec_lo, s2
	s_cbranch_execz .LBB69_42
; %bb.41:
	v_add_nc_u32_e32 v23, v0, v21
	ds_load_u8 v23, v23 offset:1
.LBB69_42:
	s_or_saveexec_b32 s1, s1
	v_mov_b32_e32 v24, v20
	s_xor_b32 exec_lo, exec_lo, s1
	s_cbranch_execz .LBB69_44
; %bb.43:
	s_waitcnt lgkmcnt(0)
	v_add_nc_u32_e32 v23, v0, v22
	ds_load_u8 v24, v23 offset:1
	v_mov_b32_e32 v23, v19
.LBB69_44:
	s_or_b32 exec_lo, exec_lo, s1
	v_add_nc_u32_e32 v25, 1, v21
	v_add_nc_u32_e32 v26, 1, v22
	s_waitcnt lgkmcnt(0)
	v_bfe_i32 v27, v23, 0, 8
	v_bfe_i32 v28, v24, 0, 8
	v_cndmask_b32_e64 v25, v25, v21, s0
	v_cndmask_b32_e64 v26, v22, v26, s0
	s_delay_alu instid0(VALU_DEP_3) | instskip(NEXT) | instid1(VALU_DEP_3)
	v_cmp_lt_i16_e64 s2, v28, v27
                                        ; implicit-def: $vgpr27
	v_cmp_ge_i32_e64 s1, v25, v2
	s_delay_alu instid0(VALU_DEP_3) | instskip(NEXT) | instid1(VALU_DEP_2)
	v_cmp_lt_i32_e64 s3, v26, v1
	s_or_b32 s1, s1, s2
	s_delay_alu instid0(VALU_DEP_1) | instid1(SALU_CYCLE_1)
	s_and_b32 s1, s3, s1
	s_delay_alu instid0(SALU_CYCLE_1) | instskip(NEXT) | instid1(SALU_CYCLE_1)
	s_xor_b32 s2, s1, -1
	s_and_saveexec_b32 s3, s2
	s_delay_alu instid0(SALU_CYCLE_1)
	s_xor_b32 s2, exec_lo, s3
	s_cbranch_execz .LBB69_46
; %bb.45:
	v_add_nc_u32_e32 v27, v0, v25
	ds_load_u8 v27, v27 offset:1
.LBB69_46:
	s_or_saveexec_b32 s2, s2
	v_mov_b32_e32 v28, v24
	s_xor_b32 exec_lo, exec_lo, s2
	s_cbranch_execz .LBB69_48
; %bb.47:
	s_waitcnt lgkmcnt(0)
	v_add_nc_u32_e32 v27, v0, v26
	ds_load_u8 v28, v27 offset:1
	v_mov_b32_e32 v27, v23
.LBB69_48:
	s_or_b32 exec_lo, exec_lo, s2
	v_add_nc_u32_e32 v29, 1, v25
	v_add_nc_u32_e32 v30, 1, v26
	s_waitcnt lgkmcnt(0)
	v_bfe_i32 v31, v27, 0, 8
	v_bfe_i32 v32, v28, 0, 8
	v_cndmask_b32_e64 v29, v29, v25, s1
	v_cndmask_b32_e64 v30, v26, v30, s1
	s_delay_alu instid0(VALU_DEP_3) | instskip(NEXT) | instid1(VALU_DEP_3)
	v_cmp_lt_i16_e64 s3, v32, v31
                                        ; implicit-def: $vgpr31
	v_cmp_ge_i32_e64 s2, v29, v2
	s_delay_alu instid0(VALU_DEP_3) | instskip(NEXT) | instid1(VALU_DEP_2)
	v_cmp_lt_i32_e64 s4, v30, v1
	s_or_b32 s2, s2, s3
	s_delay_alu instid0(VALU_DEP_1) | instid1(SALU_CYCLE_1)
	s_and_b32 s2, s4, s2
	s_delay_alu instid0(SALU_CYCLE_1) | instskip(NEXT) | instid1(SALU_CYCLE_1)
	s_xor_b32 s3, s2, -1
	s_and_saveexec_b32 s4, s3
	s_delay_alu instid0(SALU_CYCLE_1)
	s_xor_b32 s3, exec_lo, s4
	s_cbranch_execz .LBB69_50
; %bb.49:
	v_add_nc_u32_e32 v31, v0, v29
	ds_load_u8 v31, v31 offset:1
.LBB69_50:
	s_or_saveexec_b32 s3, s3
	v_mov_b32_e32 v32, v28
	s_xor_b32 exec_lo, exec_lo, s3
	s_cbranch_execz .LBB69_52
; %bb.51:
	s_waitcnt lgkmcnt(0)
	v_add_nc_u32_e32 v31, v0, v30
	ds_load_u8 v32, v31 offset:1
	v_mov_b32_e32 v31, v27
.LBB69_52:
	s_or_b32 exec_lo, exec_lo, s3
	v_add_nc_u32_e32 v33, 1, v29
	v_add_nc_u32_e32 v34, 1, v30
	s_waitcnt lgkmcnt(0)
	v_bfe_i32 v35, v31, 0, 8
	v_bfe_i32 v36, v32, 0, 8
	v_cndmask_b32_e64 v33, v33, v29, s2
	v_cndmask_b32_e64 v34, v30, v34, s2
	s_delay_alu instid0(VALU_DEP_3) | instskip(NEXT) | instid1(VALU_DEP_3)
	v_cmp_lt_i16_e64 s4, v36, v35
                                        ; implicit-def: $vgpr35
	v_cmp_ge_i32_e64 s3, v33, v2
	s_delay_alu instid0(VALU_DEP_3) | instskip(NEXT) | instid1(VALU_DEP_2)
	v_cmp_lt_i32_e64 s5, v34, v1
	s_or_b32 s3, s3, s4
	s_delay_alu instid0(VALU_DEP_1) | instid1(SALU_CYCLE_1)
	s_and_b32 s3, s5, s3
	s_delay_alu instid0(SALU_CYCLE_1) | instskip(NEXT) | instid1(SALU_CYCLE_1)
	s_xor_b32 s4, s3, -1
	s_and_saveexec_b32 s5, s4
	s_delay_alu instid0(SALU_CYCLE_1)
	s_xor_b32 s4, exec_lo, s5
	s_cbranch_execz .LBB69_54
; %bb.53:
	v_add_nc_u32_e32 v35, v0, v33
	ds_load_u8 v35, v35 offset:1
.LBB69_54:
	s_or_saveexec_b32 s4, s4
	v_mov_b32_e32 v36, v32
	s_xor_b32 exec_lo, exec_lo, s4
	s_cbranch_execz .LBB69_56
; %bb.55:
	s_waitcnt lgkmcnt(0)
	v_add_nc_u32_e32 v35, v0, v34
	ds_load_u8 v36, v35 offset:1
	v_mov_b32_e32 v35, v31
.LBB69_56:
	s_or_b32 exec_lo, exec_lo, s4
	v_add_nc_u32_e32 v37, 1, v33
	v_add_nc_u32_e32 v38, 1, v34
	s_waitcnt lgkmcnt(0)
	v_bfe_i32 v39, v35, 0, 8
	v_bfe_i32 v40, v36, 0, 8
	v_cndmask_b32_e64 v37, v37, v33, s3
	v_cndmask_b32_e64 v38, v34, v38, s3
	s_delay_alu instid0(VALU_DEP_3) | instskip(NEXT) | instid1(VALU_DEP_3)
	v_cmp_lt_i16_e64 s5, v40, v39
                                        ; implicit-def: $vgpr40
	v_cmp_ge_i32_e64 s4, v37, v2
	s_delay_alu instid0(VALU_DEP_3) | instskip(NEXT) | instid1(VALU_DEP_2)
	v_cmp_lt_i32_e64 s6, v38, v1
	s_or_b32 s4, s4, s5
	s_delay_alu instid0(VALU_DEP_1) | instid1(SALU_CYCLE_1)
	s_and_b32 s4, s6, s4
	s_delay_alu instid0(SALU_CYCLE_1) | instskip(NEXT) | instid1(SALU_CYCLE_1)
	s_xor_b32 s5, s4, -1
	s_and_saveexec_b32 s6, s5
	s_delay_alu instid0(SALU_CYCLE_1)
	s_xor_b32 s5, exec_lo, s6
	s_cbranch_execz .LBB69_58
; %bb.57:
	v_add_nc_u32_e32 v39, v0, v37
	ds_load_u8 v40, v39 offset:1
.LBB69_58:
	s_or_saveexec_b32 s5, s5
	v_mov_b32_e32 v42, v36
	s_xor_b32 exec_lo, exec_lo, s5
	s_cbranch_execz .LBB69_60
; %bb.59:
	s_waitcnt lgkmcnt(0)
	v_dual_mov_b32 v40, v35 :: v_dual_add_nc_u32 v39, v0, v38
	ds_load_u8 v42, v39 offset:1
.LBB69_60:
	s_or_b32 exec_lo, exec_lo, s5
	v_add_nc_u32_e32 v39, 1, v37
	v_add_nc_u32_e32 v41, 1, v38
	s_waitcnt lgkmcnt(0)
	v_bfe_i32 v45, v40, 0, 8
	s_delay_alu instid0(VALU_DEP_3) | instskip(SKIP_2) | instid1(VALU_DEP_3)
	v_cndmask_b32_e64 v43, v39, v37, s4
	v_bfe_i32 v39, v42, 0, 8
	v_cndmask_b32_e64 v44, v38, v41, s4
	v_cmp_ge_i32_e64 s5, v43, v2
	s_delay_alu instid0(VALU_DEP_3) | instskip(NEXT) | instid1(VALU_DEP_3)
	v_cmp_lt_i16_e64 s6, v39, v45
	v_cmp_lt_i32_e64 s7, v44, v1
                                        ; implicit-def: $vgpr39
	s_delay_alu instid0(VALU_DEP_2)
	s_or_b32 s5, s5, s6
	s_delay_alu instid0(VALU_DEP_1) | instid1(SALU_CYCLE_1)
	s_and_b32 s5, s7, s5
	s_delay_alu instid0(SALU_CYCLE_1) | instskip(NEXT) | instid1(SALU_CYCLE_1)
	s_xor_b32 s6, s5, -1
	s_and_saveexec_b32 s7, s6
	s_delay_alu instid0(SALU_CYCLE_1)
	s_xor_b32 s6, exec_lo, s7
	s_cbranch_execz .LBB69_62
; %bb.61:
	v_add_nc_u32_e32 v39, v0, v43
	ds_load_u8 v39, v39 offset:1
.LBB69_62:
	s_or_saveexec_b32 s6, s6
	v_mov_b32_e32 v41, v42
	s_xor_b32 exec_lo, exec_lo, s6
	s_cbranch_execz .LBB69_64
; %bb.63:
	s_waitcnt lgkmcnt(0)
	v_add_nc_u32_e32 v39, v0, v44
	ds_load_u8 v41, v39 offset:1
	v_mov_b32_e32 v39, v40
.LBB69_64:
	s_or_b32 exec_lo, exec_lo, s6
	v_dual_cndmask_b32 v17, v17, v18 :: v_dual_add_nc_u32 v46, 1, v43
	v_cndmask_b32_e64 v40, v40, v42, s5
	v_cndmask_b32_e64 v42, v43, v44, s5
	v_lshlrev_b16 v14, 8, v14
	s_delay_alu instid0(VALU_DEP_4)
	v_cndmask_b32_e64 v43, v46, v43, s5
	v_and_b32_e32 v12, 0xff, v12
	v_lshlrev_b16 v13, 8, v13
	v_and_b32_e32 v11, 0xff, v11
	v_lshlrev_b16 v10, 8, v10
	;; [unrolled: 2-line block ×3, first 2 shown]
	v_and_b32_e32 v7, 0xff, v7
	v_add_nc_u32_e32 v45, 1, v44
	v_cndmask_b32_e64 v19, v19, v20, s0
	v_cndmask_b32_e64 v20, v21, v22, s0
	v_cmp_ge_i32_e64 s0, v43, v2
	s_waitcnt lgkmcnt(0)
	v_bfe_i32 v2, v39, 0, 8
	v_bfe_i32 v18, v41, 0, 8
	v_or_b32_e32 v12, v12, v14
	v_or_b32_e32 v8, v8, v10
	;; [unrolled: 1-line block ×3, first 2 shown]
	v_cndmask_b32_e32 v10, v15, v16, vcc_lo
	v_or_b32_e32 v11, v11, v13
	v_cndmask_b32_e64 v44, v44, v45, s5
	v_cndmask_b32_e64 v23, v23, v24, s1
	;; [unrolled: 1-line block ×3, first 2 shown]
	v_cmp_lt_i16_e64 s1, v18, v2
	v_and_b32_e32 v2, 0xffff, v12
	v_lshlrev_b32_e32 v9, 16, v11
	v_and_b32_e32 v8, 0xffff, v8
	v_lshlrev_b32_e32 v7, 16, v7
	v_cndmask_b32_e64 v27, v27, v28, s2
	v_cndmask_b32_e64 v28, v29, v30, s2
	v_cmp_lt_i32_e64 s2, v44, v1
	v_or_b32_e32 v2, v2, v9
	v_or_b32_e32 v1, v8, v7
	s_or_b32 s0, s0, s1
	v_cndmask_b32_e64 v35, v35, v36, s4
	s_and_b32 vcc_lo, s2, s0
	v_cndmask_b32_e64 v36, v37, v38, s4
	v_cndmask_b32_e32 v16, v39, v41, vcc_lo
	v_cndmask_b32_e64 v31, v31, v32, s3
	v_cndmask_b32_e64 v32, v33, v34, s3
	v_cndmask_b32_e32 v7, v43, v44, vcc_lo
	; wave barrier
	ds_store_b64 v4, v[1:2]
	v_add_nc_u32_e32 v1, v0, v10
	v_add_nc_u32_e32 v8, v0, v20
	v_and_b32_e32 v20, 0xff, v23
	v_add_nc_u32_e32 v9, v0, v24
	v_add_nc_u32_e32 v10, v0, v28
	v_add_nc_u32_e32 v11, v0, v32
	v_add_nc_u32_e32 v12, v0, v36
	; wave barrier
	v_add_nc_u32_e32 v13, v0, v42
	v_add_nc_u32_e32 v14, v0, v7
	ds_load_u8 v2, v1
	ds_load_u8 v8, v8
	;; [unrolled: 1-line block ×8, first 2 shown]
	v_lshlrev_b16 v18, 8, v19
	v_and_b32_e32 v17, 0xff, v17
	v_lshlrev_b16 v19, 8, v27
	v_and_b32_e32 v15, 64, v6
	v_and_b32_e32 v21, 0xff, v40
	v_lshlrev_b16 v22, 8, v16
	v_or_b32_e32 v17, v17, v18
	v_or_b32_e32 v18, v20, v19
	v_lshlrev_b16 v19, 8, v35
	v_and_b32_e32 v20, 0xff, v31
	v_or_b32_e32 v14, 32, v15
	v_add_nc_u32_e32 v13, 64, v15
	v_and_b32_e32 v16, 56, v6
	v_and_b32_e32 v17, 0xffff, v17
	v_or_b32_e32 v19, v20, v19
	v_or_b32_e32 v20, v21, v22
	v_sub_nc_u32_e32 v6, v13, v14
	v_lshlrev_b32_e32 v18, 16, v18
	v_sub_nc_u32_e32 v23, v14, v15
	v_and_b32_e32 v21, 0xffff, v19
	v_lshlrev_b32_e32 v20, 16, v20
	v_sub_nc_u32_e32 v22, v16, v6
	v_cmp_ge_i32_e32 vcc_lo, v16, v6
	v_or_b32_e32 v19, v17, v18
	v_min_i32_e32 v6, v16, v23
	v_or_b32_e32 v20, v21, v20
	s_mov_b32 s1, 0
	v_cndmask_b32_e32 v18, 0, v22, vcc_lo
	s_mov_b32 s0, exec_lo
	; wave barrier
	ds_store_b64 v4, v[19:20]
	; wave barrier
	v_cmpx_lt_i32_e64 v18, v6
	s_cbranch_execz .LBB69_68
; %bb.65:
	v_add_nc_u32_e32 v17, v0, v15
	s_delay_alu instid0(VALU_DEP_1)
	v_add3_u32 v19, v17, v16, 32
	.p2align	6
.LBB69_66:                              ; =>This Inner Loop Header: Depth=1
	v_sub_nc_u32_e32 v20, v6, v18
	s_delay_alu instid0(VALU_DEP_1) | instskip(NEXT) | instid1(VALU_DEP_1)
	v_lshrrev_b32_e32 v21, 31, v20
	v_add_nc_u32_e32 v20, v20, v21
	s_delay_alu instid0(VALU_DEP_1) | instskip(NEXT) | instid1(VALU_DEP_1)
	v_ashrrev_i32_e32 v20, 1, v20
	v_add_nc_u32_e32 v20, v20, v18
	s_delay_alu instid0(VALU_DEP_1)
	v_add_nc_u32_e32 v23, 1, v20
	v_add_nc_u32_e32 v21, v17, v20
	v_xad_u32 v22, v20, -1, v19
	ds_load_i8 v21, v21
	ds_load_i8 v22, v22
	s_waitcnt lgkmcnt(0)
	v_cmp_lt_i16_e32 vcc_lo, v22, v21
	v_cndmask_b32_e32 v18, v23, v18, vcc_lo
	v_cndmask_b32_e32 v6, v6, v20, vcc_lo
	s_delay_alu instid0(VALU_DEP_1) | instskip(SKIP_1) | instid1(SALU_CYCLE_1)
	v_cmp_ge_i32_e32 vcc_lo, v18, v6
	s_or_b32 s1, vcc_lo, s1
	s_and_not1_b32 exec_lo, exec_lo, s1
	s_cbranch_execnz .LBB69_66
; %bb.67:
	s_or_b32 exec_lo, exec_lo, s1
.LBB69_68:
	s_delay_alu instid0(SALU_CYCLE_1) | instskip(SKIP_4) | instid1(VALU_DEP_4)
	s_or_b32 exec_lo, exec_lo, s0
	v_add_nc_u32_e32 v17, v15, v16
	v_add_nc_u32_e32 v6, v18, v15
	;; [unrolled: 1-line block ×3, first 2 shown]
	v_cmp_lt_i32_e32 vcc_lo, 31, v18
	v_sub_nc_u32_e32 v15, v17, v18
	s_delay_alu instid0(VALU_DEP_4) | instskip(NEXT) | instid1(VALU_DEP_4)
	v_add_nc_u32_e32 v19, v0, v6
	v_sub_nc_u32_e32 v16, v16, v18
                                        ; implicit-def: $vgpr18
	s_delay_alu instid0(VALU_DEP_3)
	v_add_nc_u32_e32 v20, v0, v15
	ds_load_u8 v15, v19
	ds_load_u8 v17, v20 offset:32
	v_cmp_gt_i32_e64 s1, v13, v16
	s_waitcnt lgkmcnt(1)
	v_bfe_i32 v15, v15, 0, 8
	s_waitcnt lgkmcnt(0)
	v_bfe_i32 v17, v17, 0, 8
	s_delay_alu instid0(VALU_DEP_1) | instskip(NEXT) | instid1(VALU_DEP_1)
	v_cmp_lt_i16_e64 s0, v17, v15
	s_or_b32 s0, vcc_lo, s0
	s_delay_alu instid0(SALU_CYCLE_1) | instskip(NEXT) | instid1(SALU_CYCLE_1)
	s_and_b32 vcc_lo, s1, s0
	s_xor_b32 s0, vcc_lo, -1
	s_delay_alu instid0(SALU_CYCLE_1) | instskip(NEXT) | instid1(SALU_CYCLE_1)
	s_and_saveexec_b32 s1, s0
	s_xor_b32 s0, exec_lo, s1
	s_cbranch_execz .LBB69_70
; %bb.69:
	ds_load_u8 v18, v19 offset:1
                                        ; implicit-def: $vgpr20
.LBB69_70:
	s_or_saveexec_b32 s0, s0
	v_mov_b32_e32 v19, v17
	s_xor_b32 exec_lo, exec_lo, s0
	s_cbranch_execz .LBB69_72
; %bb.71:
	ds_load_u8 v19, v20 offset:33
	s_waitcnt lgkmcnt(1)
	v_mov_b32_e32 v18, v15
.LBB69_72:
	s_or_b32 exec_lo, exec_lo, s0
	v_add_nc_u32_e32 v21, 1, v16
	v_add_nc_u32_e32 v20, 1, v6
	s_waitcnt lgkmcnt(0)
	v_bfe_i32 v22, v18, 0, 8
	v_bfe_i32 v23, v19, 0, 8
	v_cndmask_b32_e32 v21, v16, v21, vcc_lo
	v_cndmask_b32_e32 v20, v20, v6, vcc_lo
	s_delay_alu instid0(VALU_DEP_3) | instskip(NEXT) | instid1(VALU_DEP_3)
	v_cmp_lt_i16_e64 s1, v23, v22
                                        ; implicit-def: $vgpr22
	v_cmp_lt_i32_e64 s2, v21, v13
	s_delay_alu instid0(VALU_DEP_3) | instskip(NEXT) | instid1(VALU_DEP_1)
	v_cmp_ge_i32_e64 s0, v20, v14
	s_or_b32 s0, s0, s1
	s_delay_alu instid0(VALU_DEP_2) | instid1(SALU_CYCLE_1)
	s_and_b32 s0, s2, s0
	s_delay_alu instid0(SALU_CYCLE_1) | instskip(NEXT) | instid1(SALU_CYCLE_1)
	s_xor_b32 s1, s0, -1
	s_and_saveexec_b32 s2, s1
	s_delay_alu instid0(SALU_CYCLE_1)
	s_xor_b32 s1, exec_lo, s2
	s_cbranch_execz .LBB69_74
; %bb.73:
	v_add_nc_u32_e32 v22, v0, v20
	ds_load_u8 v22, v22 offset:1
.LBB69_74:
	s_or_saveexec_b32 s1, s1
	v_mov_b32_e32 v23, v19
	s_xor_b32 exec_lo, exec_lo, s1
	s_cbranch_execz .LBB69_76
; %bb.75:
	s_waitcnt lgkmcnt(0)
	v_add_nc_u32_e32 v22, v0, v21
	ds_load_u8 v23, v22 offset:1
	v_mov_b32_e32 v22, v18
.LBB69_76:
	s_or_b32 exec_lo, exec_lo, s1
	v_add_nc_u32_e32 v24, 1, v20
	v_add_nc_u32_e32 v25, 1, v21
	s_waitcnt lgkmcnt(0)
	v_bfe_i32 v26, v22, 0, 8
	v_bfe_i32 v27, v23, 0, 8
	v_cndmask_b32_e64 v24, v24, v20, s0
	v_cndmask_b32_e64 v25, v21, v25, s0
	s_delay_alu instid0(VALU_DEP_3) | instskip(NEXT) | instid1(VALU_DEP_3)
	v_cmp_lt_i16_e64 s2, v27, v26
                                        ; implicit-def: $vgpr26
	v_cmp_ge_i32_e64 s1, v24, v14
	s_delay_alu instid0(VALU_DEP_3) | instskip(NEXT) | instid1(VALU_DEP_2)
	v_cmp_lt_i32_e64 s3, v25, v13
	s_or_b32 s1, s1, s2
	s_delay_alu instid0(VALU_DEP_1) | instid1(SALU_CYCLE_1)
	s_and_b32 s1, s3, s1
	s_delay_alu instid0(SALU_CYCLE_1) | instskip(NEXT) | instid1(SALU_CYCLE_1)
	s_xor_b32 s2, s1, -1
	s_and_saveexec_b32 s3, s2
	s_delay_alu instid0(SALU_CYCLE_1)
	s_xor_b32 s2, exec_lo, s3
	s_cbranch_execz .LBB69_78
; %bb.77:
	v_add_nc_u32_e32 v26, v0, v24
	ds_load_u8 v26, v26 offset:1
.LBB69_78:
	s_or_saveexec_b32 s2, s2
	v_mov_b32_e32 v27, v23
	s_xor_b32 exec_lo, exec_lo, s2
	s_cbranch_execz .LBB69_80
; %bb.79:
	s_waitcnt lgkmcnt(0)
	v_add_nc_u32_e32 v26, v0, v25
	ds_load_u8 v27, v26 offset:1
	v_mov_b32_e32 v26, v22
.LBB69_80:
	s_or_b32 exec_lo, exec_lo, s2
	v_add_nc_u32_e32 v28, 1, v24
	v_add_nc_u32_e32 v29, 1, v25
	s_waitcnt lgkmcnt(0)
	v_bfe_i32 v30, v26, 0, 8
	v_bfe_i32 v31, v27, 0, 8
	v_cndmask_b32_e64 v28, v28, v24, s1
	v_cndmask_b32_e64 v29, v25, v29, s1
	s_delay_alu instid0(VALU_DEP_3) | instskip(NEXT) | instid1(VALU_DEP_3)
	v_cmp_lt_i16_e64 s3, v31, v30
                                        ; implicit-def: $vgpr30
	v_cmp_ge_i32_e64 s2, v28, v14
	s_delay_alu instid0(VALU_DEP_3) | instskip(NEXT) | instid1(VALU_DEP_2)
	v_cmp_lt_i32_e64 s4, v29, v13
	s_or_b32 s2, s2, s3
	s_delay_alu instid0(VALU_DEP_1) | instid1(SALU_CYCLE_1)
	s_and_b32 s2, s4, s2
	s_delay_alu instid0(SALU_CYCLE_1) | instskip(NEXT) | instid1(SALU_CYCLE_1)
	s_xor_b32 s3, s2, -1
	s_and_saveexec_b32 s4, s3
	s_delay_alu instid0(SALU_CYCLE_1)
	s_xor_b32 s3, exec_lo, s4
	s_cbranch_execz .LBB69_82
; %bb.81:
	v_add_nc_u32_e32 v30, v0, v28
	ds_load_u8 v30, v30 offset:1
.LBB69_82:
	s_or_saveexec_b32 s3, s3
	v_mov_b32_e32 v31, v27
	s_xor_b32 exec_lo, exec_lo, s3
	s_cbranch_execz .LBB69_84
; %bb.83:
	s_waitcnt lgkmcnt(0)
	v_add_nc_u32_e32 v30, v0, v29
	ds_load_u8 v31, v30 offset:1
	v_mov_b32_e32 v30, v26
.LBB69_84:
	s_or_b32 exec_lo, exec_lo, s3
	v_add_nc_u32_e32 v32, 1, v28
	v_add_nc_u32_e32 v33, 1, v29
	s_waitcnt lgkmcnt(0)
	v_bfe_i32 v34, v30, 0, 8
	v_bfe_i32 v35, v31, 0, 8
	v_cndmask_b32_e64 v32, v32, v28, s2
	v_cndmask_b32_e64 v33, v29, v33, s2
	s_delay_alu instid0(VALU_DEP_3) | instskip(NEXT) | instid1(VALU_DEP_3)
	v_cmp_lt_i16_e64 s4, v35, v34
                                        ; implicit-def: $vgpr34
	v_cmp_ge_i32_e64 s3, v32, v14
	s_delay_alu instid0(VALU_DEP_3) | instskip(NEXT) | instid1(VALU_DEP_2)
	v_cmp_lt_i32_e64 s5, v33, v13
	s_or_b32 s3, s3, s4
	s_delay_alu instid0(VALU_DEP_1) | instid1(SALU_CYCLE_1)
	s_and_b32 s3, s5, s3
	s_delay_alu instid0(SALU_CYCLE_1) | instskip(NEXT) | instid1(SALU_CYCLE_1)
	s_xor_b32 s4, s3, -1
	s_and_saveexec_b32 s5, s4
	s_delay_alu instid0(SALU_CYCLE_1)
	s_xor_b32 s4, exec_lo, s5
	s_cbranch_execz .LBB69_86
; %bb.85:
	v_add_nc_u32_e32 v34, v0, v32
	ds_load_u8 v34, v34 offset:1
.LBB69_86:
	s_or_saveexec_b32 s4, s4
	v_mov_b32_e32 v35, v31
	s_xor_b32 exec_lo, exec_lo, s4
	s_cbranch_execz .LBB69_88
; %bb.87:
	s_waitcnt lgkmcnt(0)
	v_add_nc_u32_e32 v34, v0, v33
	ds_load_u8 v35, v34 offset:1
	v_mov_b32_e32 v34, v30
.LBB69_88:
	s_or_b32 exec_lo, exec_lo, s4
	v_add_nc_u32_e32 v36, 1, v32
	v_add_nc_u32_e32 v37, 1, v33
	s_waitcnt lgkmcnt(0)
	v_bfe_i32 v38, v34, 0, 8
	v_bfe_i32 v39, v35, 0, 8
	v_cndmask_b32_e64 v36, v36, v32, s3
	v_cndmask_b32_e64 v37, v33, v37, s3
	s_delay_alu instid0(VALU_DEP_3) | instskip(NEXT) | instid1(VALU_DEP_3)
	v_cmp_lt_i16_e64 s5, v39, v38
                                        ; implicit-def: $vgpr39
	v_cmp_ge_i32_e64 s4, v36, v14
	s_delay_alu instid0(VALU_DEP_3) | instskip(NEXT) | instid1(VALU_DEP_2)
	v_cmp_lt_i32_e64 s6, v37, v13
	s_or_b32 s4, s4, s5
	s_delay_alu instid0(VALU_DEP_1) | instid1(SALU_CYCLE_1)
	s_and_b32 s4, s6, s4
	s_delay_alu instid0(SALU_CYCLE_1) | instskip(NEXT) | instid1(SALU_CYCLE_1)
	s_xor_b32 s5, s4, -1
	s_and_saveexec_b32 s6, s5
	s_delay_alu instid0(SALU_CYCLE_1)
	s_xor_b32 s5, exec_lo, s6
	s_cbranch_execz .LBB69_90
; %bb.89:
	v_add_nc_u32_e32 v38, v0, v36
	ds_load_u8 v39, v38 offset:1
.LBB69_90:
	s_or_saveexec_b32 s5, s5
	v_mov_b32_e32 v41, v35
	s_xor_b32 exec_lo, exec_lo, s5
	s_cbranch_execz .LBB69_92
; %bb.91:
	s_waitcnt lgkmcnt(0)
	v_dual_mov_b32 v39, v34 :: v_dual_add_nc_u32 v38, v0, v37
	ds_load_u8 v41, v38 offset:1
.LBB69_92:
	s_or_b32 exec_lo, exec_lo, s5
	v_add_nc_u32_e32 v38, 1, v36
	v_add_nc_u32_e32 v40, 1, v37
	s_waitcnt lgkmcnt(0)
	v_bfe_i32 v44, v39, 0, 8
	s_delay_alu instid0(VALU_DEP_3) | instskip(SKIP_2) | instid1(VALU_DEP_3)
	v_cndmask_b32_e64 v42, v38, v36, s4
	v_bfe_i32 v38, v41, 0, 8
	v_cndmask_b32_e64 v43, v37, v40, s4
	v_cmp_ge_i32_e64 s5, v42, v14
	s_delay_alu instid0(VALU_DEP_3) | instskip(NEXT) | instid1(VALU_DEP_3)
	v_cmp_lt_i16_e64 s6, v38, v44
	v_cmp_lt_i32_e64 s7, v43, v13
                                        ; implicit-def: $vgpr38
	s_delay_alu instid0(VALU_DEP_2)
	s_or_b32 s5, s5, s6
	s_delay_alu instid0(VALU_DEP_1) | instid1(SALU_CYCLE_1)
	s_and_b32 s5, s7, s5
	s_delay_alu instid0(SALU_CYCLE_1) | instskip(NEXT) | instid1(SALU_CYCLE_1)
	s_xor_b32 s6, s5, -1
	s_and_saveexec_b32 s7, s6
	s_delay_alu instid0(SALU_CYCLE_1)
	s_xor_b32 s6, exec_lo, s7
	s_cbranch_execz .LBB69_94
; %bb.93:
	v_add_nc_u32_e32 v38, v0, v42
	ds_load_u8 v38, v38 offset:1
.LBB69_94:
	s_or_saveexec_b32 s6, s6
	v_mov_b32_e32 v40, v41
	s_xor_b32 exec_lo, exec_lo, s6
	s_cbranch_execz .LBB69_96
; %bb.95:
	s_waitcnt lgkmcnt(0)
	v_add_nc_u32_e32 v38, v0, v43
	ds_load_u8 v40, v38 offset:1
	v_mov_b32_e32 v38, v39
.LBB69_96:
	s_or_b32 exec_lo, exec_lo, s6
	v_dual_cndmask_b32 v6, v6, v16 :: v_dual_add_nc_u32 v45, 1, v42
	v_cndmask_b32_e64 v39, v39, v41, s5
	v_cndmask_b32_e64 v41, v42, v43, s5
	v_dual_cndmask_b32 v15, v15, v17 :: v_dual_add_nc_u32 v44, 1, v43
	s_delay_alu instid0(VALU_DEP_4)
	v_cndmask_b32_e64 v42, v45, v42, s5
	s_waitcnt lgkmcnt(0)
	v_bfe_i32 v16, v40, 0, 8
	v_cndmask_b32_e64 v18, v18, v19, s0
	v_cndmask_b32_e64 v43, v43, v44, s5
	;; [unrolled: 1-line block ×3, first 2 shown]
	v_cmp_ge_i32_e32 vcc_lo, v42, v14
	v_bfe_i32 v14, v38, 0, 8
	v_cndmask_b32_e64 v22, v22, v23, s1
	v_cndmask_b32_e64 v23, v24, v25, s1
	v_cmp_lt_i32_e64 s1, v43, v13
	v_lshlrev_b16 v12, 8, v12
	v_cmp_lt_i16_e64 s0, v16, v14
	v_lshlrev_b16 v11, 8, v11
	v_lshlrev_b16 v8, 8, v8
	v_and_b32_e32 v2, 0xff, v2
	v_lshlrev_b16 v7, 8, v7
	s_or_b32 s0, vcc_lo, s0
	v_and_b32_e32 v1, 0xff, v1
	s_and_b32 vcc_lo, s1, s0
	v_and_b32_e32 v10, 0xff, v10
	v_and_b32_e32 v9, 0xff, v9
	v_or_b32_e32 v2, v2, v8
	v_or_b32_e32 v1, v1, v7
	v_add_nc_u32_e32 v16, v0, v5
	v_or_b32_e32 v10, v10, v12
	v_or_b32_e32 v9, v9, v11
	v_cndmask_b32_e64 v26, v26, v27, s2
	v_lshlrev_b32_e32 v1, 16, v1
	v_cndmask_b32_e64 v27, v28, v29, s2
	v_and_b32_e32 v7, 0xffff, v10
	v_lshlrev_b32_e32 v8, 16, v9
	v_and_b32_e32 v9, 0xffff, v2
	v_cndmask_b32_e64 v34, v34, v35, s4
	v_cndmask_b32_e64 v35, v36, v37, s4
	;; [unrolled: 1-line block ×3, first 2 shown]
	v_or_b32_e32 v2, v7, v8
	v_cndmask_b32_e32 v8, v42, v43, vcc_lo
	v_or_b32_e32 v1, v9, v1
	v_cndmask_b32_e64 v31, v32, v33, s3
	v_cndmask_b32_e32 v7, v38, v40, vcc_lo
	; wave barrier
	ds_store_b64 v16, v[1:2]
	v_add_nc_u32_e32 v1, v0, v6
	v_add_nc_u32_e32 v6, v0, v19
	;; [unrolled: 1-line block ×6, first 2 shown]
	; wave barrier
	v_add_nc_u32_e32 v13, v0, v41
	v_add_nc_u32_e32 v8, v0, v8
	v_lshlrev_b16 v14, 8, v18
	v_and_b32_e32 v18, 0xff, v22
	v_lshlrev_b16 v22, 8, v7
	ds_load_u8 v2, v1
	ds_load_u8 v7, v6
	;; [unrolled: 1-line block ×8, first 2 shown]
	v_and_b32_e32 v15, 0xff, v15
	v_lshlrev_b16 v17, 8, v26
	v_lshlrev_b16 v19, 8, v34
	v_and_b32_e32 v20, 0xff, v30
	v_and_b32_e32 v21, 0xff, v39
	v_or_b32_e32 v8, v15, v14
	v_or_b32_e32 v13, v18, v17
	s_mov_b32 s0, exec_lo
	v_or_b32_e32 v14, v20, v19
	v_or_b32_e32 v15, v21, v22
	v_and_b32_e32 v17, 0xffff, v8
	v_lshlrev_b32_e32 v18, 16, v13
	v_sub_nc_u32_e64 v8, v5, 64 clamp
	v_and_b32_e32 v19, 0xffff, v14
	v_lshlrev_b32_e32 v15, 16, v15
	v_min_i32_e32 v13, 64, v5
	v_or_b32_e32 v14, v17, v18
	; wave barrier
	s_delay_alu instid0(VALU_DEP_3)
	v_or_b32_e32 v15, v19, v15
	ds_store_b64 v16, v[14:15]
	; wave barrier
	v_cmpx_lt_u32_e64 v8, v13
	s_cbranch_execz .LBB69_100
; %bb.97:
	s_mov_b32 s1, 0
	.p2align	6
.LBB69_98:                              ; =>This Inner Loop Header: Depth=1
	v_sub_nc_u32_e32 v14, v13, v8
	s_delay_alu instid0(VALU_DEP_1) | instskip(NEXT) | instid1(VALU_DEP_1)
	v_lshrrev_b32_e32 v15, 31, v14
	v_add_nc_u32_e32 v14, v14, v15
	s_delay_alu instid0(VALU_DEP_1) | instskip(NEXT) | instid1(VALU_DEP_1)
	v_ashrrev_i32_e32 v14, 1, v14
	v_add_nc_u32_e32 v14, v14, v8
	s_delay_alu instid0(VALU_DEP_1)
	v_add_nc_u32_e32 v17, 1, v14
	v_add_nc_u32_e32 v15, v0, v14
	v_xad_u32 v16, v14, -1, v4
	ds_load_i8 v15, v15
	ds_load_i8 v16, v16 offset:64
	s_waitcnt lgkmcnt(0)
	v_cmp_lt_i16_e32 vcc_lo, v16, v15
	v_cndmask_b32_e32 v8, v17, v8, vcc_lo
	v_cndmask_b32_e32 v13, v13, v14, vcc_lo
	s_delay_alu instid0(VALU_DEP_1) | instskip(SKIP_1) | instid1(SALU_CYCLE_1)
	v_cmp_ge_i32_e32 vcc_lo, v8, v13
	s_or_b32 s1, vcc_lo, s1
	s_and_not1_b32 exec_lo, exec_lo, s1
	s_cbranch_execnz .LBB69_98
; %bb.99:
	s_or_b32 exec_lo, exec_lo, s1
.LBB69_100:
	s_delay_alu instid0(SALU_CYCLE_1) | instskip(SKIP_3) | instid1(VALU_DEP_3)
	s_or_b32 exec_lo, exec_lo, s0
	v_sub_nc_u32_e32 v14, v5, v8
	v_add_nc_u32_e32 v15, v0, v8
	v_cmp_lt_i32_e32 vcc_lo, 63, v8
	v_add_nc_u32_e32 v17, v0, v14
	v_add_nc_u32_e32 v16, 64, v14
                                        ; implicit-def: $vgpr14
	ds_load_u8 v5, v15
	ds_load_u8 v13, v17 offset:64
	v_cmp_gt_i32_e64 s1, 0x80, v16
	s_waitcnt lgkmcnt(1)
	v_bfe_i32 v5, v5, 0, 8
	s_waitcnt lgkmcnt(0)
	v_bfe_i32 v13, v13, 0, 8
	s_delay_alu instid0(VALU_DEP_1) | instskip(NEXT) | instid1(VALU_DEP_1)
	v_cmp_lt_i16_e64 s0, v13, v5
	s_or_b32 s0, vcc_lo, s0
	s_delay_alu instid0(SALU_CYCLE_1) | instskip(NEXT) | instid1(SALU_CYCLE_1)
	s_and_b32 vcc_lo, s1, s0
	s_xor_b32 s0, vcc_lo, -1
	s_delay_alu instid0(SALU_CYCLE_1) | instskip(NEXT) | instid1(SALU_CYCLE_1)
	s_and_saveexec_b32 s1, s0
	s_xor_b32 s0, exec_lo, s1
	s_cbranch_execz .LBB69_102
; %bb.101:
	ds_load_u8 v14, v15 offset:1
                                        ; implicit-def: $vgpr17
.LBB69_102:
	s_or_saveexec_b32 s0, s0
	v_mov_b32_e32 v15, v13
	s_xor_b32 exec_lo, exec_lo, s0
	s_cbranch_execz .LBB69_104
; %bb.103:
	ds_load_u8 v15, v17 offset:65
	s_waitcnt lgkmcnt(1)
	v_mov_b32_e32 v14, v5
.LBB69_104:
	s_or_b32 exec_lo, exec_lo, s0
	v_add_nc_u32_e32 v18, 1, v16
	v_add_nc_u32_e32 v17, 1, v8
	s_waitcnt lgkmcnt(0)
	v_bfe_i32 v19, v14, 0, 8
	s_delay_alu instid0(VALU_DEP_2) | instskip(SKIP_1) | instid1(VALU_DEP_2)
	v_dual_cndmask_b32 v22, v16, v18 :: v_dual_cndmask_b32 v21, v17, v8
	v_bfe_i32 v17, v15, 0, 8
	v_cmp_gt_i32_e64 s2, 0x80, v22
	s_delay_alu instid0(VALU_DEP_3) | instskip(NEXT) | instid1(VALU_DEP_3)
	v_cmp_lt_i32_e64 s0, 63, v21
	v_cmp_lt_i16_e64 s1, v17, v19
                                        ; implicit-def: $vgpr17
	s_delay_alu instid0(VALU_DEP_1)
	s_or_b32 s0, s0, s1
	s_delay_alu instid0(VALU_DEP_3) | instid1(SALU_CYCLE_1)
	s_and_b32 s0, s2, s0
	s_delay_alu instid0(SALU_CYCLE_1) | instskip(NEXT) | instid1(SALU_CYCLE_1)
	s_xor_b32 s1, s0, -1
	s_and_saveexec_b32 s2, s1
	s_delay_alu instid0(SALU_CYCLE_1)
	s_xor_b32 s1, exec_lo, s2
	s_cbranch_execz .LBB69_106
; %bb.105:
	v_add_nc_u32_e32 v17, v0, v21
	ds_load_u8 v17, v17 offset:1
.LBB69_106:
	s_or_saveexec_b32 s1, s1
	v_mov_b32_e32 v18, v15
	s_xor_b32 exec_lo, exec_lo, s1
	s_cbranch_execz .LBB69_108
; %bb.107:
	s_waitcnt lgkmcnt(0)
	v_add_nc_u32_e32 v17, v0, v22
	ds_load_u8 v18, v17 offset:1
	v_mov_b32_e32 v17, v14
.LBB69_108:
	s_or_b32 exec_lo, exec_lo, s1
	v_add_nc_u32_e32 v19, 1, v21
	v_add_nc_u32_e32 v20, 1, v22
	s_waitcnt lgkmcnt(0)
	v_bfe_i32 v23, v17, 0, 8
	s_delay_alu instid0(VALU_DEP_3) | instskip(SKIP_2) | instid1(VALU_DEP_3)
	v_cndmask_b32_e64 v25, v19, v21, s0
	v_bfe_i32 v19, v18, 0, 8
	v_cndmask_b32_e64 v26, v22, v20, s0
	v_cmp_lt_i32_e64 s1, 63, v25
	s_delay_alu instid0(VALU_DEP_3) | instskip(NEXT) | instid1(VALU_DEP_3)
	v_cmp_lt_i16_e64 s2, v19, v23
	v_cmp_gt_i32_e64 s3, 0x80, v26
                                        ; implicit-def: $vgpr19
	s_delay_alu instid0(VALU_DEP_2)
	s_or_b32 s1, s1, s2
	s_delay_alu instid0(VALU_DEP_1) | instid1(SALU_CYCLE_1)
	s_and_b32 s1, s3, s1
	s_delay_alu instid0(SALU_CYCLE_1) | instskip(NEXT) | instid1(SALU_CYCLE_1)
	s_xor_b32 s2, s1, -1
	s_and_saveexec_b32 s3, s2
	s_delay_alu instid0(SALU_CYCLE_1)
	s_xor_b32 s2, exec_lo, s3
	s_cbranch_execz .LBB69_110
; %bb.109:
	v_add_nc_u32_e32 v19, v0, v25
	ds_load_u8 v19, v19 offset:1
.LBB69_110:
	s_or_saveexec_b32 s2, s2
	v_mov_b32_e32 v20, v18
	s_xor_b32 exec_lo, exec_lo, s2
	s_cbranch_execz .LBB69_112
; %bb.111:
	s_waitcnt lgkmcnt(0)
	v_add_nc_u32_e32 v19, v0, v26
	ds_load_u8 v20, v19 offset:1
	v_mov_b32_e32 v19, v17
.LBB69_112:
	s_or_b32 exec_lo, exec_lo, s2
	v_add_nc_u32_e32 v23, 1, v25
	v_add_nc_u32_e32 v24, 1, v26
	s_waitcnt lgkmcnt(0)
	v_bfe_i32 v27, v19, 0, 8
	s_delay_alu instid0(VALU_DEP_3) | instskip(SKIP_2) | instid1(VALU_DEP_3)
	v_cndmask_b32_e64 v29, v23, v25, s1
	v_bfe_i32 v23, v20, 0, 8
	v_cndmask_b32_e64 v30, v26, v24, s1
	v_cmp_lt_i32_e64 s2, 63, v29
	s_delay_alu instid0(VALU_DEP_3) | instskip(NEXT) | instid1(VALU_DEP_3)
	v_cmp_lt_i16_e64 s3, v23, v27
	v_cmp_gt_i32_e64 s4, 0x80, v30
                                        ; implicit-def: $vgpr23
	s_delay_alu instid0(VALU_DEP_2)
	s_or_b32 s2, s2, s3
	s_delay_alu instid0(VALU_DEP_1) | instid1(SALU_CYCLE_1)
	s_and_b32 s2, s4, s2
	s_delay_alu instid0(SALU_CYCLE_1) | instskip(NEXT) | instid1(SALU_CYCLE_1)
	s_xor_b32 s3, s2, -1
	s_and_saveexec_b32 s4, s3
	s_delay_alu instid0(SALU_CYCLE_1)
	s_xor_b32 s3, exec_lo, s4
	s_cbranch_execz .LBB69_114
; %bb.113:
	v_add_nc_u32_e32 v23, v0, v29
	ds_load_u8 v23, v23 offset:1
.LBB69_114:
	s_or_saveexec_b32 s3, s3
	v_mov_b32_e32 v24, v20
	s_xor_b32 exec_lo, exec_lo, s3
	s_cbranch_execz .LBB69_116
; %bb.115:
	s_waitcnt lgkmcnt(0)
	v_add_nc_u32_e32 v23, v0, v30
	ds_load_u8 v24, v23 offset:1
	v_mov_b32_e32 v23, v19
.LBB69_116:
	s_or_b32 exec_lo, exec_lo, s3
	v_add_nc_u32_e32 v27, 1, v29
	v_add_nc_u32_e32 v28, 1, v30
	s_waitcnt lgkmcnt(0)
	v_bfe_i32 v33, v23, 0, 8
	s_delay_alu instid0(VALU_DEP_3) | instskip(SKIP_2) | instid1(VALU_DEP_3)
	v_cndmask_b32_e64 v31, v27, v29, s2
	v_bfe_i32 v27, v24, 0, 8
	v_cndmask_b32_e64 v32, v30, v28, s2
	v_cmp_lt_i32_e64 s3, 63, v31
	s_delay_alu instid0(VALU_DEP_3) | instskip(NEXT) | instid1(VALU_DEP_3)
	v_cmp_lt_i16_e64 s4, v27, v33
	v_cmp_gt_i32_e64 s5, 0x80, v32
                                        ; implicit-def: $vgpr27
	s_delay_alu instid0(VALU_DEP_2)
	s_or_b32 s3, s3, s4
	s_delay_alu instid0(VALU_DEP_1) | instid1(SALU_CYCLE_1)
	s_and_b32 s3, s5, s3
	s_delay_alu instid0(SALU_CYCLE_1) | instskip(NEXT) | instid1(SALU_CYCLE_1)
	s_xor_b32 s4, s3, -1
	s_and_saveexec_b32 s5, s4
	s_delay_alu instid0(SALU_CYCLE_1)
	s_xor_b32 s4, exec_lo, s5
	s_cbranch_execz .LBB69_118
; %bb.117:
	v_add_nc_u32_e32 v27, v0, v31
	ds_load_u8 v27, v27 offset:1
.LBB69_118:
	s_or_saveexec_b32 s4, s4
	v_mov_b32_e32 v28, v24
	s_xor_b32 exec_lo, exec_lo, s4
	s_cbranch_execz .LBB69_120
; %bb.119:
	s_waitcnt lgkmcnt(0)
	v_add_nc_u32_e32 v27, v0, v32
	ds_load_u8 v28, v27 offset:1
	v_mov_b32_e32 v27, v23
.LBB69_120:
	s_or_b32 exec_lo, exec_lo, s4
	v_add_nc_u32_e32 v33, 1, v31
	v_add_nc_u32_e32 v34, 1, v32
	s_waitcnt lgkmcnt(0)
	v_bfe_i32 v37, v27, 0, 8
                                        ; implicit-def: $vgpr41
	s_delay_alu instid0(VALU_DEP_3) | instskip(SKIP_2) | instid1(VALU_DEP_3)
	v_cndmask_b32_e64 v35, v33, v31, s3
	v_bfe_i32 v33, v28, 0, 8
	v_cndmask_b32_e64 v36, v32, v34, s3
	v_cmp_lt_i32_e64 s4, 63, v35
	s_delay_alu instid0(VALU_DEP_3) | instskip(NEXT) | instid1(VALU_DEP_3)
	v_cmp_lt_i16_e64 s5, v33, v37
	v_cmp_gt_i32_e64 s6, 0x80, v36
	s_delay_alu instid0(VALU_DEP_2)
	s_or_b32 s4, s4, s5
	s_delay_alu instid0(VALU_DEP_1) | instid1(SALU_CYCLE_1)
	s_and_b32 s4, s6, s4
	s_delay_alu instid0(SALU_CYCLE_1) | instskip(NEXT) | instid1(SALU_CYCLE_1)
	s_xor_b32 s5, s4, -1
	s_and_saveexec_b32 s6, s5
	s_delay_alu instid0(SALU_CYCLE_1)
	s_xor_b32 s5, exec_lo, s6
	s_cbranch_execz .LBB69_122
; %bb.121:
	v_add_nc_u32_e32 v33, v0, v35
	ds_load_u8 v41, v33 offset:1
.LBB69_122:
	s_or_saveexec_b32 s5, s5
	v_mov_b32_e32 v33, v28
	s_xor_b32 exec_lo, exec_lo, s5
	s_cbranch_execz .LBB69_124
; %bb.123:
	v_add_nc_u32_e32 v33, v0, v36
	s_waitcnt lgkmcnt(0)
	v_mov_b32_e32 v41, v27
	ds_load_u8 v33, v33 offset:1
.LBB69_124:
	s_or_b32 exec_lo, exec_lo, s5
	v_add_nc_u32_e32 v34, 1, v35
	v_add_nc_u32_e32 v37, 1, v36
	s_waitcnt lgkmcnt(0)
	v_bfe_i32 v38, v41, 0, 8
                                        ; implicit-def: $vgpr39
	s_delay_alu instid0(VALU_DEP_3) | instskip(SKIP_2) | instid1(VALU_DEP_3)
	v_cndmask_b32_e64 v42, v34, v35, s4
	v_bfe_i32 v34, v33, 0, 8
	v_cndmask_b32_e64 v37, v36, v37, s4
	v_cmp_gt_i32_e64 s5, 64, v42
	s_delay_alu instid0(VALU_DEP_3) | instskip(NEXT) | instid1(VALU_DEP_3)
	v_cmp_ge_i16_e64 s6, v34, v38
	v_cmp_lt_i32_e64 s7, 0x7f, v37
                                        ; implicit-def: $vgpr38
	s_delay_alu instid0(VALU_DEP_2)
	s_and_b32 s5, s5, s6
	s_delay_alu instid0(VALU_DEP_1) | instid1(SALU_CYCLE_1)
	s_or_b32 s5, s7, s5
	s_delay_alu instid0(SALU_CYCLE_1) | instskip(NEXT) | instid1(SALU_CYCLE_1)
	s_and_saveexec_b32 s6, s5
	s_xor_b32 s5, exec_lo, s6
	s_cbranch_execz .LBB69_126
; %bb.125:
	v_add_nc_u32_e32 v34, v0, v42
	v_add_nc_u32_e32 v38, 1, v42
	ds_load_u8 v39, v34 offset:1
.LBB69_126:
	s_or_saveexec_b32 s5, s5
	v_mov_b32_e32 v34, v41
	v_mov_b32_e32 v40, v42
	s_xor_b32 exec_lo, exec_lo, s5
	s_cbranch_execz .LBB69_128
; %bb.127:
	s_waitcnt lgkmcnt(0)
	v_add_nc_u32_e32 v39, 1, v37
	v_add_nc_u32_e32 v34, v0, v37
	v_mov_b32_e32 v40, v37
	s_delay_alu instid0(VALU_DEP_3)
	v_dual_mov_b32 v38, v42 :: v_dual_mov_b32 v37, v39
	v_mov_b32_e32 v39, v41
	ds_load_u8 v43, v34 offset:1
	s_waitcnt lgkmcnt(0)
	v_dual_mov_b32 v34, v33 :: v_dual_mov_b32 v33, v43
.LBB69_128:
	s_or_b32 exec_lo, exec_lo, s5
	v_lshlrev_b16 v12, 8, v12
	v_dual_cndmask_b32 v5, v5, v13 :: v_dual_and_b32 v10, 0xff, v10
	v_lshlrev_b16 v11, 8, v11
	v_dual_cndmask_b32 v8, v8, v16 :: v_dual_and_b32 v9, 0xff, v9
	v_lshlrev_b16 v7, 8, v7
	v_and_b32_e32 v2, 0xff, v2
	v_lshlrev_b16 v6, 8, v6
	v_and_b32_e32 v1, 0xff, v1
	v_cndmask_b32_e64 v25, v25, v26, s1
	v_cndmask_b32_e64 v21, v21, v22, s0
	s_waitcnt lgkmcnt(0)
	v_bfe_i32 v22, v39, 0, 8
	v_bfe_i32 v26, v33, 0, 8
	v_or_b32_e32 v10, v10, v12
	v_or_b32_e32 v9, v9, v11
	v_or_b32_e32 v2, v2, v7
	v_or_b32_e32 v1, v1, v6
	v_cmp_lt_i32_e64 s5, 63, v38
	v_cmp_lt_i16_e64 s6, v26, v22
	v_and_b32_e32 v6, 0xffff, v10
	v_lshlrev_b32_e32 v7, 16, v9
	v_and_b32_e32 v9, 0xffff, v2
	v_lshlrev_b32_e32 v1, 16, v1
	v_cmp_gt_i32_e64 s7, 0x80, v37
	s_or_b32 s5, s5, s6
	v_or_b32_e32 v2, v6, v7
	v_cndmask_b32_e64 v29, v29, v30, s2
	v_or_b32_e32 v1, v9, v1
	s_and_b32 s5, s7, s5
	v_cndmask_b32_e64 v35, v35, v36, s4
	v_cndmask_b32_e64 v31, v31, v32, s3
	;; [unrolled: 1-line block ×3, first 2 shown]
	; wave barrier
	ds_store_b64 v4, v[1:2]
	v_add_nc_u32_e32 v1, v0, v8
	v_add_nc_u32_e32 v2, v0, v21
	;; [unrolled: 1-line block ×8, first 2 shown]
	; wave barrier
	ds_load_u8 v1, v1
	ds_load_u8 v2, v2
	;; [unrolled: 1-line block ×8, first 2 shown]
	v_cndmask_b32_e64 v6, v39, v33, s5
	v_cndmask_b32_e64 v11, v27, v28, s4
	;; [unrolled: 1-line block ×6, first 2 shown]
	s_add_u32 s0, s38, s40
	s_addc_u32 s1, s39, 0
	s_waitcnt lgkmcnt(7)
	v_add_nc_u16 v1, v1, v5
	s_waitcnt lgkmcnt(6)
	v_add_nc_u16 v2, v2, v12
	;; [unrolled: 2-line block ×8, first 2 shown]
	v_lshlrev_b16 v2, 8, v2
	v_and_b32_e32 v1, 0xff, v1
	v_lshlrev_b16 v5, 8, v5
	v_and_b32_e32 v4, 0xff, v4
	;; [unrolled: 2-line block ×4, first 2 shown]
	v_or_b32_e32 v1, v1, v2
	v_or_b32_e32 v2, v4, v5
	;; [unrolled: 1-line block ×3, first 2 shown]
	s_delay_alu instid0(VALU_DEP_4) | instskip(NEXT) | instid1(VALU_DEP_4)
	v_or_b32_e32 v0, v8, v0
	v_and_b32_e32 v5, 0xffff, v1
	s_delay_alu instid0(VALU_DEP_4) | instskip(NEXT) | instid1(VALU_DEP_4)
	v_lshlrev_b32_e32 v2, 16, v2
	v_and_b32_e32 v4, 0xffff, v4
	s_delay_alu instid0(VALU_DEP_4) | instskip(SKIP_1) | instid1(VALU_DEP_1)
	v_lshlrev_b32_e32 v6, 16, v0
	v_add_co_u32 v0, s0, s0, v3
	v_add_co_ci_u32_e64 v1, null, s1, 0, s0
	v_or_b32_e32 v2, v5, v2
	s_delay_alu instid0(VALU_DEP_4)
	v_or_b32_e32 v3, v4, v6
	global_store_b64 v[0:1], v[2:3], off
	s_nop 0
	s_sendmsg sendmsg(MSG_DEALLOC_VGPRS)
	s_endpgm
	.section	.rodata,"a",@progbits
	.p2align	6, 0x0
	.amdhsa_kernel _Z10sort_pairsILj256ELj16ELj8EaN10test_utils4lessEEvPKT2_PS2_T3_
		.amdhsa_group_segment_fixed_size 2064
		.amdhsa_private_segment_fixed_size 0
		.amdhsa_kernarg_size 20
		.amdhsa_user_sgpr_count 15
		.amdhsa_user_sgpr_dispatch_ptr 0
		.amdhsa_user_sgpr_queue_ptr 0
		.amdhsa_user_sgpr_kernarg_segment_ptr 1
		.amdhsa_user_sgpr_dispatch_id 0
		.amdhsa_user_sgpr_private_segment_size 0
		.amdhsa_wavefront_size32 1
		.amdhsa_uses_dynamic_stack 0
		.amdhsa_enable_private_segment 0
		.amdhsa_system_sgpr_workgroup_id_x 1
		.amdhsa_system_sgpr_workgroup_id_y 0
		.amdhsa_system_sgpr_workgroup_id_z 0
		.amdhsa_system_sgpr_workgroup_info 0
		.amdhsa_system_vgpr_workitem_id 0
		.amdhsa_next_free_vgpr 47
		.amdhsa_next_free_sgpr 41
		.amdhsa_reserve_vcc 1
		.amdhsa_float_round_mode_32 0
		.amdhsa_float_round_mode_16_64 0
		.amdhsa_float_denorm_mode_32 3
		.amdhsa_float_denorm_mode_16_64 3
		.amdhsa_dx10_clamp 1
		.amdhsa_ieee_mode 1
		.amdhsa_fp16_overflow 0
		.amdhsa_workgroup_processor_mode 1
		.amdhsa_memory_ordered 1
		.amdhsa_forward_progress 0
		.amdhsa_shared_vgpr_count 0
		.amdhsa_exception_fp_ieee_invalid_op 0
		.amdhsa_exception_fp_denorm_src 0
		.amdhsa_exception_fp_ieee_div_zero 0
		.amdhsa_exception_fp_ieee_overflow 0
		.amdhsa_exception_fp_ieee_underflow 0
		.amdhsa_exception_fp_ieee_inexact 0
		.amdhsa_exception_int_div_zero 0
	.end_amdhsa_kernel
	.section	.text._Z10sort_pairsILj256ELj16ELj8EaN10test_utils4lessEEvPKT2_PS2_T3_,"axG",@progbits,_Z10sort_pairsILj256ELj16ELj8EaN10test_utils4lessEEvPKT2_PS2_T3_,comdat
.Lfunc_end69:
	.size	_Z10sort_pairsILj256ELj16ELj8EaN10test_utils4lessEEvPKT2_PS2_T3_, .Lfunc_end69-_Z10sort_pairsILj256ELj16ELj8EaN10test_utils4lessEEvPKT2_PS2_T3_
                                        ; -- End function
	.section	.AMDGPU.csdata,"",@progbits
; Kernel info:
; codeLenInByte = 10912
; NumSgprs: 43
; NumVgprs: 47
; ScratchSize: 0
; MemoryBound: 0
; FloatMode: 240
; IeeeMode: 1
; LDSByteSize: 2064 bytes/workgroup (compile time only)
; SGPRBlocks: 5
; VGPRBlocks: 5
; NumSGPRsForWavesPerEU: 43
; NumVGPRsForWavesPerEU: 47
; Occupancy: 16
; WaveLimiterHint : 0
; COMPUTE_PGM_RSRC2:SCRATCH_EN: 0
; COMPUTE_PGM_RSRC2:USER_SGPR: 15
; COMPUTE_PGM_RSRC2:TRAP_HANDLER: 0
; COMPUTE_PGM_RSRC2:TGID_X_EN: 1
; COMPUTE_PGM_RSRC2:TGID_Y_EN: 0
; COMPUTE_PGM_RSRC2:TGID_Z_EN: 0
; COMPUTE_PGM_RSRC2:TIDIG_COMP_CNT: 0
	.section	.text._Z19sort_keys_segmentedILj256ELj16ELj8EaN10test_utils4lessEEvPKT2_PS2_PKjT3_,"axG",@progbits,_Z19sort_keys_segmentedILj256ELj16ELj8EaN10test_utils4lessEEvPKT2_PS2_PKjT3_,comdat
	.protected	_Z19sort_keys_segmentedILj256ELj16ELj8EaN10test_utils4lessEEvPKT2_PS2_PKjT3_ ; -- Begin function _Z19sort_keys_segmentedILj256ELj16ELj8EaN10test_utils4lessEEvPKT2_PS2_PKjT3_
	.globl	_Z19sort_keys_segmentedILj256ELj16ELj8EaN10test_utils4lessEEvPKT2_PS2_PKjT3_
	.p2align	8
	.type	_Z19sort_keys_segmentedILj256ELj16ELj8EaN10test_utils4lessEEvPKT2_PS2_PKjT3_,@function
_Z19sort_keys_segmentedILj256ELj16ELj8EaN10test_utils4lessEEvPKT2_PS2_PKjT3_: ; @_Z19sort_keys_segmentedILj256ELj16ELj8EaN10test_utils4lessEEvPKT2_PS2_PKjT3_
; %bb.0:
	s_clause 0x1
	s_load_b64 s[2:3], s[0:1], 0x10
	s_load_b128 s[16:19], s[0:1], 0x0
	v_lshrrev_b32_e32 v5, 4, v0
	v_mov_b32_e32 v1, 0
                                        ; implicit-def: $vgpr10
	s_delay_alu instid0(VALU_DEP_2) | instskip(NEXT) | instid1(VALU_DEP_1)
	v_lshl_or_b32 v0, s15, 4, v5
	v_lshlrev_b64 v[1:2], 2, v[0:1]
	v_lshlrev_b32_e32 v3, 7, v0
	s_waitcnt lgkmcnt(0)
	s_delay_alu instid0(VALU_DEP_2) | instskip(NEXT) | instid1(VALU_DEP_3)
	v_add_co_u32 v1, vcc_lo, s2, v1
	v_add_co_ci_u32_e32 v2, vcc_lo, s3, v2, vcc_lo
	s_delay_alu instid0(VALU_DEP_3) | instskip(SKIP_2) | instid1(VALU_DEP_1)
	v_add_co_u32 v0, s0, s16, v3
	global_load_b32 v4, v[1:2], off
	v_mbcnt_lo_u32_b32 v1, -1, 0
	v_lshlrev_b32_e32 v6, 3, v1
	v_add_co_ci_u32_e64 v1, null, s17, 0, s0
	s_delay_alu instid0(VALU_DEP_2) | instskip(NEXT) | instid1(VALU_DEP_1)
	v_and_b32_e32 v2, 0x78, v6
	v_add_co_u32 v0, vcc_lo, v0, v2
	s_delay_alu instid0(VALU_DEP_3)
	v_add_co_ci_u32_e32 v1, vcc_lo, 0, v1, vcc_lo
	s_waitcnt vmcnt(0)
	v_cmp_lt_u32_e32 vcc_lo, v2, v4
	s_and_saveexec_b32 s0, vcc_lo
	s_cbranch_execz .LBB70_2
; %bb.1:
	global_load_u8 v10, v[0:1], off
.LBB70_2:
	s_or_b32 exec_lo, exec_lo, s0
	v_or_b32_e32 v9, 1, v2
                                        ; implicit-def: $vgpr11
	s_delay_alu instid0(VALU_DEP_1) | instskip(NEXT) | instid1(VALU_DEP_1)
	v_cmp_lt_u32_e64 s0, v9, v4
	s_and_saveexec_b32 s1, s0
	s_cbranch_execz .LBB70_4
; %bb.3:
	global_load_u8 v11, v[0:1], off offset:1
.LBB70_4:
	s_or_b32 exec_lo, exec_lo, s1
	v_or_b32_e32 v7, 2, v2
                                        ; implicit-def: $vgpr13
	s_delay_alu instid0(VALU_DEP_1) | instskip(NEXT) | instid1(VALU_DEP_1)
	v_cmp_lt_u32_e64 s1, v7, v4
	s_and_saveexec_b32 s2, s1
	s_cbranch_execz .LBB70_6
; %bb.5:
	global_load_u8 v13, v[0:1], off offset:2
.LBB70_6:
	s_or_b32 exec_lo, exec_lo, s2
	v_or_b32_e32 v8, 3, v2
                                        ; implicit-def: $vgpr15
	s_delay_alu instid0(VALU_DEP_1) | instskip(NEXT) | instid1(VALU_DEP_1)
	v_cmp_lt_u32_e64 s2, v8, v4
	s_and_saveexec_b32 s3, s2
	s_cbranch_execz .LBB70_8
; %bb.7:
	global_load_u8 v15, v[0:1], off offset:3
.LBB70_8:
	s_or_b32 exec_lo, exec_lo, s3
	v_or_b32_e32 v12, 4, v2
                                        ; implicit-def: $vgpr16
	s_delay_alu instid0(VALU_DEP_1) | instskip(NEXT) | instid1(VALU_DEP_1)
	v_cmp_lt_u32_e64 s3, v12, v4
	s_and_saveexec_b32 s4, s3
	s_cbranch_execz .LBB70_10
; %bb.9:
	global_load_u8 v16, v[0:1], off offset:4
.LBB70_10:
	s_or_b32 exec_lo, exec_lo, s4
	v_or_b32_e32 v14, 5, v2
                                        ; implicit-def: $vgpr18
	s_delay_alu instid0(VALU_DEP_1) | instskip(NEXT) | instid1(VALU_DEP_1)
	v_cmp_lt_u32_e64 s4, v14, v4
	s_and_saveexec_b32 s5, s4
	s_cbranch_execz .LBB70_12
; %bb.11:
	global_load_u8 v18, v[0:1], off offset:5
.LBB70_12:
	s_or_b32 exec_lo, exec_lo, s5
	v_or_b32_e32 v17, 6, v2
                                        ; implicit-def: $vgpr20
	s_delay_alu instid0(VALU_DEP_1) | instskip(NEXT) | instid1(VALU_DEP_1)
	v_cmp_lt_u32_e64 s5, v17, v4
	s_and_saveexec_b32 s6, s5
	s_cbranch_execz .LBB70_14
; %bb.13:
	global_load_u8 v20, v[0:1], off offset:6
.LBB70_14:
	s_or_b32 exec_lo, exec_lo, s6
	v_or_b32_e32 v19, 7, v2
                                        ; implicit-def: $vgpr21
	s_delay_alu instid0(VALU_DEP_1) | instskip(NEXT) | instid1(VALU_DEP_1)
	v_cmp_lt_u32_e64 s6, v19, v4
	s_and_saveexec_b32 s7, s6
	s_cbranch_execz .LBB70_16
; %bb.15:
	global_load_u8 v21, v[0:1], off offset:7
.LBB70_16:
	s_or_b32 exec_lo, exec_lo, s7
	s_waitcnt vmcnt(0)
	v_and_b32_e32 v0, 0xff, v10
	v_lshlrev_b16 v1, 8, v11
	v_and_b32_e32 v10, 0xff, v13
	v_lshlrev_b16 v11, 8, v15
	v_cmp_lt_i32_e64 s7, v9, v4
	v_and_b32_e32 v9, 0xff, v16
	v_or_b32_e32 v1, v0, v1
	v_or_b32_e32 v0, 0x7f00, v0
	v_or_b32_e32 v10, v10, v11
	v_and_b32_e32 v13, 0xff, v20
	v_lshlrev_b16 v15, 8, v21
	v_and_b32_e32 v1, 0xffff, v1
	v_and_b32_e32 v0, 0xffff, v0
	v_lshlrev_b32_e32 v10, 16, v10
	v_cmp_lt_i32_e64 s8, v8, v4
	s_mov_b32 s10, exec_lo
	s_delay_alu instid0(VALU_DEP_2) | instskip(SKIP_2) | instid1(VALU_DEP_2)
	v_or_b32_e32 v11, v1, v10
	v_or_b32_e32 v0, v0, v10
	v_lshlrev_b16 v10, 8, v18
	v_cndmask_b32_e64 v0, v0, v11, s7
	s_delay_alu instid0(VALU_DEP_2) | instskip(SKIP_2) | instid1(VALU_DEP_4)
	v_or_b32_e32 v9, v9, v10
	v_or_b32_e32 v10, v13, v15
	v_cmp_lt_i32_e64 s7, v7, v4
	v_lshrrev_b32_e32 v1, 16, v0
	s_delay_alu instid0(VALU_DEP_4) | instskip(NEXT) | instid1(VALU_DEP_2)
	v_and_b32_e32 v13, 0xffffff00, v9
	v_and_b32_e32 v1, 0xffffff00, v1
	s_delay_alu instid0(VALU_DEP_1) | instskip(NEXT) | instid1(VALU_DEP_1)
	v_or_b32_e32 v1, 0x7f, v1
	v_lshlrev_b32_e32 v1, 16, v1
	s_delay_alu instid0(VALU_DEP_1) | instskip(SKIP_3) | instid1(VALU_DEP_4)
	v_and_or_b32 v0, 0xffff, v0, v1
	v_and_b32_e32 v1, 0xffff, v9
	v_lshlrev_b32_e32 v9, 16, v10
	v_or_b32_e32 v10, 0x7f, v13
	v_cndmask_b32_e64 v0, v0, v11, s7
	v_cmp_lt_i32_e64 s7, v12, v4
	s_delay_alu instid0(VALU_DEP_4) | instskip(NEXT) | instid1(VALU_DEP_4)
	v_or_b32_e32 v1, v1, v9
	v_and_b32_e32 v7, 0xffff, v10
	s_delay_alu instid0(VALU_DEP_4) | instskip(NEXT) | instid1(VALU_DEP_2)
	v_lshrrev_b32_e32 v9, 16, v0
	v_and_or_b32 v7, 0xffff0000, v1, v7
	s_delay_alu instid0(VALU_DEP_2) | instskip(NEXT) | instid1(VALU_DEP_2)
	v_and_b32_e32 v9, 0xff, v9
	v_cndmask_b32_e64 v7, v7, v1, s7
	s_delay_alu instid0(VALU_DEP_2) | instskip(NEXT) | instid1(VALU_DEP_2)
	v_or_b32_e32 v9, 0x7f00, v9
	v_and_b32_e32 v10, 0xff, v7
	s_delay_alu instid0(VALU_DEP_2) | instskip(NEXT) | instid1(VALU_DEP_2)
	v_lshlrev_b32_e32 v9, 16, v9
	v_or_b32_e32 v10, 0x7f00, v10
	s_delay_alu instid0(VALU_DEP_2) | instskip(NEXT) | instid1(VALU_DEP_2)
	v_and_or_b32 v0, 0xffff, v0, v9
	v_and_b32_e32 v9, 0xffff, v10
	s_delay_alu instid0(VALU_DEP_2) | instskip(NEXT) | instid1(VALU_DEP_2)
	v_cndmask_b32_e64 v0, v0, v11, s8
	v_and_or_b32 v7, 0xffff0000, v7, v9
	s_delay_alu instid0(VALU_DEP_2) | instskip(SKIP_1) | instid1(VALU_DEP_1)
	v_cndmask_b32_e64 v0, v0, v11, s7
	v_cmp_lt_i32_e64 s7, v14, v4
	v_cndmask_b32_e64 v7, v7, v1, s7
	s_delay_alu instid0(VALU_DEP_3) | instskip(SKIP_1) | instid1(VALU_DEP_3)
	v_cndmask_b32_e64 v0, v0, v11, s7
	v_cmp_lt_i32_e64 s7, v17, v4
	v_lshrrev_b32_e32 v8, 16, v7
	s_delay_alu instid0(VALU_DEP_2) | instskip(NEXT) | instid1(VALU_DEP_2)
	v_cndmask_b32_e64 v0, v0, v11, s7
	v_and_b32_e32 v8, 0xffffff00, v8
	s_delay_alu instid0(VALU_DEP_1) | instskip(NEXT) | instid1(VALU_DEP_1)
	v_or_b32_e32 v8, 0x7f, v8
	v_lshlrev_b32_e32 v8, 16, v8
	s_delay_alu instid0(VALU_DEP_1) | instskip(NEXT) | instid1(VALU_DEP_1)
	v_and_or_b32 v7, 0xffff, v7, v8
	v_cndmask_b32_e64 v7, v7, v1, s7
	v_cmp_lt_i32_e64 s7, v19, v4
	s_delay_alu instid0(VALU_DEP_2) | instskip(NEXT) | instid1(VALU_DEP_2)
	v_lshrrev_b32_e32 v8, 16, v7
	v_cndmask_b32_e64 v0, v0, v11, s7
	s_delay_alu instid0(VALU_DEP_2) | instskip(NEXT) | instid1(VALU_DEP_1)
	v_and_b32_e32 v8, 0xff, v8
	v_or_b32_e32 v8, 0x7f00, v8
	s_delay_alu instid0(VALU_DEP_1) | instskip(NEXT) | instid1(VALU_DEP_1)
	v_lshlrev_b32_e32 v8, 16, v8
	v_and_or_b32 v7, 0xffff, v7, v8
	s_delay_alu instid0(VALU_DEP_1)
	v_cndmask_b32_e64 v1, v7, v1, s7
	v_cmpx_lt_i32_e64 v2, v4
	s_cbranch_execz .LBB70_18
; %bb.17:
	v_lshrrev_b32_e32 v7, 8, v0
	v_perm_b32 v8, 0, v0, 0xc0c0001
	v_bfe_i32 v9, v0, 0, 8
	s_delay_alu instid0(VALU_DEP_3) | instskip(NEXT) | instid1(VALU_DEP_3)
	v_bfe_i32 v7, v7, 0, 8
	v_and_or_b32 v8, 0xffff0000, v0, v8
	s_delay_alu instid0(VALU_DEP_2) | instskip(NEXT) | instid1(VALU_DEP_1)
	v_cmp_lt_i16_e64 s7, v7, v9
	v_cndmask_b32_e64 v0, v0, v8, s7
	s_delay_alu instid0(VALU_DEP_1) | instskip(SKIP_1) | instid1(VALU_DEP_2)
	v_lshrrev_b32_e32 v8, 16, v0
	v_lshrrev_b32_e32 v11, 24, v0
	v_perm_b32 v10, 0, v8, 0xc0c0001
	s_delay_alu instid0(VALU_DEP_2) | instskip(SKIP_1) | instid1(VALU_DEP_3)
	v_bfe_i32 v11, v11, 0, 8
	v_bfe_i32 v8, v8, 0, 8
	v_lshlrev_b32_e32 v10, 16, v10
	s_delay_alu instid0(VALU_DEP_2) | instskip(SKIP_2) | instid1(VALU_DEP_4)
	v_cmp_lt_i16_e64 s7, v11, v8
	v_min_i16 v12, v11, v8
	v_max_i16 v8, v11, v8
	v_and_or_b32 v10, 0xffff, v0, v10
	s_delay_alu instid0(VALU_DEP_3) | instskip(NEXT) | instid1(VALU_DEP_2)
	v_lshlrev_b16 v15, 8, v12
	v_cndmask_b32_e64 v0, v0, v10, s7
	v_max_i16 v10, v7, v9
	v_min_i16 v7, v7, v9
	s_delay_alu instid0(VALU_DEP_3) | instskip(NEXT) | instid1(VALU_DEP_3)
	v_lshrrev_b32_e32 v13, 16, v0
	v_and_b32_e32 v14, 0xff, v10
	v_and_b32_e32 v16, 0xff, v0
	v_cmp_lt_i16_e64 s7, v12, v10
	v_min_i16 v9, v12, v10
	v_and_b32_e32 v13, 0xffffff00, v13
	v_lshlrev_b16 v11, 8, v7
	v_or_b32_e32 v15, v16, v15
	v_max_i16 v10, v12, v10
	s_delay_alu instid0(VALU_DEP_4) | instskip(NEXT) | instid1(VALU_DEP_3)
	v_or_b32_e32 v13, v14, v13
	v_and_b32_e32 v14, 0xffff, v15
	v_lshrrev_b32_e32 v15, 8, v1
	s_delay_alu instid0(VALU_DEP_4) | instskip(NEXT) | instid1(VALU_DEP_4)
	v_lshlrev_b16 v20, 8, v10
	v_lshlrev_b32_e32 v13, 16, v13
	s_delay_alu instid0(VALU_DEP_3) | instskip(NEXT) | instid1(VALU_DEP_2)
	v_bfe_i32 v15, v15, 0, 8
	v_or_b32_e32 v13, v14, v13
	v_bfe_i32 v14, v1, 0, 8
	s_delay_alu instid0(VALU_DEP_2) | instskip(NEXT) | instid1(VALU_DEP_2)
	v_cndmask_b32_e64 v0, v0, v13, s7
	v_min_i16 v13, v15, v14
	v_cmp_lt_i16_e64 s8, v15, v14
	v_max_i16 v14, v15, v14
	s_delay_alu instid0(VALU_DEP_4) | instskip(NEXT) | instid1(VALU_DEP_4)
	v_lshrrev_b32_e32 v16, 16, v0
	v_lshlrev_b16 v17, 8, v13
	v_cmp_lt_i16_e64 s7, v13, v8
	v_min_i16 v18, v13, v8
	s_delay_alu instid0(VALU_DEP_4) | instskip(NEXT) | instid1(VALU_DEP_2)
	v_and_b32_e32 v16, 0xff, v16
	v_and_b32_e32 v19, 0xff, v18
	s_delay_alu instid0(VALU_DEP_2) | instskip(SKIP_1) | instid1(VALU_DEP_2)
	v_or_b32_e32 v16, v16, v17
	v_and_b32_e32 v17, 0xff, v9
	v_lshlrev_b32_e32 v16, 16, v16
	s_delay_alu instid0(VALU_DEP_2) | instskip(SKIP_1) | instid1(VALU_DEP_3)
	v_or_b32_e32 v11, v17, v11
	v_perm_b32 v17, v1, v1, 0x7060405
	v_and_or_b32 v16, 0xffff, v0, v16
	s_delay_alu instid0(VALU_DEP_3) | instskip(NEXT) | instid1(VALU_DEP_3)
	v_and_b32_e32 v11, 0xffff, v11
	v_cndmask_b32_e64 v1, v1, v17, s8
	v_cmp_lt_i16_e64 s8, v12, v7
	s_delay_alu instid0(VALU_DEP_4) | instskip(SKIP_1) | instid1(VALU_DEP_4)
	v_cndmask_b32_e64 v0, v0, v16, s7
	v_or_b32_e32 v16, v19, v20
	v_lshrrev_b32_e32 v15, 24, v1
	v_lshrrev_b32_e32 v17, 16, v1
	v_cndmask_b32_e64 v19, v9, v7, s8
	v_and_or_b32 v11, 0xffff0000, v0, v11
	v_lshlrev_b32_e32 v16, 16, v16
	v_cndmask_b32_e64 v7, v7, v9, s8
	v_bfe_i32 v12, v17, 0, 8
	v_and_b32_e32 v22, 0xff, v19
	v_cndmask_b32_e64 v0, v0, v11, s8
	v_bfe_i32 v11, v15, 0, 8
	v_perm_b32 v15, v1, v1, 0x6070504
	v_and_b32_e32 v17, 0xff, v14
	s_delay_alu instid0(VALU_DEP_4) | instskip(NEXT) | instid1(VALU_DEP_4)
	v_and_or_b32 v16, 0xffff, v0, v16
	v_cmp_lt_i16_e64 s9, v11, v12
	s_delay_alu instid0(VALU_DEP_1) | instskip(SKIP_3) | instid1(VALU_DEP_4)
	v_cndmask_b32_e64 v1, v1, v15, s9
	v_cmp_lt_i16_e64 s9, v18, v10
	v_max_i16 v15, v11, v12
	v_min_i16 v11, v11, v12
	v_perm_b32 v20, v8, v1, 0x3020104
	s_delay_alu instid0(VALU_DEP_4)
	v_cndmask_b32_e64 v0, v0, v16, s9
	v_min_i16 v16, v18, v10
	v_max_i16 v8, v13, v8
	v_min_i16 v24, v11, v14
	v_cndmask_b32_e64 v1, v1, v20, s7
	v_lshrrev_b32_e32 v12, 16, v0
	v_lshlrev_b16 v21, 8, v16
	v_and_b32_e32 v23, 0xff, v0
	v_cmp_lt_i16_e64 s9, v16, v19
	v_lshrrev_b32_e32 v30, 16, v1
	v_and_b32_e32 v12, 0xffffff00, v12
	v_lshlrev_b16 v13, 8, v11
	v_or_b32_e32 v21, v23, v21
	v_min_i16 v9, v16, v19
	v_and_b32_e32 v31, 0xff, v1
	v_or_b32_e32 v12, v22, v12
	v_and_b32_e32 v25, 0xff, v24
	v_and_b32_e32 v21, 0xffff, v21
	v_lshlrev_b16 v26, 8, v8
	v_max_i16 v10, v18, v10
	v_lshlrev_b32_e32 v12, 16, v12
	v_and_b32_e32 v32, 0xff, v9
	v_or_b32_e32 v13, v31, v13
	v_or_b32_e32 v25, v25, v26
	v_max_i16 v16, v16, v19
	v_or_b32_e32 v12, v21, v12
	v_min_i16 v21, v24, v8
	v_and_b32_e32 v13, 0xffff, v13
	v_max_i16 v22, v11, v14
	v_and_b32_e32 v20, 0xffff, v25
	v_cndmask_b32_e64 v0, v0, v12, s9
	v_lshlrev_b16 v12, 8, v21
	v_min_i16 v28, v21, v10
	v_cmp_lt_i16_e64 s7, v21, v10
	v_cmp_lt_i16_e64 s8, v11, v14
	v_lshrrev_b32_e32 v29, 16, v0
	v_and_b32_e32 v23, 0xff, v15
	v_and_b32_e32 v25, 0xff, v28
	v_lshlrev_b16 v18, 8, v22
	v_max_i16 v26, v21, v10
	v_and_b32_e32 v29, 0xff, v29
	v_min_i16 v21, v9, v7
	v_max_i16 v27, v24, v8
	v_or_b32_e32 v18, v23, v18
	s_delay_alu instid0(VALU_DEP_4) | instskip(SKIP_2) | instid1(VALU_DEP_4)
	v_or_b32_e32 v12, v29, v12
	v_and_b32_e32 v29, 0xffffff00, v30
	v_lshlrev_b16 v30, 8, v7
	v_lshlrev_b32_e32 v18, 16, v18
	v_and_b32_e32 v23, 0xff, v27
	v_lshlrev_b32_e32 v12, 16, v12
	v_or_b32_e32 v17, v17, v29
	v_or_b32_e32 v19, v32, v30
	v_lshlrev_b16 v29, 8, v16
	s_delay_alu instid0(VALU_DEP_4) | instskip(NEXT) | instid1(VALU_DEP_4)
	v_and_or_b32 v12, 0xffff, v0, v12
	v_lshlrev_b32_e32 v17, 16, v17
	s_delay_alu instid0(VALU_DEP_4) | instskip(NEXT) | instid1(VALU_DEP_3)
	v_and_b32_e32 v19, 0xffff, v19
	v_cndmask_b32_e64 v0, v0, v12, s7
	s_delay_alu instid0(VALU_DEP_3) | instskip(SKIP_2) | instid1(VALU_DEP_4)
	v_or_b32_e32 v13, v13, v17
	v_or_b32_e32 v17, v25, v29
	v_lshlrev_b16 v12, 8, v26
	v_and_or_b32 v19, 0xffff0000, v0, v19
	s_delay_alu instid0(VALU_DEP_4)
	v_cndmask_b32_e64 v1, v1, v13, s8
	v_cmp_lt_i16_e64 s8, v9, v7
	v_lshlrev_b32_e32 v11, 16, v17
	v_max_i16 v7, v9, v7
	v_min_i16 v17, v28, v16
	v_and_or_b32 v9, 0xffff0000, v1, v20
	v_cndmask_b32_e64 v0, v0, v19, s8
	v_cmp_lt_i16_e64 s8, v24, v8
	v_and_b32_e32 v8, 0xff, v7
	v_max_i16 v13, v28, v16
	s_delay_alu instid0(VALU_DEP_4) | instskip(NEXT) | instid1(VALU_DEP_4)
	v_and_or_b32 v11, 0xffff, v0, v11
	v_cndmask_b32_e64 v1, v1, v9, s8
	v_cmp_lt_i16_e64 s8, v28, v16
	v_lshlrev_b16 v9, 8, v17
	v_max_i16 v16, v17, v7
	s_delay_alu instid0(VALU_DEP_3)
	v_cndmask_b32_e64 v0, v0, v11, s8
	v_and_or_b32 v11, 0xffff, v1, v18
	v_cmp_gt_i16_e64 s8, v14, v15
	v_min_i16 v18, v17, v7
	v_lshlrev_b16 v24, 8, v16
	v_lshrrev_b32_e32 v19, 16, v0
	v_and_b32_e32 v14, 0xff, v0
	v_cndmask_b32_e64 v1, v1, v11, s8
	v_lshlrev_b16 v11, 8, v21
	v_and_b32_e32 v20, 0xff, v18
	v_and_b32_e32 v19, 0xffffff00, v19
	v_or_b32_e32 v9, v14, v9
	v_perm_b32 v10, v10, v1, 0x3020104
	v_cndmask_b32_e64 v14, v15, v22, s8
	v_or_b32_e32 v11, v20, v11
	v_or_b32_e32 v8, v8, v19
	v_and_b32_e32 v9, 0xffff, v9
	v_cndmask_b32_e64 v1, v1, v10, s7
	v_cndmask_b32_e64 v10, v22, v15, s8
	v_cmp_lt_i16_e64 s7, v17, v7
	v_lshlrev_b32_e32 v8, 16, v8
	s_delay_alu instid0(VALU_DEP_4) | instskip(NEXT) | instid1(VALU_DEP_4)
	v_lshrrev_b32_e32 v15, 16, v1
	v_lshlrev_b16 v19, 8, v10
	v_min_i16 v22, v10, v27
	s_delay_alu instid0(VALU_DEP_4) | instskip(SKIP_3) | instid1(VALU_DEP_4)
	v_or_b32_e32 v8, v9, v8
	v_and_b32_e32 v9, 0xff, v1
	v_and_b32_e32 v15, 0xffffff00, v15
	v_max_i16 v20, v10, v27
	v_cndmask_b32_e64 v0, v0, v8, s7
	s_delay_alu instid0(VALU_DEP_4) | instskip(NEXT) | instid1(VALU_DEP_4)
	v_or_b32_e32 v7, v9, v19
	v_or_b32_e32 v8, v23, v15
	v_and_b32_e32 v9, 0xff, v22
	v_min_i16 v15, v22, v26
	v_lshrrev_b32_e32 v19, 16, v0
	v_and_b32_e32 v7, 0xffff, v7
	v_lshlrev_b32_e32 v8, 16, v8
	v_or_b32_e32 v9, v9, v12
	v_lshlrev_b16 v12, 8, v15
	v_and_b32_e32 v19, 0xff, v19
	v_cmp_lt_i16_e64 s7, v10, v27
	v_or_b32_e32 v7, v7, v8
	v_and_b32_e32 v23, 0xff, v14
	v_lshlrev_b16 v8, 8, v20
	v_and_b32_e32 v9, 0xffff, v9
	v_or_b32_e32 v12, v19, v12
	v_cndmask_b32_e64 v1, v1, v7, s7
	v_cmp_lt_i16_e64 s7, v22, v26
	v_or_b32_e32 v8, v23, v8
	v_and_b32_e32 v7, 0xffff, v11
	v_lshlrev_b32_e32 v10, 16, v12
	v_and_or_b32 v9, 0xffff0000, v1, v9
	v_min_i16 v12, v15, v13
	v_lshlrev_b32_e32 v8, 16, v8
	v_cmp_lt_i16_e64 s8, v14, v20
	v_and_or_b32 v10, 0xffff, v0, v10
	v_cndmask_b32_e64 v1, v1, v9, s7
	v_cmp_lt_i16_e64 s7, v15, v13
	v_and_b32_e32 v9, 0xff, v12
	v_max_i16 v11, v22, v26
	v_min_i16 v19, v14, v20
	v_and_or_b32 v8, 0xffff, v1, v8
	v_cndmask_b32_e64 v0, v0, v10, s7
	v_or_b32_e32 v9, v9, v24
	v_max_i16 v10, v14, v20
	v_lshlrev_b16 v14, 8, v19
	v_cndmask_b32_e64 v1, v1, v8, s8
	v_and_or_b32 v7, 0xffff0000, v0, v7
	v_cmp_lt_i16_e64 s8, v17, v21
	v_lshlrev_b32_e32 v8, 16, v9
	s_delay_alu instid0(VALU_DEP_4) | instskip(SKIP_1) | instid1(VALU_DEP_4)
	v_perm_b32 v9, v13, v1, 0x3020104
	v_max_i16 v13, v15, v13
	v_cndmask_b32_e64 v0, v0, v7, s8
	v_and_b32_e32 v7, 0xff, v11
	v_cndmask_b32_e64 v18, v18, v21, s8
	v_cndmask_b32_e64 v1, v1, v9, s7
	v_cmp_lt_i16_e64 s7, v12, v16
	v_and_or_b32 v8, 0xffff, v0, v8
	v_min_i16 v9, v12, v16
	v_and_b32_e32 v23, 0xff, v18
	v_lshrrev_b32_e32 v17, 16, v1
	v_and_b32_e32 v22, 0xff, v1
	v_cndmask_b32_e64 v0, v0, v8, s7
	v_min_i16 v8, v19, v11
	v_lshlrev_b16 v20, 8, v9
	v_and_b32_e32 v17, 0xffffff00, v17
	v_or_b32_e32 v14, v22, v14
	v_lshrrev_b32_e32 v21, 16, v0
	v_and_b32_e32 v24, 0xff, v0
	v_and_b32_e32 v25, 0xff, v8
	v_or_b32_e32 v7, v7, v17
	v_and_b32_e32 v14, 0xffff, v14
	v_and_b32_e32 v21, 0xffffff00, v21
	v_or_b32_e32 v17, v24, v20
	v_max_i16 v15, v19, v11
	v_lshlrev_b32_e32 v7, 16, v7
	v_cmp_lt_i16_e64 s7, v19, v11
	v_or_b32_e32 v20, v23, v21
	v_lshlrev_b16 v21, 8, v13
	v_and_b32_e32 v17, 0xffff, v17
	v_or_b32_e32 v7, v14, v7
	v_and_b32_e32 v22, 0xff, v10
	v_lshlrev_b32_e32 v20, 16, v20
	v_or_b32_e32 v21, v25, v21
	v_lshlrev_b16 v14, 8, v15
	v_cndmask_b32_e64 v1, v1, v7, s7
	v_cmp_lt_i16_e64 s7, v9, v18
	v_or_b32_e32 v17, v17, v20
	v_and_b32_e32 v20, 0xffff, v21
	v_or_b32_e32 v9, v22, v14
	v_min_i16 v7, v8, v13
	v_max_i16 v12, v12, v16
	v_cndmask_b32_e64 v0, v0, v17, s7
	v_and_or_b32 v14, 0xffff0000, v1, v20
	v_cmp_lt_i16_e64 s7, v8, v13
	v_lshlrev_b32_e32 v9, 16, v9
	v_lshlrev_b16 v18, 8, v7
	v_lshrrev_b32_e32 v17, 16, v0
	v_cmp_lt_i16_e64 s8, v7, v12
	v_cndmask_b32_e64 v1, v1, v14, s7
	v_cmp_gt_i16_e64 s7, v11, v10
	v_max_i16 v8, v8, v13
	v_and_b32_e32 v14, 0xff, v17
	s_delay_alu instid0(VALU_DEP_4) | instskip(NEXT) | instid1(VALU_DEP_4)
	v_and_or_b32 v9, 0xffff, v1, v9
	v_cndmask_b32_e64 v7, v15, v10, s7
	s_delay_alu instid0(VALU_DEP_3) | instskip(NEXT) | instid1(VALU_DEP_3)
	v_or_b32_e32 v14, v14, v18
	v_cndmask_b32_e64 v1, v1, v9, s7
	s_delay_alu instid0(VALU_DEP_3) | instskip(SKIP_1) | instid1(VALU_DEP_4)
	v_lshlrev_b16 v10, 8, v7
	v_cmp_lt_i16_e64 s7, v7, v8
	v_lshlrev_b32_e32 v9, 16, v14
	s_delay_alu instid0(VALU_DEP_4) | instskip(SKIP_1) | instid1(VALU_DEP_3)
	v_perm_b32 v11, v12, v1, 0x3020104
	v_and_b32_e32 v12, 0xff, v8
	v_and_or_b32 v9, 0xffff, v0, v9
	s_delay_alu instid0(VALU_DEP_3) | instskip(NEXT) | instid1(VALU_DEP_2)
	v_cndmask_b32_e64 v1, v1, v11, s8
	v_cndmask_b32_e64 v0, v0, v9, s8
	s_delay_alu instid0(VALU_DEP_2) | instskip(SKIP_1) | instid1(VALU_DEP_2)
	v_lshrrev_b32_e32 v9, 16, v1
	v_and_b32_e32 v11, 0xff, v1
	v_and_b32_e32 v9, 0xffffff00, v9
	s_delay_alu instid0(VALU_DEP_2) | instskip(NEXT) | instid1(VALU_DEP_2)
	v_or_b32_e32 v10, v11, v10
	v_or_b32_e32 v9, v12, v9
	s_delay_alu instid0(VALU_DEP_2) | instskip(NEXT) | instid1(VALU_DEP_2)
	v_and_b32_e32 v10, 0xffff, v10
	v_lshlrev_b32_e32 v9, 16, v9
	s_delay_alu instid0(VALU_DEP_1) | instskip(NEXT) | instid1(VALU_DEP_1)
	v_or_b32_e32 v9, v10, v9
	v_cndmask_b32_e64 v1, v1, v9, s7
.LBB70_18:
	s_or_b32 exec_lo, exec_lo, s10
	v_and_b32_e32 v7, 0x70, v6
	v_and_b32_e32 v10, 8, v6
	s_mov_b32 s8, exec_lo
	; wave barrier
	s_delay_alu instid0(VALU_DEP_2) | instskip(NEXT) | instid1(VALU_DEP_2)
	v_min_i32_e32 v9, v4, v7
	v_min_i32_e32 v10, v4, v10
	s_delay_alu instid0(VALU_DEP_2) | instskip(NEXT) | instid1(VALU_DEP_1)
	v_add_nc_u32_e32 v7, 8, v9
	v_min_i32_e32 v8, v4, v7
	s_delay_alu instid0(VALU_DEP_1) | instskip(SKIP_1) | instid1(VALU_DEP_2)
	v_add_nc_u32_e32 v7, 8, v8
	v_sub_nc_u32_e32 v13, v8, v9
	v_min_i32_e32 v7, v4, v7
	s_delay_alu instid0(VALU_DEP_1) | instskip(NEXT) | instid1(VALU_DEP_1)
	v_sub_nc_u32_e32 v11, v7, v8
	v_sub_nc_u32_e32 v12, v10, v11
	v_cmp_ge_i32_e64 s7, v10, v11
	s_delay_alu instid0(VALU_DEP_1)
	v_cndmask_b32_e64 v11, 0, v12, s7
	v_min_i32_e32 v12, v10, v13
	v_mad_u32_u24 v13, 0x81, v5, v2
	v_mul_u32_u24_e32 v5, 0x81, v5
	ds_store_b64 v13, v[0:1]
	; wave barrier
	v_cmpx_lt_i32_e64 v11, v12
	s_cbranch_execz .LBB70_22
; %bb.19:
	v_add_nc_u32_e32 v0, v5, v9
	v_add3_u32 v1, v5, v8, v10
	s_mov_b32 s9, 0
	.p2align	6
.LBB70_20:                              ; =>This Inner Loop Header: Depth=1
	v_sub_nc_u32_e32 v13, v12, v11
	s_delay_alu instid0(VALU_DEP_1) | instskip(NEXT) | instid1(VALU_DEP_1)
	v_lshrrev_b32_e32 v14, 31, v13
	v_add_nc_u32_e32 v13, v13, v14
	s_delay_alu instid0(VALU_DEP_1) | instskip(NEXT) | instid1(VALU_DEP_1)
	v_ashrrev_i32_e32 v13, 1, v13
	v_add_nc_u32_e32 v13, v13, v11
	s_delay_alu instid0(VALU_DEP_1)
	v_add_nc_u32_e32 v14, v0, v13
	v_xad_u32 v15, v13, -1, v1
	v_add_nc_u32_e32 v16, 1, v13
	ds_load_i8 v14, v14
	ds_load_i8 v15, v15
	s_waitcnt lgkmcnt(0)
	v_cmp_lt_i16_e64 s7, v15, v14
	s_delay_alu instid0(VALU_DEP_1) | instskip(SKIP_1) | instid1(VALU_DEP_1)
	v_cndmask_b32_e64 v12, v12, v13, s7
	v_cndmask_b32_e64 v11, v16, v11, s7
	v_cmp_ge_i32_e64 s7, v11, v12
	s_delay_alu instid0(VALU_DEP_1) | instskip(NEXT) | instid1(SALU_CYCLE_1)
	s_or_b32 s9, s7, s9
	s_and_not1_b32 exec_lo, exec_lo, s9
	s_cbranch_execnz .LBB70_20
; %bb.21:
	s_or_b32 exec_lo, exec_lo, s9
.LBB70_22:
	s_delay_alu instid0(SALU_CYCLE_1) | instskip(SKIP_2) | instid1(VALU_DEP_2)
	s_or_b32 exec_lo, exec_lo, s8
	v_add_nc_u32_e32 v0, v8, v10
	v_add_nc_u32_e32 v12, v11, v9
                                        ; implicit-def: $vgpr9
	v_sub_nc_u32_e32 v11, v0, v11
	s_delay_alu instid0(VALU_DEP_2) | instskip(SKIP_1) | instid1(VALU_DEP_3)
	v_add_nc_u32_e32 v10, v5, v12
	v_cmp_le_i32_e64 s7, v8, v12
	v_add_nc_u32_e32 v13, v5, v11
	v_cmp_gt_i32_e64 s9, v7, v11
	ds_load_u8 v0, v10
	ds_load_u8 v1, v13
	s_waitcnt lgkmcnt(1)
	v_bfe_i32 v0, v0, 0, 8
	s_waitcnt lgkmcnt(0)
	v_bfe_i32 v1, v1, 0, 8
	s_delay_alu instid0(VALU_DEP_1) | instskip(NEXT) | instid1(VALU_DEP_1)
	v_cmp_lt_i16_e64 s8, v1, v0
	s_or_b32 s7, s7, s8
	s_delay_alu instid0(SALU_CYCLE_1) | instskip(NEXT) | instid1(SALU_CYCLE_1)
	s_and_b32 s7, s9, s7
	s_xor_b32 s8, s7, -1
	s_delay_alu instid0(SALU_CYCLE_1) | instskip(NEXT) | instid1(SALU_CYCLE_1)
	s_and_saveexec_b32 s9, s8
	s_xor_b32 s8, exec_lo, s9
	s_cbranch_execz .LBB70_24
; %bb.23:
	ds_load_u8 v9, v10 offset:1
                                        ; implicit-def: $vgpr13
.LBB70_24:
	s_or_saveexec_b32 s8, s8
	v_mov_b32_e32 v10, v1
	s_xor_b32 exec_lo, exec_lo, s8
	s_cbranch_execz .LBB70_26
; %bb.25:
	ds_load_u8 v10, v13 offset:1
	s_waitcnt lgkmcnt(1)
	v_mov_b32_e32 v9, v0
.LBB70_26:
	s_or_b32 exec_lo, exec_lo, s8
	v_add_nc_u32_e32 v13, 1, v12
	v_add_nc_u32_e32 v15, 1, v11
	s_waitcnt lgkmcnt(0)
	v_bfe_i32 v16, v9, 0, 8
	s_delay_alu instid0(VALU_DEP_3) | instskip(SKIP_2) | instid1(VALU_DEP_3)
	v_cndmask_b32_e64 v14, v13, v12, s7
	v_bfe_i32 v12, v10, 0, 8
	v_cndmask_b32_e64 v13, v11, v15, s7
                                        ; implicit-def: $vgpr11
	v_cmp_ge_i32_e64 s8, v14, v8
	s_delay_alu instid0(VALU_DEP_3) | instskip(NEXT) | instid1(VALU_DEP_3)
	v_cmp_lt_i16_e64 s9, v12, v16
	v_cmp_lt_i32_e64 s10, v13, v7
	s_delay_alu instid0(VALU_DEP_2)
	s_or_b32 s8, s8, s9
	s_delay_alu instid0(VALU_DEP_1) | instid1(SALU_CYCLE_1)
	s_and_b32 s8, s10, s8
	s_delay_alu instid0(SALU_CYCLE_1) | instskip(NEXT) | instid1(SALU_CYCLE_1)
	s_xor_b32 s9, s8, -1
	s_and_saveexec_b32 s10, s9
	s_delay_alu instid0(SALU_CYCLE_1)
	s_xor_b32 s9, exec_lo, s10
	s_cbranch_execz .LBB70_28
; %bb.27:
	v_add_nc_u32_e32 v11, v5, v14
	ds_load_u8 v11, v11 offset:1
.LBB70_28:
	s_or_saveexec_b32 s9, s9
	v_mov_b32_e32 v12, v10
	s_xor_b32 exec_lo, exec_lo, s9
	s_cbranch_execz .LBB70_30
; %bb.29:
	s_waitcnt lgkmcnt(0)
	v_add_nc_u32_e32 v11, v5, v13
	ds_load_u8 v12, v11 offset:1
	v_mov_b32_e32 v11, v9
.LBB70_30:
	s_or_b32 exec_lo, exec_lo, s9
	v_add_nc_u32_e32 v15, 1, v14
	v_add_nc_u32_e32 v17, 1, v13
	s_waitcnt lgkmcnt(0)
	v_bfe_i32 v18, v11, 0, 8
	s_delay_alu instid0(VALU_DEP_3) | instskip(SKIP_2) | instid1(VALU_DEP_3)
	v_cndmask_b32_e64 v16, v15, v14, s8
	v_bfe_i32 v14, v12, 0, 8
	v_cndmask_b32_e64 v15, v13, v17, s8
                                        ; implicit-def: $vgpr13
	v_cmp_ge_i32_e64 s9, v16, v8
	s_delay_alu instid0(VALU_DEP_3) | instskip(NEXT) | instid1(VALU_DEP_3)
	v_cmp_lt_i16_e64 s10, v14, v18
	v_cmp_lt_i32_e64 s11, v15, v7
	s_delay_alu instid0(VALU_DEP_2)
	s_or_b32 s9, s9, s10
	s_delay_alu instid0(VALU_DEP_1) | instid1(SALU_CYCLE_1)
	s_and_b32 s9, s11, s9
	s_delay_alu instid0(SALU_CYCLE_1) | instskip(NEXT) | instid1(SALU_CYCLE_1)
	s_xor_b32 s10, s9, -1
	s_and_saveexec_b32 s11, s10
	s_delay_alu instid0(SALU_CYCLE_1)
	s_xor_b32 s10, exec_lo, s11
	s_cbranch_execz .LBB70_32
; %bb.31:
	v_add_nc_u32_e32 v13, v5, v16
	ds_load_u8 v13, v13 offset:1
.LBB70_32:
	s_or_saveexec_b32 s10, s10
	v_mov_b32_e32 v14, v12
	s_xor_b32 exec_lo, exec_lo, s10
	s_cbranch_execz .LBB70_34
; %bb.33:
	s_waitcnt lgkmcnt(0)
	v_add_nc_u32_e32 v13, v5, v15
	ds_load_u8 v14, v13 offset:1
	v_mov_b32_e32 v13, v11
.LBB70_34:
	s_or_b32 exec_lo, exec_lo, s10
	v_add_nc_u32_e32 v17, 1, v16
	v_add_nc_u32_e32 v19, 1, v15
	s_waitcnt lgkmcnt(0)
	v_bfe_i32 v20, v13, 0, 8
	s_delay_alu instid0(VALU_DEP_3) | instskip(SKIP_2) | instid1(VALU_DEP_3)
	v_cndmask_b32_e64 v18, v17, v16, s9
	v_bfe_i32 v16, v14, 0, 8
	v_cndmask_b32_e64 v17, v15, v19, s9
                                        ; implicit-def: $vgpr15
	v_cmp_ge_i32_e64 s10, v18, v8
	s_delay_alu instid0(VALU_DEP_3) | instskip(NEXT) | instid1(VALU_DEP_3)
	v_cmp_lt_i16_e64 s11, v16, v20
	v_cmp_lt_i32_e64 s12, v17, v7
	s_delay_alu instid0(VALU_DEP_2)
	s_or_b32 s10, s10, s11
	s_delay_alu instid0(VALU_DEP_1) | instid1(SALU_CYCLE_1)
	s_and_b32 s10, s12, s10
	s_delay_alu instid0(SALU_CYCLE_1) | instskip(NEXT) | instid1(SALU_CYCLE_1)
	s_xor_b32 s11, s10, -1
	s_and_saveexec_b32 s12, s11
	s_delay_alu instid0(SALU_CYCLE_1)
	s_xor_b32 s11, exec_lo, s12
	s_cbranch_execz .LBB70_36
; %bb.35:
	v_add_nc_u32_e32 v15, v5, v18
	ds_load_u8 v15, v15 offset:1
.LBB70_36:
	s_or_saveexec_b32 s11, s11
	v_mov_b32_e32 v16, v14
	s_xor_b32 exec_lo, exec_lo, s11
	s_cbranch_execz .LBB70_38
; %bb.37:
	s_waitcnt lgkmcnt(0)
	v_add_nc_u32_e32 v15, v5, v17
	ds_load_u8 v16, v15 offset:1
	v_mov_b32_e32 v15, v13
.LBB70_38:
	s_or_b32 exec_lo, exec_lo, s11
	v_add_nc_u32_e32 v19, 1, v18
	v_add_nc_u32_e32 v21, 1, v17
	s_waitcnt lgkmcnt(0)
	v_bfe_i32 v22, v15, 0, 8
	s_delay_alu instid0(VALU_DEP_3) | instskip(SKIP_2) | instid1(VALU_DEP_3)
	v_cndmask_b32_e64 v20, v19, v18, s10
	v_bfe_i32 v18, v16, 0, 8
	v_cndmask_b32_e64 v19, v17, v21, s10
                                        ; implicit-def: $vgpr17
	v_cmp_ge_i32_e64 s11, v20, v8
	s_delay_alu instid0(VALU_DEP_3) | instskip(NEXT) | instid1(VALU_DEP_3)
	v_cmp_lt_i16_e64 s12, v18, v22
	v_cmp_lt_i32_e64 s13, v19, v7
	s_delay_alu instid0(VALU_DEP_2)
	s_or_b32 s11, s11, s12
	s_delay_alu instid0(VALU_DEP_1) | instid1(SALU_CYCLE_1)
	s_and_b32 s11, s13, s11
	s_delay_alu instid0(SALU_CYCLE_1) | instskip(NEXT) | instid1(SALU_CYCLE_1)
	s_xor_b32 s12, s11, -1
	s_and_saveexec_b32 s13, s12
	s_delay_alu instid0(SALU_CYCLE_1)
	s_xor_b32 s12, exec_lo, s13
	s_cbranch_execz .LBB70_40
; %bb.39:
	v_add_nc_u32_e32 v17, v5, v20
	ds_load_u8 v17, v17 offset:1
.LBB70_40:
	s_or_saveexec_b32 s12, s12
	v_mov_b32_e32 v18, v16
	s_xor_b32 exec_lo, exec_lo, s12
	s_cbranch_execz .LBB70_42
; %bb.41:
	s_waitcnt lgkmcnt(0)
	v_add_nc_u32_e32 v17, v5, v19
	ds_load_u8 v18, v17 offset:1
	v_mov_b32_e32 v17, v15
.LBB70_42:
	s_or_b32 exec_lo, exec_lo, s12
	v_add_nc_u32_e32 v21, 1, v20
	v_add_nc_u32_e32 v22, 1, v19
	s_waitcnt lgkmcnt(0)
	v_bfe_i32 v23, v17, 0, 8
	s_delay_alu instid0(VALU_DEP_3) | instskip(SKIP_2) | instid1(VALU_DEP_3)
	v_cndmask_b32_e64 v20, v21, v20, s11
	v_bfe_i32 v21, v18, 0, 8
	v_cndmask_b32_e64 v19, v19, v22, s11
	v_cmp_ge_i32_e64 s12, v20, v8
	s_delay_alu instid0(VALU_DEP_3) | instskip(NEXT) | instid1(VALU_DEP_3)
	v_cmp_lt_i16_e64 s13, v21, v23
	v_cmp_lt_i32_e64 s14, v19, v7
                                        ; implicit-def: $vgpr21
	s_delay_alu instid0(VALU_DEP_2)
	s_or_b32 s12, s12, s13
	s_delay_alu instid0(VALU_DEP_1) | instid1(SALU_CYCLE_1)
	s_and_b32 s12, s14, s12
	s_delay_alu instid0(SALU_CYCLE_1) | instskip(NEXT) | instid1(SALU_CYCLE_1)
	s_xor_b32 s13, s12, -1
	s_and_saveexec_b32 s14, s13
	s_delay_alu instid0(SALU_CYCLE_1)
	s_xor_b32 s13, exec_lo, s14
	s_cbranch_execz .LBB70_44
; %bb.43:
	v_add_nc_u32_e32 v21, v5, v20
	ds_load_u8 v21, v21 offset:1
.LBB70_44:
	s_or_saveexec_b32 s13, s13
	v_mov_b32_e32 v22, v18
	s_xor_b32 exec_lo, exec_lo, s13
	s_cbranch_execz .LBB70_46
; %bb.45:
	s_waitcnt lgkmcnt(0)
	v_add_nc_u32_e32 v21, v5, v19
	ds_load_u8 v22, v21 offset:1
	v_mov_b32_e32 v21, v17
.LBB70_46:
	s_or_b32 exec_lo, exec_lo, s13
	v_add_nc_u32_e32 v23, 1, v20
	v_add_nc_u32_e32 v24, 1, v19
	s_waitcnt lgkmcnt(0)
	v_bfe_i32 v25, v21, 0, 8
	s_delay_alu instid0(VALU_DEP_3) | instskip(SKIP_2) | instid1(VALU_DEP_3)
	v_cndmask_b32_e64 v23, v23, v20, s12
	v_bfe_i32 v20, v22, 0, 8
	v_cndmask_b32_e64 v24, v19, v24, s12
                                        ; implicit-def: $vgpr19
	v_cmp_ge_i32_e64 s13, v23, v8
	s_delay_alu instid0(VALU_DEP_3) | instskip(NEXT) | instid1(VALU_DEP_3)
	v_cmp_lt_i16_e64 s14, v20, v25
	v_cmp_lt_i32_e64 s15, v24, v7
	s_delay_alu instid0(VALU_DEP_2)
	s_or_b32 s13, s13, s14
	s_delay_alu instid0(VALU_DEP_1) | instid1(SALU_CYCLE_1)
	s_and_b32 s13, s15, s13
	s_delay_alu instid0(SALU_CYCLE_1) | instskip(NEXT) | instid1(SALU_CYCLE_1)
	s_xor_b32 s14, s13, -1
	s_and_saveexec_b32 s15, s14
	s_delay_alu instid0(SALU_CYCLE_1)
	s_xor_b32 s14, exec_lo, s15
	s_cbranch_execz .LBB70_48
; %bb.47:
	v_add_nc_u32_e32 v19, v5, v23
	ds_load_u8 v19, v19 offset:1
.LBB70_48:
	s_or_saveexec_b32 s14, s14
	v_mov_b32_e32 v20, v22
	s_xor_b32 exec_lo, exec_lo, s14
	s_cbranch_execz .LBB70_50
; %bb.49:
	s_waitcnt lgkmcnt(0)
	v_add_nc_u32_e32 v19, v5, v24
	ds_load_u8 v20, v19 offset:1
	v_mov_b32_e32 v19, v21
.LBB70_50:
	s_or_b32 exec_lo, exec_lo, s14
	v_add_nc_u32_e32 v25, 1, v24
	v_add_nc_u32_e32 v26, 1, v23
	v_cndmask_b32_e64 v21, v21, v22, s13
	v_cndmask_b32_e64 v17, v17, v18, s12
	;; [unrolled: 1-line block ×5, first 2 shown]
	v_and_b32_e32 v24, 0x60, v6
	v_cndmask_b32_e64 v15, v15, v16, s11
	s_waitcnt lgkmcnt(0)
	v_bfe_i32 v16, v19, 0, 8
	v_bfe_i32 v23, v20, 0, 8
	v_cmp_ge_i32_e64 s9, v22, v8
	v_min_i32_e32 v8, v4, v24
	v_cndmask_b32_e64 v9, v9, v10, s8
	v_cndmask_b32_e64 v0, v0, v1, s7
	;; [unrolled: 1-line block ×3, first 2 shown]
	v_cmp_lt_i16_e64 s10, v23, v16
	v_add_nc_u32_e32 v1, 16, v8
	v_cmp_lt_i32_e64 s7, v18, v7
	v_lshlrev_b16 v7, 8, v9
	v_and_b32_e32 v9, 0xff, v0
	s_or_b32 s8, s9, s10
	v_min_i32_e32 v1, v4, v1
	s_and_b32 s7, s7, s8
	v_lshlrev_b16 v10, 8, v13
	v_and_b32_e32 v11, 0xff, v11
	v_cndmask_b32_e64 v12, v19, v20, s7
	v_or_b32_e32 v13, v9, v7
	v_add_nc_u32_e32 v7, 16, v1
	v_lshlrev_b16 v9, 8, v17
	v_or_b32_e32 v10, v11, v10
	v_and_b32_e32 v11, 0xff, v15
	v_and_b32_e32 v14, 24, v6
	v_min_i32_e32 v7, v4, v7
	v_and_b32_e32 v15, 0xff, v21
	v_lshlrev_b16 v12, 8, v12
	v_or_b32_e32 v11, v11, v9
	v_min_i32_e32 v9, v4, v14
	v_sub_nc_u32_e32 v14, v7, v1
	v_and_b32_e32 v13, 0xffff, v13
	v_or_b32_e32 v12, v15, v12
	v_lshlrev_b32_e32 v10, 16, v10
	v_and_b32_e32 v15, 0xffff, v11
	v_sub_nc_u32_e32 v11, v9, v14
	v_sub_nc_u32_e32 v16, v1, v8
	v_lshlrev_b32_e32 v17, 16, v12
	v_cmp_ge_i32_e64 s7, v9, v14
	v_add_nc_u32_e32 v0, v5, v2
	v_or_b32_e32 v12, v13, v10
	s_mov_b32 s9, 0
	v_or_b32_e32 v13, v15, v17
	v_cndmask_b32_e64 v10, 0, v11, s7
	v_min_i32_e32 v11, v9, v16
	s_mov_b32 s8, exec_lo
	; wave barrier
	ds_store_b64 v0, v[12:13]
	; wave barrier
	v_cmpx_lt_i32_e64 v10, v11
	s_cbranch_execz .LBB70_54
; %bb.51:
	v_add_nc_u32_e32 v12, v5, v8
	v_add3_u32 v13, v5, v1, v9
	.p2align	6
.LBB70_52:                              ; =>This Inner Loop Header: Depth=1
	v_sub_nc_u32_e32 v14, v11, v10
	s_delay_alu instid0(VALU_DEP_1) | instskip(NEXT) | instid1(VALU_DEP_1)
	v_lshrrev_b32_e32 v15, 31, v14
	v_add_nc_u32_e32 v14, v14, v15
	s_delay_alu instid0(VALU_DEP_1) | instskip(NEXT) | instid1(VALU_DEP_1)
	v_ashrrev_i32_e32 v14, 1, v14
	v_add_nc_u32_e32 v14, v14, v10
	s_delay_alu instid0(VALU_DEP_1)
	v_add_nc_u32_e32 v15, v12, v14
	v_xad_u32 v16, v14, -1, v13
	v_add_nc_u32_e32 v17, 1, v14
	ds_load_i8 v15, v15
	ds_load_i8 v16, v16
	s_waitcnt lgkmcnt(0)
	v_cmp_lt_i16_e64 s7, v16, v15
	s_delay_alu instid0(VALU_DEP_1) | instskip(SKIP_1) | instid1(VALU_DEP_1)
	v_cndmask_b32_e64 v11, v11, v14, s7
	v_cndmask_b32_e64 v10, v17, v10, s7
	v_cmp_ge_i32_e64 s7, v10, v11
	s_delay_alu instid0(VALU_DEP_1) | instskip(NEXT) | instid1(SALU_CYCLE_1)
	s_or_b32 s9, s7, s9
	s_and_not1_b32 exec_lo, exec_lo, s9
	s_cbranch_execnz .LBB70_52
; %bb.53:
	s_or_b32 exec_lo, exec_lo, s9
.LBB70_54:
	s_delay_alu instid0(SALU_CYCLE_1) | instskip(SKIP_2) | instid1(VALU_DEP_2)
	s_or_b32 exec_lo, exec_lo, s8
	v_add_nc_u32_e32 v9, v1, v9
	v_add_nc_u32_e32 v13, v10, v8
	v_sub_nc_u32_e32 v12, v9, v10
	s_delay_alu instid0(VALU_DEP_2) | instskip(SKIP_1) | instid1(VALU_DEP_3)
	v_add_nc_u32_e32 v11, v5, v13
	v_cmp_le_i32_e64 s7, v1, v13
                                        ; implicit-def: $vgpr10
	v_add_nc_u32_e32 v14, v5, v12
	v_cmp_gt_i32_e64 s9, v7, v12
	ds_load_u8 v8, v11
	ds_load_u8 v9, v14
	s_waitcnt lgkmcnt(1)
	v_bfe_i32 v8, v8, 0, 8
	s_waitcnt lgkmcnt(0)
	v_bfe_i32 v9, v9, 0, 8
	s_delay_alu instid0(VALU_DEP_1) | instskip(NEXT) | instid1(VALU_DEP_1)
	v_cmp_lt_i16_e64 s8, v9, v8
	s_or_b32 s7, s7, s8
	s_delay_alu instid0(SALU_CYCLE_1) | instskip(NEXT) | instid1(SALU_CYCLE_1)
	s_and_b32 s7, s9, s7
	s_xor_b32 s8, s7, -1
	s_delay_alu instid0(SALU_CYCLE_1) | instskip(NEXT) | instid1(SALU_CYCLE_1)
	s_and_saveexec_b32 s9, s8
	s_xor_b32 s8, exec_lo, s9
	s_cbranch_execz .LBB70_56
; %bb.55:
	ds_load_u8 v10, v11 offset:1
                                        ; implicit-def: $vgpr14
.LBB70_56:
	s_or_saveexec_b32 s8, s8
	v_mov_b32_e32 v11, v9
	s_xor_b32 exec_lo, exec_lo, s8
	s_cbranch_execz .LBB70_58
; %bb.57:
	ds_load_u8 v11, v14 offset:1
	s_waitcnt lgkmcnt(1)
	v_mov_b32_e32 v10, v8
.LBB70_58:
	s_or_b32 exec_lo, exec_lo, s8
	v_add_nc_u32_e32 v14, 1, v13
	v_add_nc_u32_e32 v16, 1, v12
	s_waitcnt lgkmcnt(0)
	v_bfe_i32 v17, v10, 0, 8
	s_delay_alu instid0(VALU_DEP_3) | instskip(SKIP_2) | instid1(VALU_DEP_3)
	v_cndmask_b32_e64 v15, v14, v13, s7
	v_bfe_i32 v13, v11, 0, 8
	v_cndmask_b32_e64 v14, v12, v16, s7
                                        ; implicit-def: $vgpr12
	v_cmp_ge_i32_e64 s8, v15, v1
	s_delay_alu instid0(VALU_DEP_3) | instskip(NEXT) | instid1(VALU_DEP_3)
	v_cmp_lt_i16_e64 s9, v13, v17
	v_cmp_lt_i32_e64 s10, v14, v7
	s_delay_alu instid0(VALU_DEP_2)
	s_or_b32 s8, s8, s9
	s_delay_alu instid0(VALU_DEP_1) | instid1(SALU_CYCLE_1)
	s_and_b32 s8, s10, s8
	s_delay_alu instid0(SALU_CYCLE_1) | instskip(NEXT) | instid1(SALU_CYCLE_1)
	s_xor_b32 s9, s8, -1
	s_and_saveexec_b32 s10, s9
	s_delay_alu instid0(SALU_CYCLE_1)
	s_xor_b32 s9, exec_lo, s10
	s_cbranch_execz .LBB70_60
; %bb.59:
	v_add_nc_u32_e32 v12, v5, v15
	ds_load_u8 v12, v12 offset:1
.LBB70_60:
	s_or_saveexec_b32 s9, s9
	v_mov_b32_e32 v13, v11
	s_xor_b32 exec_lo, exec_lo, s9
	s_cbranch_execz .LBB70_62
; %bb.61:
	s_waitcnt lgkmcnt(0)
	v_add_nc_u32_e32 v12, v5, v14
	ds_load_u8 v13, v12 offset:1
	v_mov_b32_e32 v12, v10
.LBB70_62:
	s_or_b32 exec_lo, exec_lo, s9
	v_add_nc_u32_e32 v16, 1, v15
	v_add_nc_u32_e32 v18, 1, v14
	s_waitcnt lgkmcnt(0)
	v_bfe_i32 v19, v12, 0, 8
	s_delay_alu instid0(VALU_DEP_3) | instskip(SKIP_2) | instid1(VALU_DEP_3)
	v_cndmask_b32_e64 v17, v16, v15, s8
	v_bfe_i32 v15, v13, 0, 8
	v_cndmask_b32_e64 v16, v14, v18, s8
                                        ; implicit-def: $vgpr14
	v_cmp_ge_i32_e64 s9, v17, v1
	s_delay_alu instid0(VALU_DEP_3) | instskip(NEXT) | instid1(VALU_DEP_3)
	v_cmp_lt_i16_e64 s10, v15, v19
	v_cmp_lt_i32_e64 s11, v16, v7
	s_delay_alu instid0(VALU_DEP_2)
	s_or_b32 s9, s9, s10
	s_delay_alu instid0(VALU_DEP_1) | instid1(SALU_CYCLE_1)
	s_and_b32 s9, s11, s9
	s_delay_alu instid0(SALU_CYCLE_1) | instskip(NEXT) | instid1(SALU_CYCLE_1)
	s_xor_b32 s10, s9, -1
	s_and_saveexec_b32 s11, s10
	s_delay_alu instid0(SALU_CYCLE_1)
	s_xor_b32 s10, exec_lo, s11
	s_cbranch_execz .LBB70_64
; %bb.63:
	v_add_nc_u32_e32 v14, v5, v17
	ds_load_u8 v14, v14 offset:1
.LBB70_64:
	s_or_saveexec_b32 s10, s10
	v_mov_b32_e32 v15, v13
	s_xor_b32 exec_lo, exec_lo, s10
	s_cbranch_execz .LBB70_66
; %bb.65:
	s_waitcnt lgkmcnt(0)
	v_add_nc_u32_e32 v14, v5, v16
	ds_load_u8 v15, v14 offset:1
	v_mov_b32_e32 v14, v12
.LBB70_66:
	s_or_b32 exec_lo, exec_lo, s10
	v_add_nc_u32_e32 v18, 1, v17
	v_add_nc_u32_e32 v20, 1, v16
	s_waitcnt lgkmcnt(0)
	v_bfe_i32 v21, v14, 0, 8
	s_delay_alu instid0(VALU_DEP_3) | instskip(SKIP_2) | instid1(VALU_DEP_3)
	v_cndmask_b32_e64 v19, v18, v17, s9
	v_bfe_i32 v17, v15, 0, 8
	v_cndmask_b32_e64 v18, v16, v20, s9
                                        ; implicit-def: $vgpr16
	v_cmp_ge_i32_e64 s10, v19, v1
	s_delay_alu instid0(VALU_DEP_3) | instskip(NEXT) | instid1(VALU_DEP_3)
	v_cmp_lt_i16_e64 s11, v17, v21
	v_cmp_lt_i32_e64 s12, v18, v7
	s_delay_alu instid0(VALU_DEP_2)
	s_or_b32 s10, s10, s11
	s_delay_alu instid0(VALU_DEP_1) | instid1(SALU_CYCLE_1)
	s_and_b32 s10, s12, s10
	s_delay_alu instid0(SALU_CYCLE_1) | instskip(NEXT) | instid1(SALU_CYCLE_1)
	s_xor_b32 s11, s10, -1
	s_and_saveexec_b32 s12, s11
	s_delay_alu instid0(SALU_CYCLE_1)
	s_xor_b32 s11, exec_lo, s12
	s_cbranch_execz .LBB70_68
; %bb.67:
	v_add_nc_u32_e32 v16, v5, v19
	ds_load_u8 v16, v16 offset:1
.LBB70_68:
	s_or_saveexec_b32 s11, s11
	v_mov_b32_e32 v17, v15
	s_xor_b32 exec_lo, exec_lo, s11
	s_cbranch_execz .LBB70_70
; %bb.69:
	s_waitcnt lgkmcnt(0)
	v_add_nc_u32_e32 v16, v5, v18
	ds_load_u8 v17, v16 offset:1
	v_mov_b32_e32 v16, v14
.LBB70_70:
	s_or_b32 exec_lo, exec_lo, s11
	v_add_nc_u32_e32 v20, 1, v19
	v_add_nc_u32_e32 v22, 1, v18
	s_waitcnt lgkmcnt(0)
	v_bfe_i32 v23, v16, 0, 8
	s_delay_alu instid0(VALU_DEP_3) | instskip(SKIP_2) | instid1(VALU_DEP_3)
	v_cndmask_b32_e64 v21, v20, v19, s10
	v_bfe_i32 v19, v17, 0, 8
	v_cndmask_b32_e64 v20, v18, v22, s10
                                        ; implicit-def: $vgpr18
	v_cmp_ge_i32_e64 s11, v21, v1
	s_delay_alu instid0(VALU_DEP_3) | instskip(NEXT) | instid1(VALU_DEP_3)
	v_cmp_lt_i16_e64 s12, v19, v23
	v_cmp_lt_i32_e64 s13, v20, v7
	s_delay_alu instid0(VALU_DEP_2)
	s_or_b32 s11, s11, s12
	s_delay_alu instid0(VALU_DEP_1) | instid1(SALU_CYCLE_1)
	s_and_b32 s11, s13, s11
	s_delay_alu instid0(SALU_CYCLE_1) | instskip(NEXT) | instid1(SALU_CYCLE_1)
	s_xor_b32 s12, s11, -1
	s_and_saveexec_b32 s13, s12
	s_delay_alu instid0(SALU_CYCLE_1)
	s_xor_b32 s12, exec_lo, s13
	s_cbranch_execz .LBB70_72
; %bb.71:
	v_add_nc_u32_e32 v18, v5, v21
	ds_load_u8 v18, v18 offset:1
.LBB70_72:
	s_or_saveexec_b32 s12, s12
	v_mov_b32_e32 v19, v17
	s_xor_b32 exec_lo, exec_lo, s12
	s_cbranch_execz .LBB70_74
; %bb.73:
	s_waitcnt lgkmcnt(0)
	v_add_nc_u32_e32 v18, v5, v20
	ds_load_u8 v19, v18 offset:1
	v_mov_b32_e32 v18, v16
.LBB70_74:
	s_or_b32 exec_lo, exec_lo, s12
	v_add_nc_u32_e32 v22, 1, v21
	v_add_nc_u32_e32 v23, 1, v20
	s_waitcnt lgkmcnt(0)
	v_bfe_i32 v24, v18, 0, 8
	s_delay_alu instid0(VALU_DEP_3) | instskip(SKIP_2) | instid1(VALU_DEP_3)
	v_cndmask_b32_e64 v21, v22, v21, s11
	v_bfe_i32 v22, v19, 0, 8
	v_cndmask_b32_e64 v20, v20, v23, s11
	v_cmp_ge_i32_e64 s12, v21, v1
	s_delay_alu instid0(VALU_DEP_3) | instskip(NEXT) | instid1(VALU_DEP_3)
	v_cmp_lt_i16_e64 s13, v22, v24
	v_cmp_lt_i32_e64 s14, v20, v7
                                        ; implicit-def: $vgpr22
	s_delay_alu instid0(VALU_DEP_2)
	s_or_b32 s12, s12, s13
	s_delay_alu instid0(VALU_DEP_1) | instid1(SALU_CYCLE_1)
	s_and_b32 s12, s14, s12
	s_delay_alu instid0(SALU_CYCLE_1) | instskip(NEXT) | instid1(SALU_CYCLE_1)
	s_xor_b32 s13, s12, -1
	s_and_saveexec_b32 s14, s13
	s_delay_alu instid0(SALU_CYCLE_1)
	s_xor_b32 s13, exec_lo, s14
	s_cbranch_execz .LBB70_76
; %bb.75:
	v_add_nc_u32_e32 v22, v5, v21
	ds_load_u8 v22, v22 offset:1
.LBB70_76:
	s_or_saveexec_b32 s13, s13
	v_mov_b32_e32 v23, v19
	s_xor_b32 exec_lo, exec_lo, s13
	s_cbranch_execz .LBB70_78
; %bb.77:
	s_waitcnt lgkmcnt(0)
	v_add_nc_u32_e32 v22, v5, v20
	ds_load_u8 v23, v22 offset:1
	v_mov_b32_e32 v22, v18
.LBB70_78:
	s_or_b32 exec_lo, exec_lo, s13
	v_add_nc_u32_e32 v24, 1, v21
	v_add_nc_u32_e32 v25, 1, v20
	s_waitcnt lgkmcnt(0)
	v_bfe_i32 v26, v22, 0, 8
	s_delay_alu instid0(VALU_DEP_3) | instskip(SKIP_2) | instid1(VALU_DEP_3)
	v_cndmask_b32_e64 v24, v24, v21, s12
	v_bfe_i32 v21, v23, 0, 8
	v_cndmask_b32_e64 v25, v20, v25, s12
                                        ; implicit-def: $vgpr20
	v_cmp_ge_i32_e64 s13, v24, v1
	s_delay_alu instid0(VALU_DEP_3) | instskip(NEXT) | instid1(VALU_DEP_3)
	v_cmp_lt_i16_e64 s14, v21, v26
	v_cmp_lt_i32_e64 s15, v25, v7
	s_delay_alu instid0(VALU_DEP_2)
	s_or_b32 s13, s13, s14
	s_delay_alu instid0(VALU_DEP_1) | instid1(SALU_CYCLE_1)
	s_and_b32 s13, s15, s13
	s_delay_alu instid0(SALU_CYCLE_1) | instskip(NEXT) | instid1(SALU_CYCLE_1)
	s_xor_b32 s14, s13, -1
	s_and_saveexec_b32 s15, s14
	s_delay_alu instid0(SALU_CYCLE_1)
	s_xor_b32 s14, exec_lo, s15
	s_cbranch_execz .LBB70_80
; %bb.79:
	v_add_nc_u32_e32 v20, v5, v24
	ds_load_u8 v20, v20 offset:1
.LBB70_80:
	s_or_saveexec_b32 s14, s14
	v_mov_b32_e32 v21, v23
	s_xor_b32 exec_lo, exec_lo, s14
	s_cbranch_execz .LBB70_82
; %bb.81:
	s_waitcnt lgkmcnt(0)
	v_add_nc_u32_e32 v20, v5, v25
	ds_load_u8 v21, v20 offset:1
	v_mov_b32_e32 v20, v22
.LBB70_82:
	s_or_b32 exec_lo, exec_lo, s14
	v_add_nc_u32_e32 v27, 1, v24
	v_add_nc_u32_e32 v26, 1, v25
	v_cndmask_b32_e64 v22, v22, v23, s13
	v_cndmask_b32_e64 v18, v18, v19, s12
	;; [unrolled: 1-line block ×4, first 2 shown]
	v_and_b32_e32 v24, 64, v6
	v_cndmask_b32_e64 v19, v25, v26, s13
	v_cndmask_b32_e64 v16, v16, v17, s11
	s_waitcnt lgkmcnt(0)
	v_bfe_i32 v17, v20, 0, 8
	v_bfe_i32 v25, v21, 0, 8
	v_min_i32_e32 v12, v4, v24
	v_cmp_ge_i32_e64 s9, v23, v1
	v_cndmask_b32_e64 v1, v10, v11, s8
	v_cndmask_b32_e64 v8, v8, v9, s7
	v_cmp_lt_i32_e64 s7, v19, v7
	v_add_nc_u32_e32 v7, 32, v12
	v_cndmask_b32_e64 v14, v14, v15, s10
	v_cmp_lt_i16_e64 s10, v25, v17
	v_lshlrev_b16 v9, 8, v1
	v_and_b32_e32 v8, 0xff, v8
	v_min_i32_e32 v1, v4, v7
	v_lshlrev_b16 v10, 8, v14
	s_or_b32 s8, s9, s10
	v_and_b32_e32 v7, 0xff, v13
	s_and_b32 s7, s7, s8
	v_or_b32_e32 v8, v8, v9
	v_cndmask_b32_e64 v11, v20, v21, s7
	v_add_nc_u32_e32 v9, 32, v1
	v_or_b32_e32 v10, v7, v10
	v_lshlrev_b16 v7, 8, v18
	v_and_b32_e32 v13, 0xff, v16
	v_and_b32_e32 v14, 56, v6
	v_min_i32_e32 v6, v4, v9
	v_and_b32_e32 v9, 0xff, v22
	v_lshlrev_b16 v11, 8, v11
	v_or_b32_e32 v13, v13, v7
	v_min_i32_e32 v7, v4, v14
	v_sub_nc_u32_e32 v14, v6, v1
	v_and_b32_e32 v8, 0xffff, v8
	v_or_b32_e32 v9, v9, v11
	v_lshlrev_b32_e32 v10, 16, v10
	v_and_b32_e32 v11, 0xffff, v13
	v_sub_nc_u32_e32 v13, v7, v14
	v_sub_nc_u32_e32 v15, v1, v12
	v_lshlrev_b32_e32 v16, 16, v9
	v_cmp_ge_i32_e64 s7, v7, v14
	v_or_b32_e32 v10, v8, v10
	s_mov_b32 s9, 0
	v_min_i32_e32 v9, v7, v15
	v_or_b32_e32 v11, v11, v16
	v_cndmask_b32_e64 v8, 0, v13, s7
	s_mov_b32 s8, exec_lo
	; wave barrier
	ds_store_b64 v0, v[10:11]
	; wave barrier
	v_cmpx_lt_i32_e64 v8, v9
	s_cbranch_execz .LBB70_86
; %bb.83:
	v_add_nc_u32_e32 v10, v5, v12
	v_add3_u32 v11, v5, v1, v7
	.p2align	6
.LBB70_84:                              ; =>This Inner Loop Header: Depth=1
	v_sub_nc_u32_e32 v13, v9, v8
	s_delay_alu instid0(VALU_DEP_1) | instskip(NEXT) | instid1(VALU_DEP_1)
	v_lshrrev_b32_e32 v14, 31, v13
	v_add_nc_u32_e32 v13, v13, v14
	s_delay_alu instid0(VALU_DEP_1) | instskip(NEXT) | instid1(VALU_DEP_1)
	v_ashrrev_i32_e32 v13, 1, v13
	v_add_nc_u32_e32 v13, v13, v8
	s_delay_alu instid0(VALU_DEP_1)
	v_add_nc_u32_e32 v14, v10, v13
	v_xad_u32 v15, v13, -1, v11
	v_add_nc_u32_e32 v16, 1, v13
	ds_load_i8 v14, v14
	ds_load_i8 v15, v15
	s_waitcnt lgkmcnt(0)
	v_cmp_lt_i16_e64 s7, v15, v14
	s_delay_alu instid0(VALU_DEP_1) | instskip(SKIP_1) | instid1(VALU_DEP_1)
	v_cndmask_b32_e64 v9, v9, v13, s7
	v_cndmask_b32_e64 v8, v16, v8, s7
	v_cmp_ge_i32_e64 s7, v8, v9
	s_delay_alu instid0(VALU_DEP_1) | instskip(NEXT) | instid1(SALU_CYCLE_1)
	s_or_b32 s9, s7, s9
	s_and_not1_b32 exec_lo, exec_lo, s9
	s_cbranch_execnz .LBB70_84
; %bb.85:
	s_or_b32 exec_lo, exec_lo, s9
.LBB70_86:
	s_delay_alu instid0(SALU_CYCLE_1) | instskip(SKIP_2) | instid1(VALU_DEP_2)
	s_or_b32 exec_lo, exec_lo, s8
	v_add_nc_u32_e32 v7, v1, v7
	v_add_nc_u32_e32 v12, v8, v12
                                        ; implicit-def: $vgpr9
	v_sub_nc_u32_e32 v11, v7, v8
	s_delay_alu instid0(VALU_DEP_2) | instskip(SKIP_1) | instid1(VALU_DEP_3)
	v_add_nc_u32_e32 v10, v5, v12
	v_cmp_le_i32_e64 s7, v1, v12
	v_add_nc_u32_e32 v13, v5, v11
	v_cmp_gt_i32_e64 s9, v6, v11
	ds_load_u8 v7, v10
	ds_load_u8 v8, v13
	s_waitcnt lgkmcnt(1)
	v_bfe_i32 v7, v7, 0, 8
	s_waitcnt lgkmcnt(0)
	v_bfe_i32 v8, v8, 0, 8
	s_delay_alu instid0(VALU_DEP_1) | instskip(NEXT) | instid1(VALU_DEP_1)
	v_cmp_lt_i16_e64 s8, v8, v7
	s_or_b32 s7, s7, s8
	s_delay_alu instid0(SALU_CYCLE_1) | instskip(NEXT) | instid1(SALU_CYCLE_1)
	s_and_b32 s7, s9, s7
	s_xor_b32 s8, s7, -1
	s_delay_alu instid0(SALU_CYCLE_1) | instskip(NEXT) | instid1(SALU_CYCLE_1)
	s_and_saveexec_b32 s9, s8
	s_xor_b32 s8, exec_lo, s9
	s_cbranch_execz .LBB70_88
; %bb.87:
	ds_load_u8 v9, v10 offset:1
                                        ; implicit-def: $vgpr13
.LBB70_88:
	s_or_saveexec_b32 s8, s8
	v_mov_b32_e32 v10, v8
	s_xor_b32 exec_lo, exec_lo, s8
	s_cbranch_execz .LBB70_90
; %bb.89:
	ds_load_u8 v10, v13 offset:1
	s_waitcnt lgkmcnt(1)
	v_mov_b32_e32 v9, v7
.LBB70_90:
	s_or_b32 exec_lo, exec_lo, s8
	v_add_nc_u32_e32 v13, 1, v12
	v_add_nc_u32_e32 v15, 1, v11
	s_waitcnt lgkmcnt(0)
	v_bfe_i32 v16, v9, 0, 8
	s_delay_alu instid0(VALU_DEP_3) | instskip(SKIP_2) | instid1(VALU_DEP_3)
	v_cndmask_b32_e64 v14, v13, v12, s7
	v_bfe_i32 v12, v10, 0, 8
	v_cndmask_b32_e64 v13, v11, v15, s7
                                        ; implicit-def: $vgpr11
	v_cmp_ge_i32_e64 s8, v14, v1
	s_delay_alu instid0(VALU_DEP_3) | instskip(NEXT) | instid1(VALU_DEP_3)
	v_cmp_lt_i16_e64 s9, v12, v16
	v_cmp_lt_i32_e64 s10, v13, v6
	s_delay_alu instid0(VALU_DEP_2)
	s_or_b32 s8, s8, s9
	s_delay_alu instid0(VALU_DEP_1) | instid1(SALU_CYCLE_1)
	s_and_b32 s8, s10, s8
	s_delay_alu instid0(SALU_CYCLE_1) | instskip(NEXT) | instid1(SALU_CYCLE_1)
	s_xor_b32 s9, s8, -1
	s_and_saveexec_b32 s10, s9
	s_delay_alu instid0(SALU_CYCLE_1)
	s_xor_b32 s9, exec_lo, s10
	s_cbranch_execz .LBB70_92
; %bb.91:
	v_add_nc_u32_e32 v11, v5, v14
	ds_load_u8 v11, v11 offset:1
.LBB70_92:
	s_or_saveexec_b32 s9, s9
	v_mov_b32_e32 v12, v10
	s_xor_b32 exec_lo, exec_lo, s9
	s_cbranch_execz .LBB70_94
; %bb.93:
	s_waitcnt lgkmcnt(0)
	v_add_nc_u32_e32 v11, v5, v13
	ds_load_u8 v12, v11 offset:1
	v_mov_b32_e32 v11, v9
.LBB70_94:
	s_or_b32 exec_lo, exec_lo, s9
	v_add_nc_u32_e32 v15, 1, v14
	v_add_nc_u32_e32 v17, 1, v13
	s_waitcnt lgkmcnt(0)
	v_bfe_i32 v18, v11, 0, 8
	s_delay_alu instid0(VALU_DEP_3) | instskip(SKIP_2) | instid1(VALU_DEP_3)
	v_cndmask_b32_e64 v16, v15, v14, s8
	v_bfe_i32 v14, v12, 0, 8
	v_cndmask_b32_e64 v15, v13, v17, s8
                                        ; implicit-def: $vgpr13
	v_cmp_ge_i32_e64 s9, v16, v1
	s_delay_alu instid0(VALU_DEP_3) | instskip(NEXT) | instid1(VALU_DEP_3)
	v_cmp_lt_i16_e64 s10, v14, v18
	v_cmp_lt_i32_e64 s11, v15, v6
	s_delay_alu instid0(VALU_DEP_2)
	s_or_b32 s9, s9, s10
	s_delay_alu instid0(VALU_DEP_1) | instid1(SALU_CYCLE_1)
	s_and_b32 s9, s11, s9
	s_delay_alu instid0(SALU_CYCLE_1) | instskip(NEXT) | instid1(SALU_CYCLE_1)
	s_xor_b32 s10, s9, -1
	s_and_saveexec_b32 s11, s10
	s_delay_alu instid0(SALU_CYCLE_1)
	s_xor_b32 s10, exec_lo, s11
	s_cbranch_execz .LBB70_96
; %bb.95:
	v_add_nc_u32_e32 v13, v5, v16
	ds_load_u8 v13, v13 offset:1
.LBB70_96:
	s_or_saveexec_b32 s10, s10
	v_mov_b32_e32 v14, v12
	s_xor_b32 exec_lo, exec_lo, s10
	s_cbranch_execz .LBB70_98
; %bb.97:
	s_waitcnt lgkmcnt(0)
	v_add_nc_u32_e32 v13, v5, v15
	ds_load_u8 v14, v13 offset:1
	v_mov_b32_e32 v13, v11
.LBB70_98:
	s_or_b32 exec_lo, exec_lo, s10
	v_add_nc_u32_e32 v17, 1, v16
	v_add_nc_u32_e32 v19, 1, v15
	s_waitcnt lgkmcnt(0)
	v_bfe_i32 v20, v13, 0, 8
	s_delay_alu instid0(VALU_DEP_3) | instskip(SKIP_2) | instid1(VALU_DEP_3)
	v_cndmask_b32_e64 v18, v17, v16, s9
	v_bfe_i32 v16, v14, 0, 8
	v_cndmask_b32_e64 v17, v15, v19, s9
                                        ; implicit-def: $vgpr15
	v_cmp_ge_i32_e64 s10, v18, v1
	s_delay_alu instid0(VALU_DEP_3) | instskip(NEXT) | instid1(VALU_DEP_3)
	v_cmp_lt_i16_e64 s11, v16, v20
	v_cmp_lt_i32_e64 s12, v17, v6
	s_delay_alu instid0(VALU_DEP_2)
	s_or_b32 s10, s10, s11
	s_delay_alu instid0(VALU_DEP_1) | instid1(SALU_CYCLE_1)
	s_and_b32 s10, s12, s10
	s_delay_alu instid0(SALU_CYCLE_1) | instskip(NEXT) | instid1(SALU_CYCLE_1)
	s_xor_b32 s11, s10, -1
	s_and_saveexec_b32 s12, s11
	s_delay_alu instid0(SALU_CYCLE_1)
	s_xor_b32 s11, exec_lo, s12
	s_cbranch_execz .LBB70_100
; %bb.99:
	v_add_nc_u32_e32 v15, v5, v18
	ds_load_u8 v15, v15 offset:1
.LBB70_100:
	s_or_saveexec_b32 s11, s11
	v_mov_b32_e32 v16, v14
	s_xor_b32 exec_lo, exec_lo, s11
	s_cbranch_execz .LBB70_102
; %bb.101:
	s_waitcnt lgkmcnt(0)
	v_add_nc_u32_e32 v15, v5, v17
	ds_load_u8 v16, v15 offset:1
	v_mov_b32_e32 v15, v13
.LBB70_102:
	s_or_b32 exec_lo, exec_lo, s11
	v_add_nc_u32_e32 v19, 1, v18
	v_add_nc_u32_e32 v21, 1, v17
	s_waitcnt lgkmcnt(0)
	v_bfe_i32 v22, v15, 0, 8
	s_delay_alu instid0(VALU_DEP_3) | instskip(SKIP_2) | instid1(VALU_DEP_3)
	v_cndmask_b32_e64 v20, v19, v18, s10
	v_bfe_i32 v18, v16, 0, 8
	v_cndmask_b32_e64 v19, v17, v21, s10
                                        ; implicit-def: $vgpr17
	v_cmp_ge_i32_e64 s11, v20, v1
	s_delay_alu instid0(VALU_DEP_3) | instskip(NEXT) | instid1(VALU_DEP_3)
	v_cmp_lt_i16_e64 s12, v18, v22
	v_cmp_lt_i32_e64 s13, v19, v6
	s_delay_alu instid0(VALU_DEP_2)
	s_or_b32 s11, s11, s12
	s_delay_alu instid0(VALU_DEP_1) | instid1(SALU_CYCLE_1)
	s_and_b32 s11, s13, s11
	s_delay_alu instid0(SALU_CYCLE_1) | instskip(NEXT) | instid1(SALU_CYCLE_1)
	s_xor_b32 s12, s11, -1
	s_and_saveexec_b32 s13, s12
	s_delay_alu instid0(SALU_CYCLE_1)
	s_xor_b32 s12, exec_lo, s13
	s_cbranch_execz .LBB70_104
; %bb.103:
	v_add_nc_u32_e32 v17, v5, v20
	ds_load_u8 v17, v17 offset:1
.LBB70_104:
	s_or_saveexec_b32 s12, s12
	v_mov_b32_e32 v18, v16
	s_xor_b32 exec_lo, exec_lo, s12
	s_cbranch_execz .LBB70_106
; %bb.105:
	s_waitcnt lgkmcnt(0)
	v_add_nc_u32_e32 v17, v5, v19
	ds_load_u8 v18, v17 offset:1
	v_mov_b32_e32 v17, v15
.LBB70_106:
	s_or_b32 exec_lo, exec_lo, s12
	v_add_nc_u32_e32 v21, 1, v20
	v_add_nc_u32_e32 v22, 1, v19
	s_waitcnt lgkmcnt(0)
	v_bfe_i32 v23, v17, 0, 8
	s_delay_alu instid0(VALU_DEP_3) | instskip(SKIP_2) | instid1(VALU_DEP_3)
	v_cndmask_b32_e64 v21, v21, v20, s11
	v_bfe_i32 v20, v18, 0, 8
	v_cndmask_b32_e64 v19, v19, v22, s11
	v_cmp_ge_i32_e64 s12, v21, v1
	s_delay_alu instid0(VALU_DEP_3) | instskip(NEXT) | instid1(VALU_DEP_3)
	v_cmp_lt_i16_e64 s13, v20, v23
	v_cmp_lt_i32_e64 s14, v19, v6
                                        ; implicit-def: $vgpr20
	s_delay_alu instid0(VALU_DEP_2)
	s_or_b32 s12, s12, s13
	s_delay_alu instid0(VALU_DEP_1) | instid1(SALU_CYCLE_1)
	s_and_b32 s12, s14, s12
	s_delay_alu instid0(SALU_CYCLE_1) | instskip(NEXT) | instid1(SALU_CYCLE_1)
	s_xor_b32 s13, s12, -1
	s_and_saveexec_b32 s14, s13
	s_delay_alu instid0(SALU_CYCLE_1)
	s_xor_b32 s13, exec_lo, s14
	s_cbranch_execz .LBB70_108
; %bb.107:
	v_add_nc_u32_e32 v20, v5, v21
	ds_load_u8 v20, v20 offset:1
.LBB70_108:
	s_or_saveexec_b32 s13, s13
	v_mov_b32_e32 v22, v18
	s_xor_b32 exec_lo, exec_lo, s13
	s_cbranch_execz .LBB70_110
; %bb.109:
	s_waitcnt lgkmcnt(0)
	v_add_nc_u32_e32 v20, v5, v19
	ds_load_u8 v22, v20 offset:1
	v_mov_b32_e32 v20, v17
.LBB70_110:
	s_or_b32 exec_lo, exec_lo, s13
	v_add_nc_u32_e32 v23, 1, v21
	v_add_nc_u32_e32 v24, 1, v19
	s_waitcnt lgkmcnt(0)
	v_bfe_i32 v25, v20, 0, 8
	s_delay_alu instid0(VALU_DEP_3) | instskip(SKIP_2) | instid1(VALU_DEP_3)
	v_cndmask_b32_e64 v23, v23, v21, s12
	v_bfe_i32 v21, v22, 0, 8
	v_cndmask_b32_e64 v24, v19, v24, s12
                                        ; implicit-def: $vgpr19
	v_cmp_ge_i32_e64 s13, v23, v1
	s_delay_alu instid0(VALU_DEP_3) | instskip(NEXT) | instid1(VALU_DEP_3)
	v_cmp_lt_i16_e64 s14, v21, v25
	v_cmp_lt_i32_e64 s15, v24, v6
	s_delay_alu instid0(VALU_DEP_2)
	s_or_b32 s13, s13, s14
	s_delay_alu instid0(VALU_DEP_1) | instid1(SALU_CYCLE_1)
	s_and_b32 s13, s15, s13
	s_delay_alu instid0(SALU_CYCLE_1) | instskip(NEXT) | instid1(SALU_CYCLE_1)
	s_xor_b32 s14, s13, -1
	s_and_saveexec_b32 s15, s14
	s_delay_alu instid0(SALU_CYCLE_1)
	s_xor_b32 s14, exec_lo, s15
	s_cbranch_execz .LBB70_112
; %bb.111:
	v_add_nc_u32_e32 v19, v5, v23
	ds_load_u8 v19, v19 offset:1
.LBB70_112:
	s_or_saveexec_b32 s14, s14
	v_mov_b32_e32 v21, v22
	s_xor_b32 exec_lo, exec_lo, s14
	s_cbranch_execz .LBB70_114
; %bb.113:
	s_waitcnt lgkmcnt(0)
	v_add_nc_u32_e32 v19, v5, v24
	ds_load_u8 v21, v19 offset:1
	v_mov_b32_e32 v19, v20
.LBB70_114:
	s_or_b32 exec_lo, exec_lo, s14
	v_add_nc_u32_e32 v26, 1, v23
	v_add_nc_u32_e32 v25, 1, v24
	v_cndmask_b32_e64 v12, v11, v12, s9
	v_min_i32_e32 v11, 0, v4
	v_cndmask_b32_e64 v20, v20, v22, s13
	v_cndmask_b32_e64 v22, v26, v23, s13
	;; [unrolled: 1-line block ×3, first 2 shown]
	s_waitcnt lgkmcnt(0)
	v_bfe_i32 v16, v19, 0, 8
	v_bfe_i32 v23, v21, 0, 8
	v_cndmask_b32_e64 v17, v17, v18, s12
	v_cndmask_b32_e64 v18, v24, v25, s13
	;; [unrolled: 1-line block ×3, first 2 shown]
	v_add_nc_u32_e32 v8, 64, v11
	v_cndmask_b32_e64 v13, v13, v14, s10
	v_cmp_ge_i32_e64 s9, v22, v1
	v_cmp_lt_i16_e64 s10, v23, v16
	v_cmp_lt_i32_e64 s7, v18, v6
	v_cndmask_b32_e64 v1, v9, v10, s8
	v_min_i32_e32 v6, v4, v8
	v_and_b32_e32 v7, 0xff, v7
	s_or_b32 s8, s9, s10
	v_lshlrev_b16 v9, 8, v13
	s_and_b32 s7, s7, s8
	v_lshlrev_b16 v1, 8, v1
	v_cndmask_b32_e64 v8, v19, v21, s7
	v_and_b32_e32 v10, 0xff, v12
	v_add_nc_u32_e32 v12, 64, v6
	v_and_b32_e32 v14, 0xff, v15
	v_or_b32_e32 v13, v7, v1
	v_lshlrev_b16 v1, 8, v17
	v_or_b32_e32 v9, v10, v9
	v_min_i32_e32 v7, v4, v12
	v_and_b32_e32 v10, 0xff, v20
	v_lshlrev_b16 v8, 8, v8
	v_or_b32_e32 v12, v14, v1
	v_min_i32_e32 v1, v4, v2
	v_sub_nc_u32_e32 v4, v7, v6
	v_and_b32_e32 v13, 0xffff, v13
	v_or_b32_e32 v8, v10, v8
	v_lshlrev_b32_e32 v9, 16, v9
	v_and_b32_e32 v10, 0xffff, v12
	v_sub_nc_u32_e32 v12, v1, v4
	v_sub_nc_u32_e32 v14, v6, v11
	v_lshlrev_b32_e32 v15, 16, v8
	v_cmp_ge_i32_e64 s7, v1, v4
	v_or_b32_e32 v9, v13, v9
	s_mov_b32 s9, 0
	v_min_i32_e32 v8, v1, v14
	v_or_b32_e32 v10, v10, v15
	v_cndmask_b32_e64 v4, 0, v12, s7
	s_mov_b32 s8, exec_lo
	; wave barrier
	ds_store_b64 v0, v[9:10]
	; wave barrier
	v_cmpx_lt_i32_e64 v4, v8
	s_cbranch_execz .LBB70_118
; %bb.115:
	v_add_nc_u32_e32 v0, v5, v11
	v_add3_u32 v9, v5, v6, v1
	.p2align	6
.LBB70_116:                             ; =>This Inner Loop Header: Depth=1
	v_sub_nc_u32_e32 v10, v8, v4
	s_delay_alu instid0(VALU_DEP_1) | instskip(NEXT) | instid1(VALU_DEP_1)
	v_lshrrev_b32_e32 v12, 31, v10
	v_add_nc_u32_e32 v10, v10, v12
	s_delay_alu instid0(VALU_DEP_1) | instskip(NEXT) | instid1(VALU_DEP_1)
	v_ashrrev_i32_e32 v10, 1, v10
	v_add_nc_u32_e32 v10, v10, v4
	s_delay_alu instid0(VALU_DEP_1)
	v_add_nc_u32_e32 v12, v0, v10
	v_xad_u32 v13, v10, -1, v9
	v_add_nc_u32_e32 v14, 1, v10
	ds_load_i8 v12, v12
	ds_load_i8 v13, v13
	s_waitcnt lgkmcnt(0)
	v_cmp_lt_i16_e64 s7, v13, v12
	s_delay_alu instid0(VALU_DEP_1) | instskip(SKIP_1) | instid1(VALU_DEP_1)
	v_cndmask_b32_e64 v8, v8, v10, s7
	v_cndmask_b32_e64 v4, v14, v4, s7
	v_cmp_ge_i32_e64 s7, v4, v8
	s_delay_alu instid0(VALU_DEP_1) | instskip(NEXT) | instid1(SALU_CYCLE_1)
	s_or_b32 s9, s7, s9
	s_and_not1_b32 exec_lo, exec_lo, s9
	s_cbranch_execnz .LBB70_116
; %bb.117:
	s_or_b32 exec_lo, exec_lo, s9
.LBB70_118:
	s_delay_alu instid0(SALU_CYCLE_1) | instskip(SKIP_2) | instid1(VALU_DEP_2)
	s_or_b32 exec_lo, exec_lo, s8
	v_add_nc_u32_e32 v0, v6, v1
	v_add_nc_u32_e32 v1, v4, v11
                                        ; implicit-def: $vgpr9
	v_sub_nc_u32_e32 v0, v0, v4
	s_delay_alu instid0(VALU_DEP_2) | instskip(SKIP_1) | instid1(VALU_DEP_3)
	v_add_nc_u32_e32 v10, v5, v1
	v_cmp_le_i32_e64 s7, v6, v1
	v_add_nc_u32_e32 v11, v5, v0
	v_cmp_gt_i32_e64 s9, v7, v0
	ds_load_u8 v4, v10
	ds_load_u8 v8, v11
	s_waitcnt lgkmcnt(1)
	v_bfe_i32 v4, v4, 0, 8
	s_waitcnt lgkmcnt(0)
	v_bfe_i32 v8, v8, 0, 8
	s_delay_alu instid0(VALU_DEP_1) | instskip(NEXT) | instid1(VALU_DEP_1)
	v_cmp_lt_i16_e64 s8, v8, v4
	s_or_b32 s7, s7, s8
	s_delay_alu instid0(SALU_CYCLE_1) | instskip(NEXT) | instid1(SALU_CYCLE_1)
	s_and_b32 s7, s9, s7
	s_xor_b32 s8, s7, -1
	s_delay_alu instid0(SALU_CYCLE_1) | instskip(NEXT) | instid1(SALU_CYCLE_1)
	s_and_saveexec_b32 s9, s8
	s_xor_b32 s8, exec_lo, s9
	s_cbranch_execz .LBB70_120
; %bb.119:
	ds_load_u8 v9, v10 offset:1
                                        ; implicit-def: $vgpr11
.LBB70_120:
	s_or_saveexec_b32 s8, s8
	v_mov_b32_e32 v10, v8
	s_xor_b32 exec_lo, exec_lo, s8
	s_cbranch_execz .LBB70_122
; %bb.121:
	ds_load_u8 v10, v11 offset:1
	s_waitcnt lgkmcnt(1)
	v_mov_b32_e32 v9, v4
.LBB70_122:
	s_or_b32 exec_lo, exec_lo, s8
	v_add_nc_u32_e32 v11, 1, v1
	v_add_nc_u32_e32 v12, 1, v0
	s_waitcnt lgkmcnt(0)
	v_bfe_i32 v13, v9, 0, 8
	s_delay_alu instid0(VALU_DEP_3) | instskip(SKIP_2) | instid1(VALU_DEP_3)
	v_cndmask_b32_e64 v1, v11, v1, s7
	v_bfe_i32 v11, v10, 0, 8
	v_cndmask_b32_e64 v0, v0, v12, s7
	v_cmp_ge_i32_e64 s8, v1, v6
	s_delay_alu instid0(VALU_DEP_3) | instskip(NEXT) | instid1(VALU_DEP_3)
	v_cmp_lt_i16_e64 s9, v11, v13
	v_cmp_lt_i32_e64 s10, v0, v7
                                        ; implicit-def: $vgpr11
	s_delay_alu instid0(VALU_DEP_2)
	s_or_b32 s8, s8, s9
	s_delay_alu instid0(VALU_DEP_1) | instid1(SALU_CYCLE_1)
	s_and_b32 s8, s10, s8
	s_delay_alu instid0(SALU_CYCLE_1) | instskip(NEXT) | instid1(SALU_CYCLE_1)
	s_xor_b32 s9, s8, -1
	s_and_saveexec_b32 s10, s9
	s_delay_alu instid0(SALU_CYCLE_1)
	s_xor_b32 s9, exec_lo, s10
	s_cbranch_execz .LBB70_124
; %bb.123:
	v_add_nc_u32_e32 v11, v5, v1
	ds_load_u8 v11, v11 offset:1
.LBB70_124:
	s_or_saveexec_b32 s9, s9
	v_mov_b32_e32 v12, v10
	s_xor_b32 exec_lo, exec_lo, s9
	s_cbranch_execz .LBB70_126
; %bb.125:
	s_waitcnt lgkmcnt(0)
	v_add_nc_u32_e32 v11, v5, v0
	ds_load_u8 v12, v11 offset:1
	v_mov_b32_e32 v11, v9
.LBB70_126:
	s_or_b32 exec_lo, exec_lo, s9
	v_add_nc_u32_e32 v13, 1, v1
	v_add_nc_u32_e32 v14, 1, v0
	s_waitcnt lgkmcnt(0)
	v_bfe_i32 v15, v11, 0, 8
	s_delay_alu instid0(VALU_DEP_3) | instskip(SKIP_2) | instid1(VALU_DEP_3)
	v_cndmask_b32_e64 v1, v13, v1, s8
	v_bfe_i32 v13, v12, 0, 8
	v_cndmask_b32_e64 v0, v0, v14, s8
	v_cmp_ge_i32_e64 s9, v1, v6
	s_delay_alu instid0(VALU_DEP_3) | instskip(NEXT) | instid1(VALU_DEP_3)
	v_cmp_lt_i16_e64 s10, v13, v15
	v_cmp_lt_i32_e64 s11, v0, v7
                                        ; implicit-def: $vgpr13
	s_delay_alu instid0(VALU_DEP_2)
	s_or_b32 s9, s9, s10
	s_delay_alu instid0(VALU_DEP_1) | instid1(SALU_CYCLE_1)
	s_and_b32 s9, s11, s9
	s_delay_alu instid0(SALU_CYCLE_1) | instskip(NEXT) | instid1(SALU_CYCLE_1)
	s_xor_b32 s10, s9, -1
	s_and_saveexec_b32 s11, s10
	s_delay_alu instid0(SALU_CYCLE_1)
	s_xor_b32 s10, exec_lo, s11
	s_cbranch_execz .LBB70_128
; %bb.127:
	v_add_nc_u32_e32 v13, v5, v1
	ds_load_u8 v13, v13 offset:1
.LBB70_128:
	s_or_saveexec_b32 s10, s10
	v_mov_b32_e32 v14, v12
	s_xor_b32 exec_lo, exec_lo, s10
	s_cbranch_execz .LBB70_130
; %bb.129:
	s_waitcnt lgkmcnt(0)
	v_add_nc_u32_e32 v13, v5, v0
	ds_load_u8 v14, v13 offset:1
	v_mov_b32_e32 v13, v11
.LBB70_130:
	s_or_b32 exec_lo, exec_lo, s10
	v_add_nc_u32_e32 v15, 1, v1
	v_add_nc_u32_e32 v16, 1, v0
	s_waitcnt lgkmcnt(0)
	v_bfe_i32 v17, v13, 0, 8
	s_delay_alu instid0(VALU_DEP_3) | instskip(SKIP_2) | instid1(VALU_DEP_3)
	v_cndmask_b32_e64 v1, v15, v1, s9
	v_bfe_i32 v15, v14, 0, 8
	v_cndmask_b32_e64 v0, v0, v16, s9
	v_cmp_ge_i32_e64 s10, v1, v6
	s_delay_alu instid0(VALU_DEP_3) | instskip(NEXT) | instid1(VALU_DEP_3)
	v_cmp_lt_i16_e64 s11, v15, v17
	v_cmp_lt_i32_e64 s12, v0, v7
                                        ; implicit-def: $vgpr15
	s_delay_alu instid0(VALU_DEP_2)
	s_or_b32 s10, s10, s11
	s_delay_alu instid0(VALU_DEP_1) | instid1(SALU_CYCLE_1)
	s_and_b32 s10, s12, s10
	s_delay_alu instid0(SALU_CYCLE_1) | instskip(NEXT) | instid1(SALU_CYCLE_1)
	s_xor_b32 s11, s10, -1
	s_and_saveexec_b32 s12, s11
	s_delay_alu instid0(SALU_CYCLE_1)
	s_xor_b32 s11, exec_lo, s12
	s_cbranch_execz .LBB70_132
; %bb.131:
	v_add_nc_u32_e32 v15, v5, v1
	ds_load_u8 v15, v15 offset:1
.LBB70_132:
	s_or_saveexec_b32 s11, s11
	v_mov_b32_e32 v16, v14
	s_xor_b32 exec_lo, exec_lo, s11
	s_cbranch_execz .LBB70_134
; %bb.133:
	s_waitcnt lgkmcnt(0)
	v_add_nc_u32_e32 v15, v5, v0
	ds_load_u8 v16, v15 offset:1
	v_mov_b32_e32 v15, v13
.LBB70_134:
	s_or_b32 exec_lo, exec_lo, s11
	v_add_nc_u32_e32 v17, 1, v1
	v_add_nc_u32_e32 v18, 1, v0
	s_waitcnt lgkmcnt(0)
	v_bfe_i32 v19, v15, 0, 8
	s_delay_alu instid0(VALU_DEP_3) | instskip(SKIP_2) | instid1(VALU_DEP_3)
	v_cndmask_b32_e64 v1, v17, v1, s10
	v_bfe_i32 v17, v16, 0, 8
	v_cndmask_b32_e64 v0, v0, v18, s10
	v_cmp_ge_i32_e64 s11, v1, v6
	s_delay_alu instid0(VALU_DEP_3) | instskip(NEXT) | instid1(VALU_DEP_3)
	v_cmp_lt_i16_e64 s12, v17, v19
	v_cmp_lt_i32_e64 s13, v0, v7
                                        ; implicit-def: $vgpr17
	s_delay_alu instid0(VALU_DEP_2)
	s_or_b32 s11, s11, s12
	s_delay_alu instid0(VALU_DEP_1) | instid1(SALU_CYCLE_1)
	s_and_b32 s11, s13, s11
	s_delay_alu instid0(SALU_CYCLE_1) | instskip(NEXT) | instid1(SALU_CYCLE_1)
	s_xor_b32 s12, s11, -1
	s_and_saveexec_b32 s13, s12
	s_delay_alu instid0(SALU_CYCLE_1)
	s_xor_b32 s12, exec_lo, s13
	s_cbranch_execz .LBB70_136
; %bb.135:
	v_add_nc_u32_e32 v17, v5, v1
	ds_load_u8 v17, v17 offset:1
.LBB70_136:
	s_or_saveexec_b32 s12, s12
	v_mov_b32_e32 v18, v16
	s_xor_b32 exec_lo, exec_lo, s12
	s_cbranch_execz .LBB70_138
; %bb.137:
	s_waitcnt lgkmcnt(0)
	v_add_nc_u32_e32 v17, v5, v0
	ds_load_u8 v18, v17 offset:1
	v_mov_b32_e32 v17, v15
.LBB70_138:
	s_or_b32 exec_lo, exec_lo, s12
	v_add_nc_u32_e32 v19, 1, v1
	v_add_nc_u32_e32 v20, 1, v0
	s_waitcnt lgkmcnt(0)
	v_bfe_i32 v21, v17, 0, 8
	s_delay_alu instid0(VALU_DEP_3) | instskip(SKIP_2) | instid1(VALU_DEP_3)
	v_cndmask_b32_e64 v1, v19, v1, s11
	v_bfe_i32 v19, v18, 0, 8
	v_cndmask_b32_e64 v0, v0, v20, s11
	v_cmp_ge_i32_e64 s12, v1, v6
	s_delay_alu instid0(VALU_DEP_3) | instskip(NEXT) | instid1(VALU_DEP_3)
	v_cmp_lt_i16_e64 s13, v19, v21
	v_cmp_lt_i32_e64 s14, v0, v7
                                        ; implicit-def: $vgpr19
	s_delay_alu instid0(VALU_DEP_2)
	s_or_b32 s12, s12, s13
	s_delay_alu instid0(VALU_DEP_1) | instid1(SALU_CYCLE_1)
	s_and_b32 s12, s14, s12
	s_delay_alu instid0(SALU_CYCLE_1) | instskip(NEXT) | instid1(SALU_CYCLE_1)
	s_xor_b32 s13, s12, -1
	s_and_saveexec_b32 s14, s13
	s_delay_alu instid0(SALU_CYCLE_1)
	s_xor_b32 s13, exec_lo, s14
	s_cbranch_execz .LBB70_140
; %bb.139:
	v_add_nc_u32_e32 v19, v5, v1
	ds_load_u8 v19, v19 offset:1
.LBB70_140:
	s_or_saveexec_b32 s13, s13
	v_mov_b32_e32 v20, v18
	s_xor_b32 exec_lo, exec_lo, s13
	s_cbranch_execz .LBB70_142
; %bb.141:
	s_waitcnt lgkmcnt(0)
	v_add_nc_u32_e32 v19, v5, v0
	ds_load_u8 v20, v19 offset:1
	v_mov_b32_e32 v19, v17
.LBB70_142:
	s_or_b32 exec_lo, exec_lo, s13
	v_add_nc_u32_e32 v21, 1, v1
	v_add_nc_u32_e32 v22, 1, v0
	s_waitcnt lgkmcnt(0)
	v_bfe_i32 v23, v19, 0, 8
	v_bfe_i32 v24, v20, 0, 8
	v_cndmask_b32_e64 v1, v21, v1, s12
	v_cndmask_b32_e64 v21, v0, v22, s12
                                        ; implicit-def: $vgpr22
	s_delay_alu instid0(VALU_DEP_3) | instskip(NEXT) | instid1(VALU_DEP_3)
	v_cmp_lt_i16_e64 s14, v24, v23
                                        ; implicit-def: $vgpr23
	v_cmp_ge_i32_e64 s13, v1, v6
	s_delay_alu instid0(VALU_DEP_3) | instskip(NEXT) | instid1(VALU_DEP_2)
	v_cmp_lt_i32_e64 s15, v21, v7
	s_or_b32 s13, s13, s14
	s_delay_alu instid0(VALU_DEP_1) | instid1(SALU_CYCLE_1)
	s_and_b32 s13, s15, s13
	s_delay_alu instid0(SALU_CYCLE_1) | instskip(NEXT) | instid1(SALU_CYCLE_1)
	s_xor_b32 s14, s13, -1
	s_and_saveexec_b32 s15, s14
	s_delay_alu instid0(SALU_CYCLE_1)
	s_xor_b32 s14, exec_lo, s15
	s_cbranch_execz .LBB70_144
; %bb.143:
	v_add_nc_u32_e32 v0, v5, v1
	v_add_nc_u32_e32 v23, 1, v1
                                        ; implicit-def: $vgpr1
                                        ; implicit-def: $vgpr5
	ds_load_u8 v22, v0 offset:1
.LBB70_144:
	s_or_saveexec_b32 s14, s14
	v_mov_b32_e32 v24, v20
	s_xor_b32 exec_lo, exec_lo, s14
	s_cbranch_execz .LBB70_146
; %bb.145:
	v_add_nc_u32_e32 v0, v5, v21
	s_waitcnt lgkmcnt(0)
	v_dual_mov_b32 v22, v19 :: v_dual_add_nc_u32 v21, 1, v21
	v_mov_b32_e32 v23, v1
	ds_load_u8 v24, v0 offset:1
.LBB70_146:
	s_or_b32 exec_lo, exec_lo, s14
	v_add_co_u32 v0, s14, s18, v3
	s_delay_alu instid0(VALU_DEP_1) | instskip(NEXT) | instid1(VALU_DEP_2)
	v_add_co_ci_u32_e64 v1, null, s19, 0, s14
	v_add_co_u32 v0, s14, v0, v2
	s_delay_alu instid0(VALU_DEP_1)
	v_add_co_ci_u32_e64 v1, s14, 0, v1, s14
	s_and_saveexec_b32 s14, vcc_lo
	s_cbranch_execnz .LBB70_155
; %bb.147:
	s_or_b32 exec_lo, exec_lo, s14
	s_and_saveexec_b32 s7, s0
	s_cbranch_execnz .LBB70_156
.LBB70_148:
	s_or_b32 exec_lo, exec_lo, s7
	s_and_saveexec_b32 s0, s1
	s_cbranch_execnz .LBB70_157
.LBB70_149:
	s_or_b32 exec_lo, exec_lo, s0
	s_and_saveexec_b32 s0, s2
	s_cbranch_execnz .LBB70_158
.LBB70_150:
	s_or_b32 exec_lo, exec_lo, s0
	s_and_saveexec_b32 s0, s3
	s_cbranch_execnz .LBB70_159
.LBB70_151:
	s_or_b32 exec_lo, exec_lo, s0
	s_and_saveexec_b32 s0, s4
	s_cbranch_execnz .LBB70_160
.LBB70_152:
	s_or_b32 exec_lo, exec_lo, s0
	s_and_saveexec_b32 s0, s5
	s_cbranch_execnz .LBB70_161
.LBB70_153:
	s_or_b32 exec_lo, exec_lo, s0
	s_and_saveexec_b32 s0, s6
	s_cbranch_execnz .LBB70_162
.LBB70_154:
	s_nop 0
	s_sendmsg sendmsg(MSG_DEALLOC_VGPRS)
	s_endpgm
.LBB70_155:
	v_cndmask_b32_e64 v2, v4, v8, s7
	global_store_b8 v[0:1], v2, off
	s_or_b32 exec_lo, exec_lo, s14
	s_and_saveexec_b32 s7, s0
	s_cbranch_execz .LBB70_148
.LBB70_156:
	v_cndmask_b32_e64 v2, v9, v10, s8
	global_store_b8 v[0:1], v2, off offset:1
	s_or_b32 exec_lo, exec_lo, s7
	s_and_saveexec_b32 s0, s1
	s_cbranch_execz .LBB70_149
.LBB70_157:
	v_cndmask_b32_e64 v2, v11, v12, s9
	global_store_b8 v[0:1], v2, off offset:2
	s_or_b32 exec_lo, exec_lo, s0
	s_and_saveexec_b32 s0, s2
	s_cbranch_execz .LBB70_150
.LBB70_158:
	v_cndmask_b32_e64 v2, v13, v14, s10
	global_store_b8 v[0:1], v2, off offset:3
	s_or_b32 exec_lo, exec_lo, s0
	s_and_saveexec_b32 s0, s3
	s_cbranch_execz .LBB70_151
.LBB70_159:
	v_cndmask_b32_e64 v2, v15, v16, s11
	global_store_b8 v[0:1], v2, off offset:4
	s_or_b32 exec_lo, exec_lo, s0
	s_and_saveexec_b32 s0, s4
	s_cbranch_execz .LBB70_152
.LBB70_160:
	v_cndmask_b32_e64 v2, v17, v18, s12
	global_store_b8 v[0:1], v2, off offset:5
	s_or_b32 exec_lo, exec_lo, s0
	s_and_saveexec_b32 s0, s5
	s_cbranch_execz .LBB70_153
.LBB70_161:
	v_cndmask_b32_e64 v2, v19, v20, s13
	global_store_b8 v[0:1], v2, off offset:6
	s_or_b32 exec_lo, exec_lo, s0
	s_and_saveexec_b32 s0, s6
	s_cbranch_execz .LBB70_154
.LBB70_162:
	s_waitcnt lgkmcnt(0)
	v_bfe_i32 v2, v22, 0, 8
	v_bfe_i32 v3, v24, 0, 8
	v_cmp_ge_i32_e32 vcc_lo, v23, v6
	v_cmp_lt_i32_e64 s1, v21, v7
	s_delay_alu instid0(VALU_DEP_3) | instskip(NEXT) | instid1(VALU_DEP_1)
	v_cmp_lt_i16_e64 s0, v3, v2
	s_or_b32 s0, vcc_lo, s0
	s_delay_alu instid0(VALU_DEP_2) | instid1(SALU_CYCLE_1)
	s_and_b32 vcc_lo, s1, s0
	v_cndmask_b32_e32 v2, v22, v24, vcc_lo
	global_store_b8 v[0:1], v2, off offset:7
	s_nop 0
	s_sendmsg sendmsg(MSG_DEALLOC_VGPRS)
	s_endpgm
	.section	.rodata,"a",@progbits
	.p2align	6, 0x0
	.amdhsa_kernel _Z19sort_keys_segmentedILj256ELj16ELj8EaN10test_utils4lessEEvPKT2_PS2_PKjT3_
		.amdhsa_group_segment_fixed_size 2064
		.amdhsa_private_segment_fixed_size 0
		.amdhsa_kernarg_size 28
		.amdhsa_user_sgpr_count 15
		.amdhsa_user_sgpr_dispatch_ptr 0
		.amdhsa_user_sgpr_queue_ptr 0
		.amdhsa_user_sgpr_kernarg_segment_ptr 1
		.amdhsa_user_sgpr_dispatch_id 0
		.amdhsa_user_sgpr_private_segment_size 0
		.amdhsa_wavefront_size32 1
		.amdhsa_uses_dynamic_stack 0
		.amdhsa_enable_private_segment 0
		.amdhsa_system_sgpr_workgroup_id_x 1
		.amdhsa_system_sgpr_workgroup_id_y 0
		.amdhsa_system_sgpr_workgroup_id_z 0
		.amdhsa_system_sgpr_workgroup_info 0
		.amdhsa_system_vgpr_workitem_id 0
		.amdhsa_next_free_vgpr 33
		.amdhsa_next_free_sgpr 20
		.amdhsa_reserve_vcc 1
		.amdhsa_float_round_mode_32 0
		.amdhsa_float_round_mode_16_64 0
		.amdhsa_float_denorm_mode_32 3
		.amdhsa_float_denorm_mode_16_64 3
		.amdhsa_dx10_clamp 1
		.amdhsa_ieee_mode 1
		.amdhsa_fp16_overflow 0
		.amdhsa_workgroup_processor_mode 1
		.amdhsa_memory_ordered 1
		.amdhsa_forward_progress 0
		.amdhsa_shared_vgpr_count 0
		.amdhsa_exception_fp_ieee_invalid_op 0
		.amdhsa_exception_fp_denorm_src 0
		.amdhsa_exception_fp_ieee_div_zero 0
		.amdhsa_exception_fp_ieee_overflow 0
		.amdhsa_exception_fp_ieee_underflow 0
		.amdhsa_exception_fp_ieee_inexact 0
		.amdhsa_exception_int_div_zero 0
	.end_amdhsa_kernel
	.section	.text._Z19sort_keys_segmentedILj256ELj16ELj8EaN10test_utils4lessEEvPKT2_PS2_PKjT3_,"axG",@progbits,_Z19sort_keys_segmentedILj256ELj16ELj8EaN10test_utils4lessEEvPKT2_PS2_PKjT3_,comdat
.Lfunc_end70:
	.size	_Z19sort_keys_segmentedILj256ELj16ELj8EaN10test_utils4lessEEvPKT2_PS2_PKjT3_, .Lfunc_end70-_Z19sort_keys_segmentedILj256ELj16ELj8EaN10test_utils4lessEEvPKT2_PS2_PKjT3_
                                        ; -- End function
	.section	.AMDGPU.csdata,"",@progbits
; Kernel info:
; codeLenInByte = 10228
; NumSgprs: 22
; NumVgprs: 33
; ScratchSize: 0
; MemoryBound: 0
; FloatMode: 240
; IeeeMode: 1
; LDSByteSize: 2064 bytes/workgroup (compile time only)
; SGPRBlocks: 2
; VGPRBlocks: 4
; NumSGPRsForWavesPerEU: 22
; NumVGPRsForWavesPerEU: 33
; Occupancy: 16
; WaveLimiterHint : 0
; COMPUTE_PGM_RSRC2:SCRATCH_EN: 0
; COMPUTE_PGM_RSRC2:USER_SGPR: 15
; COMPUTE_PGM_RSRC2:TRAP_HANDLER: 0
; COMPUTE_PGM_RSRC2:TGID_X_EN: 1
; COMPUTE_PGM_RSRC2:TGID_Y_EN: 0
; COMPUTE_PGM_RSRC2:TGID_Z_EN: 0
; COMPUTE_PGM_RSRC2:TIDIG_COMP_CNT: 0
	.section	.text._Z20sort_pairs_segmentedILj256ELj16ELj8EaN10test_utils4lessEEvPKT2_PS2_PKjT3_,"axG",@progbits,_Z20sort_pairs_segmentedILj256ELj16ELj8EaN10test_utils4lessEEvPKT2_PS2_PKjT3_,comdat
	.protected	_Z20sort_pairs_segmentedILj256ELj16ELj8EaN10test_utils4lessEEvPKT2_PS2_PKjT3_ ; -- Begin function _Z20sort_pairs_segmentedILj256ELj16ELj8EaN10test_utils4lessEEvPKT2_PS2_PKjT3_
	.globl	_Z20sort_pairs_segmentedILj256ELj16ELj8EaN10test_utils4lessEEvPKT2_PS2_PKjT3_
	.p2align	8
	.type	_Z20sort_pairs_segmentedILj256ELj16ELj8EaN10test_utils4lessEEvPKT2_PS2_PKjT3_,@function
_Z20sort_pairs_segmentedILj256ELj16ELj8EaN10test_utils4lessEEvPKT2_PS2_PKjT3_: ; @_Z20sort_pairs_segmentedILj256ELj16ELj8EaN10test_utils4lessEEvPKT2_PS2_PKjT3_
; %bb.0:
	s_clause 0x1
	s_load_b64 s[2:3], s[0:1], 0x10
	s_load_b128 s[16:19], s[0:1], 0x0
	v_lshrrev_b32_e32 v7, 4, v0
	v_mov_b32_e32 v1, 0
	s_delay_alu instid0(VALU_DEP_2) | instskip(NEXT) | instid1(VALU_DEP_1)
	v_lshl_or_b32 v0, s15, 4, v7
	v_lshlrev_b64 v[1:2], 2, v[0:1]
	v_lshlrev_b32_e32 v5, 7, v0
	s_waitcnt lgkmcnt(0)
	s_delay_alu instid0(VALU_DEP_2) | instskip(NEXT) | instid1(VALU_DEP_3)
	v_add_co_u32 v1, vcc_lo, s2, v1
	v_add_co_ci_u32_e32 v2, vcc_lo, s3, v2, vcc_lo
	s_delay_alu instid0(VALU_DEP_3) | instskip(SKIP_2) | instid1(VALU_DEP_1)
	v_add_co_u32 v0, s0, s16, v5
	global_load_b32 v6, v[1:2], off
	v_mbcnt_lo_u32_b32 v1, -1, 0
                                        ; implicit-def: $vgpr2
	v_lshlrev_b32_e32 v8, 3, v1
	v_add_co_ci_u32_e64 v1, null, s17, 0, s0
	s_delay_alu instid0(VALU_DEP_2) | instskip(NEXT) | instid1(VALU_DEP_1)
	v_and_b32_e32 v4, 0x78, v8
	v_add_co_u32 v0, vcc_lo, v0, v4
	s_delay_alu instid0(VALU_DEP_3)
	v_add_co_ci_u32_e32 v1, vcc_lo, 0, v1, vcc_lo
	s_waitcnt vmcnt(0)
	v_cmp_lt_u32_e32 vcc_lo, v4, v6
	s_and_saveexec_b32 s0, vcc_lo
	s_cbranch_execz .LBB71_2
; %bb.1:
	global_load_u8 v2, v[0:1], off
.LBB71_2:
	s_or_b32 exec_lo, exec_lo, s0
	v_or_b32_e32 v11, 1, v4
                                        ; implicit-def: $vgpr16
	s_delay_alu instid0(VALU_DEP_1) | instskip(NEXT) | instid1(VALU_DEP_1)
	v_cmp_lt_u32_e64 s0, v11, v6
	s_and_saveexec_b32 s1, s0
	s_cbranch_execz .LBB71_4
; %bb.3:
	global_load_u8 v16, v[0:1], off offset:1
.LBB71_4:
	s_or_b32 exec_lo, exec_lo, s1
	v_or_b32_e32 v9, 2, v4
                                        ; implicit-def: $vgpr3
	s_delay_alu instid0(VALU_DEP_1) | instskip(NEXT) | instid1(VALU_DEP_1)
	v_cmp_lt_u32_e64 s1, v9, v6
	s_and_saveexec_b32 s2, s1
	s_cbranch_execz .LBB71_6
; %bb.5:
	global_load_u8 v3, v[0:1], off offset:2
.LBB71_6:
	s_or_b32 exec_lo, exec_lo, s2
	v_or_b32_e32 v10, 3, v4
                                        ; implicit-def: $vgpr19
	s_delay_alu instid0(VALU_DEP_1) | instskip(NEXT) | instid1(VALU_DEP_1)
	v_cmp_lt_u32_e64 s2, v10, v6
	s_and_saveexec_b32 s3, s2
	s_cbranch_execz .LBB71_8
; %bb.7:
	global_load_u8 v19, v[0:1], off offset:3
.LBB71_8:
	s_or_b32 exec_lo, exec_lo, s3
	v_or_b32_e32 v12, 4, v4
                                        ; implicit-def: $vgpr13
	s_delay_alu instid0(VALU_DEP_1) | instskip(NEXT) | instid1(VALU_DEP_1)
	v_cmp_lt_u32_e64 s3, v12, v6
	s_and_saveexec_b32 s4, s3
	s_cbranch_execz .LBB71_10
; %bb.9:
	global_load_u8 v13, v[0:1], off offset:4
.LBB71_10:
	s_or_b32 exec_lo, exec_lo, s4
	v_or_b32_e32 v14, 5, v4
                                        ; implicit-def: $vgpr20
	s_delay_alu instid0(VALU_DEP_1) | instskip(NEXT) | instid1(VALU_DEP_1)
	v_cmp_lt_u32_e64 s4, v14, v6
	s_and_saveexec_b32 s5, s4
	s_cbranch_execz .LBB71_12
; %bb.11:
	global_load_u8 v20, v[0:1], off offset:5
.LBB71_12:
	s_or_b32 exec_lo, exec_lo, s5
	v_or_b32_e32 v15, 6, v4
                                        ; implicit-def: $vgpr18
	s_delay_alu instid0(VALU_DEP_1) | instskip(NEXT) | instid1(VALU_DEP_1)
	v_cmp_lt_u32_e64 s5, v15, v6
	s_and_saveexec_b32 s6, s5
	s_cbranch_execz .LBB71_14
; %bb.13:
	global_load_u8 v18, v[0:1], off offset:6
.LBB71_14:
	s_or_b32 exec_lo, exec_lo, s6
	v_or_b32_e32 v17, 7, v4
                                        ; implicit-def: $vgpr21
	s_delay_alu instid0(VALU_DEP_1) | instskip(NEXT) | instid1(VALU_DEP_1)
	v_cmp_lt_u32_e64 s6, v17, v6
	s_and_saveexec_b32 s7, s6
	s_cbranch_execz .LBB71_16
; %bb.15:
	global_load_u8 v21, v[0:1], off offset:7
.LBB71_16:
	s_or_b32 exec_lo, exec_lo, s7
	s_waitcnt vmcnt(0)
	v_and_b32_e32 v0, 0xff, v2
	v_lshlrev_b16 v1, 8, v16
	v_and_b32_e32 v16, 0xff, v3
	v_lshlrev_b16 v19, 8, v19
	v_cmp_lt_i32_e64 s7, v11, v6
	v_lshlrev_b16 v20, 8, v20
	v_or_b32_e32 v22, v0, v1
	v_or_b32_e32 v0, 0x7f00, v0
	;; [unrolled: 1-line block ×3, first 2 shown]
	v_and_b32_e32 v23, 0xff, v18
	v_lshlrev_b16 v21, 8, v21
	v_and_b32_e32 v22, 0xffff, v22
	v_and_b32_e32 v0, 0xffff, v0
	v_lshlrev_b32_e32 v16, 16, v16
	v_cmp_lt_i32_e64 s8, v10, v6
	v_or_b32_e32 v23, v23, v21
	v_add_nc_u16 v2, v2, 1
	v_add_nc_u16 v3, v3, 1
	v_or_b32_e32 v22, v22, v16
	v_or_b32_e32 v0, v0, v16
	v_and_b32_e32 v16, 0xff, v13
	v_add_nc_u16 v13, v13, 1
	v_and_b32_e32 v2, 0xff, v2
	v_and_b32_e32 v3, 0xff, v3
	v_cndmask_b32_e64 v0, v0, v22, s7
	v_or_b32_e32 v16, v16, v20
	v_cmp_lt_i32_e64 s7, v9, v6
	v_perm_b32 v13, v13, 0, 0x3020104
	v_or_b32_e32 v1, v1, v2
	v_lshrrev_b32_e32 v11, 16, v0
	v_and_b32_e32 v24, 0xffffff00, v16
	v_and_b32_e32 v2, 0xffff, v2
	v_cndmask_b32_e64 v13, 0, v13, s3
	v_add_nc_u16 v1, v1, 0x100
	v_and_b32_e32 v11, 0xffffff00, v11
	v_lshlrev_b32_e32 v3, 16, v3
	s_mov_b32 s9, exec_lo
	s_delay_alu instid0(VALU_DEP_3) | instskip(NEXT) | instid1(VALU_DEP_3)
	v_and_b32_e32 v1, 0xffff, v1
	v_or_b32_e32 v11, 0x7f, v11
	s_delay_alu instid0(VALU_DEP_2) | instskip(NEXT) | instid1(VALU_DEP_2)
	v_cndmask_b32_e64 v1, v2, v1, s0
	v_lshlrev_b32_e32 v11, 16, v11
	s_delay_alu instid0(VALU_DEP_2) | instskip(NEXT) | instid1(VALU_DEP_2)
	v_or_b32_e32 v3, v1, v3
	v_and_or_b32 v0, 0xffff, v0, v11
	v_and_b32_e32 v11, 0xffff, v16
	v_lshlrev_b32_e32 v16, 16, v23
	v_or_b32_e32 v23, 0x7f, v24
	v_cndmask_b32_e64 v1, v1, v3, s1
	v_cndmask_b32_e64 v0, v0, v22, s7
	v_cmp_lt_i32_e64 s7, v12, v6
	v_or_b32_e32 v9, v11, v16
	v_and_b32_e32 v11, 0xffff, v23
	s_delay_alu instid0(VALU_DEP_4) | instskip(NEXT) | instid1(VALU_DEP_2)
	v_lshrrev_b32_e32 v16, 16, v0
	v_and_or_b32 v11, 0xffff0000, v9, v11
	s_delay_alu instid0(VALU_DEP_2) | instskip(NEXT) | instid1(VALU_DEP_2)
	v_and_b32_e32 v16, 0xff, v16
	v_cndmask_b32_e64 v11, v11, v9, s7
	s_delay_alu instid0(VALU_DEP_2) | instskip(NEXT) | instid1(VALU_DEP_2)
	v_or_b32_e32 v12, 0x7f00, v16
	v_and_b32_e32 v16, 0xff, v11
	s_delay_alu instid0(VALU_DEP_2) | instskip(NEXT) | instid1(VALU_DEP_2)
	v_lshlrev_b32_e32 v12, 16, v12
	v_or_b32_e32 v16, 0x7f00, v16
	s_delay_alu instid0(VALU_DEP_2) | instskip(SKIP_1) | instid1(VALU_DEP_3)
	v_and_or_b32 v0, 0xffff, v0, v12
	v_and_b32_e32 v12, 0xff, v13
	v_and_b32_e32 v16, 0xffff, v16
	s_delay_alu instid0(VALU_DEP_3) | instskip(NEXT) | instid1(VALU_DEP_3)
	v_cndmask_b32_e64 v0, v0, v22, s8
	v_or_b32_e32 v10, v20, v12
	s_delay_alu instid0(VALU_DEP_3) | instskip(NEXT) | instid1(VALU_DEP_3)
	v_and_or_b32 v11, 0xffff0000, v11, v16
	v_cndmask_b32_e64 v0, v0, v22, s7
	v_cmp_lt_i32_e64 s7, v14, v6
	s_delay_alu instid0(VALU_DEP_4) | instskip(SKIP_1) | instid1(VALU_DEP_3)
	v_add_nc_u16 v10, v10, 0x100
	v_add_nc_u16 v14, v18, 1
	v_cndmask_b32_e64 v11, v11, v9, s7
	s_delay_alu instid0(VALU_DEP_3) | instskip(SKIP_2) | instid1(VALU_DEP_4)
	v_and_b32_e32 v10, 0xffff, v10
	v_cndmask_b32_e64 v0, v0, v22, s7
	v_cmp_lt_i32_e64 s7, v15, v6
	v_lshrrev_b32_e32 v12, 16, v11
	s_delay_alu instid0(VALU_DEP_4) | instskip(NEXT) | instid1(VALU_DEP_2)
	v_and_or_b32 v10, 0xffff0000, v13, v10
	v_and_b32_e32 v12, 0xffffff00, v12
	s_delay_alu instid0(VALU_DEP_2) | instskip(NEXT) | instid1(VALU_DEP_2)
	v_cndmask_b32_e64 v2, v13, v10, s4
	v_or_b32_e32 v10, 0x7f, v12
	s_delay_alu instid0(VALU_DEP_2) | instskip(NEXT) | instid1(VALU_DEP_2)
	v_perm_b32 v12, v2, v14, 0x7000504
	v_lshlrev_b32_e32 v10, 16, v10
	s_delay_alu instid0(VALU_DEP_2) | instskip(SKIP_1) | instid1(VALU_DEP_3)
	v_cndmask_b32_e64 v2, v2, v12, s5
	v_cndmask_b32_e64 v12, v0, v22, s7
	v_and_or_b32 v3, 0xffff, v11, v10
	v_lshrrev_b32_e32 v10, 16, v1
	s_delay_alu instid0(VALU_DEP_4) | instskip(NEXT) | instid1(VALU_DEP_3)
	v_lshrrev_b32_e32 v11, 16, v2
	v_cndmask_b32_e64 v0, v3, v9, s7
	s_delay_alu instid0(VALU_DEP_3) | instskip(NEXT) | instid1(VALU_DEP_3)
	v_and_b32_e32 v3, 0xff, v10
	v_and_b32_e32 v10, 0xff, v11
	v_cmp_lt_i32_e64 s7, v17, v6
	s_delay_alu instid0(VALU_DEP_4) | instskip(NEXT) | instid1(VALU_DEP_4)
	v_lshrrev_b32_e32 v11, 16, v0
	v_or_b32_e32 v3, v19, v3
	s_delay_alu instid0(VALU_DEP_4) | instskip(NEXT) | instid1(VALU_DEP_3)
	v_or_b32_e32 v10, v21, v10
	v_and_b32_e32 v11, 0xff, v11
	s_delay_alu instid0(VALU_DEP_3) | instskip(NEXT) | instid1(VALU_DEP_3)
	v_add_nc_u16 v3, v3, 0x100
	v_add_nc_u16 v10, v10, 0x100
	s_delay_alu instid0(VALU_DEP_3) | instskip(NEXT) | instid1(VALU_DEP_3)
	v_or_b32_e32 v11, 0x7f00, v11
	v_lshlrev_b32_e32 v3, 16, v3
	s_delay_alu instid0(VALU_DEP_3) | instskip(NEXT) | instid1(VALU_DEP_3)
	v_lshlrev_b32_e32 v10, 16, v10
	v_lshlrev_b32_e32 v11, 16, v11
	s_delay_alu instid0(VALU_DEP_3) | instskip(NEXT) | instid1(VALU_DEP_3)
	v_and_or_b32 v3, 0xffff, v1, v3
	v_and_or_b32 v10, 0xffff, v2, v10
	s_delay_alu instid0(VALU_DEP_3) | instskip(NEXT) | instid1(VALU_DEP_3)
	v_and_or_b32 v11, 0xffff, v0, v11
	v_cndmask_b32_e64 v0, v1, v3, s2
	s_delay_alu instid0(VALU_DEP_3) | instskip(SKIP_1) | instid1(VALU_DEP_4)
	v_cndmask_b32_e64 v1, v2, v10, s6
	v_cndmask_b32_e64 v2, v12, v22, s7
	;; [unrolled: 1-line block ×3, first 2 shown]
	v_cmpx_lt_i32_e64 v4, v6
	s_cbranch_execz .LBB71_18
; %bb.17:
	s_delay_alu instid0(VALU_DEP_3)
	v_lshrrev_b32_e32 v9, 8, v2
	v_perm_b32 v11, 0, v2, 0xc0c0001
	v_bfe_i32 v12, v2, 0, 8
	v_perm_b32 v10, 0, v0, 0xc0c0001
	v_lshrrev_b32_e32 v14, 8, v3
	v_bfe_i32 v9, v9, 0, 8
	v_and_or_b32 v11, 0xffff0000, v2, v11
	v_bfe_i32 v15, v3, 0, 8
	v_and_or_b32 v10, 0xffff0000, v0, v10
	v_bfe_i32 v14, v14, 0, 8
	v_cmp_lt_i16_e64 s7, v9, v12
	v_perm_b32 v13, v1, v1, 0x7060405
	s_delay_alu instid0(VALU_DEP_3) | instskip(NEXT) | instid1(VALU_DEP_3)
	v_cmp_lt_i16_e64 s8, v14, v15
	v_cndmask_b32_e64 v2, v2, v11, s7
	v_cndmask_b32_e64 v0, v0, v10, s7
	s_delay_alu instid0(VALU_DEP_3) | instskip(NEXT) | instid1(VALU_DEP_3)
	v_cndmask_b32_e64 v1, v1, v13, s8
	v_lshrrev_b32_e32 v10, 16, v2
	s_delay_alu instid0(VALU_DEP_3) | instskip(SKIP_1) | instid1(VALU_DEP_3)
	v_lshrrev_b32_e32 v9, 16, v0
	v_lshrrev_b32_e32 v11, 24, v2
	v_perm_b32 v12, 0, v10, 0xc0c0001
	s_delay_alu instid0(VALU_DEP_3) | instskip(NEXT) | instid1(VALU_DEP_3)
	v_perm_b32 v9, 0, v9, 0xc0c0001
	v_bfe_i32 v11, v11, 0, 8
	v_bfe_i32 v10, v10, 0, 8
	s_delay_alu instid0(VALU_DEP_4) | instskip(NEXT) | instid1(VALU_DEP_4)
	v_lshlrev_b32_e32 v12, 16, v12
	v_lshlrev_b32_e32 v9, 16, v9
	s_delay_alu instid0(VALU_DEP_3) | instskip(SKIP_1) | instid1(VALU_DEP_4)
	v_cmp_lt_i16_e64 s7, v11, v10
	v_perm_b32 v10, v3, v3, 0x7060405
	v_and_or_b32 v12, 0xffff, v2, v12
	s_delay_alu instid0(VALU_DEP_4) | instskip(NEXT) | instid1(VALU_DEP_3)
	v_and_or_b32 v9, 0xffff, v0, v9
	v_cndmask_b32_e64 v3, v3, v10, s8
	s_delay_alu instid0(VALU_DEP_3) | instskip(NEXT) | instid1(VALU_DEP_3)
	v_cndmask_b32_e64 v2, v2, v12, s7
	v_cndmask_b32_e64 v0, v0, v9, s7
	s_delay_alu instid0(VALU_DEP_3) | instskip(NEXT) | instid1(VALU_DEP_3)
	v_lshrrev_b32_e32 v11, 24, v3
	v_lshrrev_b32_e32 v9, 16, v2
	;; [unrolled: 1-line block ×4, first 2 shown]
	v_perm_b32 v13, v0, v0, 0x7050604
	v_bfe_i32 v11, v11, 0, 8
	v_bfe_i32 v9, v9, 0, 8
	;; [unrolled: 1-line block ×4, first 2 shown]
	v_perm_b32 v14, v2, v2, 0x7050604
	s_delay_alu instid0(VALU_DEP_3) | instskip(SKIP_3) | instid1(VALU_DEP_4)
	v_cmp_lt_i16_e64 s7, v9, v10
	v_perm_b32 v9, v1, v1, 0x6070504
	v_perm_b32 v10, v3, v3, 0x6070504
	v_cmp_lt_i16_e64 s8, v11, v12
	v_cndmask_b32_e64 v0, v0, v13, s7
	v_cndmask_b32_e64 v2, v2, v14, s7
	s_delay_alu instid0(VALU_DEP_3) | instskip(SKIP_1) | instid1(VALU_DEP_4)
	v_cndmask_b32_e64 v1, v1, v9, s8
	v_cndmask_b32_e64 v3, v3, v10, s8
	v_lshrrev_b32_e32 v9, 16, v0
	s_delay_alu instid0(VALU_DEP_4) | instskip(NEXT) | instid1(VALU_DEP_4)
	v_lshrrev_b32_e32 v10, 16, v2
	v_lshlrev_b16 v11, 8, v1
	s_delay_alu instid0(VALU_DEP_4) | instskip(NEXT) | instid1(VALU_DEP_4)
	v_lshlrev_b16 v12, 8, v3
	v_and_b32_e32 v9, 0xff, v9
	s_delay_alu instid0(VALU_DEP_4) | instskip(NEXT) | instid1(VALU_DEP_2)
	v_and_b32_e32 v10, 0xff, v10
	v_or_b32_e32 v9, v9, v11
	s_delay_alu instid0(VALU_DEP_2) | instskip(SKIP_2) | instid1(VALU_DEP_4)
	v_or_b32_e32 v10, v10, v12
	v_lshrrev_b32_e32 v11, 24, v2
	v_bfe_i32 v12, v3, 0, 8
	v_lshlrev_b32_e32 v9, 16, v9
	s_delay_alu instid0(VALU_DEP_4) | instskip(NEXT) | instid1(VALU_DEP_4)
	v_lshlrev_b32_e32 v10, 16, v10
	v_bfe_i32 v11, v11, 0, 8
	s_delay_alu instid0(VALU_DEP_3) | instskip(NEXT) | instid1(VALU_DEP_3)
	v_and_or_b32 v9, 0xffff, v0, v9
	v_and_or_b32 v10, 0xffff, v2, v10
	s_delay_alu instid0(VALU_DEP_3) | instskip(SKIP_1) | instid1(VALU_DEP_2)
	v_cmp_lt_i16_e64 s7, v12, v11
	v_perm_b32 v11, v0, v1, 0x3020107
	v_cndmask_b32_e64 v0, v0, v9, s7
	s_delay_alu instid0(VALU_DEP_4) | instskip(SKIP_1) | instid1(VALU_DEP_4)
	v_cndmask_b32_e64 v9, v2, v10, s7
	v_perm_b32 v2, v2, v3, 0x3020107
	v_cndmask_b32_e64 v1, v1, v11, s7
	s_delay_alu instid0(VALU_DEP_3) | instskip(NEXT) | instid1(VALU_DEP_3)
	v_lshrrev_b32_e32 v10, 8, v9
	v_cndmask_b32_e64 v2, v3, v2, s7
	v_perm_b32 v3, 0, v0, 0xc0c0001
	v_perm_b32 v11, 0, v9, 0xc0c0001
	v_bfe_i32 v12, v9, 0, 8
	v_bfe_i32 v10, v10, 0, 8
	v_lshrrev_b32_e32 v13, 16, v2
	v_lshrrev_b32_e32 v14, 8, v2
	v_and_or_b32 v3, 0xffff0000, v0, v3
	v_and_or_b32 v11, 0xffff0000, v9, v11
	v_cmp_lt_i16_e64 s7, v10, v12
	v_bfe_i32 v10, v13, 0, 8
	v_bfe_i32 v12, v14, 0, 8
	v_perm_b32 v13, v2, v2, 0x7050604
	s_delay_alu instid0(VALU_DEP_4) | instskip(SKIP_3) | instid1(VALU_DEP_4)
	v_cndmask_b32_e64 v0, v0, v3, s7
	v_cndmask_b32_e64 v3, v9, v11, s7
	v_perm_b32 v9, v1, v1, 0x7050604
	v_cmp_lt_i16_e64 s7, v10, v12
	v_lshrrev_b32_e32 v10, 16, v0
	s_delay_alu instid0(VALU_DEP_4) | instskip(NEXT) | instid1(VALU_DEP_3)
	v_lshrrev_b32_e32 v11, 16, v3
	v_cndmask_b32_e64 v1, v1, v9, s7
	v_cndmask_b32_e64 v2, v2, v13, s7
	v_lshrrev_b32_e32 v9, 24, v3
	s_delay_alu instid0(VALU_DEP_4)
	v_perm_b32 v12, 0, v11, 0xc0c0001
	v_perm_b32 v10, 0, v10, 0xc0c0001
	v_bfe_i32 v11, v11, 0, 8
	v_lshrrev_b32_e32 v14, 8, v2
	v_bfe_i32 v9, v9, 0, 8
	v_lshlrev_b32_e32 v12, 16, v12
	v_lshlrev_b32_e32 v10, 16, v10
	v_bfe_i32 v15, v2, 0, 8
	v_bfe_i32 v14, v14, 0, 8
	v_cmp_lt_i16_e64 s7, v9, v11
	v_and_or_b32 v12, 0xffff, v3, v12
	v_and_or_b32 v10, 0xffff, v0, v10
	v_perm_b32 v9, v2, v2, 0x7060405
	v_cmp_lt_i16_e64 s8, v14, v15
	v_perm_b32 v13, v1, v1, 0x7060405
	v_cndmask_b32_e64 v3, v3, v12, s7
	v_cndmask_b32_e64 v0, v0, v10, s7
	s_delay_alu instid0(VALU_DEP_4) | instskip(NEXT) | instid1(VALU_DEP_4)
	v_cndmask_b32_e64 v2, v2, v9, s8
	v_cndmask_b32_e64 v1, v1, v13, s8
	s_delay_alu instid0(VALU_DEP_4)
	v_lshrrev_b32_e32 v9, 16, v3
	v_lshrrev_b32_e32 v10, 8, v3
	v_perm_b32 v13, v0, v0, 0x7050604
	v_lshrrev_b32_e32 v11, 24, v2
	v_lshrrev_b32_e32 v12, 16, v2
	v_bfe_i32 v9, v9, 0, 8
	v_bfe_i32 v10, v10, 0, 8
	v_perm_b32 v14, v3, v3, 0x7050604
	v_bfe_i32 v11, v11, 0, 8
	v_bfe_i32 v12, v12, 0, 8
	s_delay_alu instid0(VALU_DEP_4) | instskip(SKIP_2) | instid1(VALU_DEP_4)
	v_cmp_lt_i16_e64 s7, v9, v10
	v_perm_b32 v9, v1, v1, 0x6070504
	v_perm_b32 v10, v2, v2, 0x6070504
	v_cmp_lt_i16_e64 s8, v11, v12
	s_delay_alu instid0(VALU_DEP_4) | instskip(SKIP_1) | instid1(VALU_DEP_3)
	v_cndmask_b32_e64 v0, v0, v13, s7
	v_cndmask_b32_e64 v3, v3, v14, s7
	;; [unrolled: 1-line block ×4, first 2 shown]
	s_delay_alu instid0(VALU_DEP_4) | instskip(NEXT) | instid1(VALU_DEP_4)
	v_lshrrev_b32_e32 v9, 16, v0
	v_lshrrev_b32_e32 v10, 16, v3
	s_delay_alu instid0(VALU_DEP_4) | instskip(NEXT) | instid1(VALU_DEP_4)
	v_lshlrev_b16 v11, 8, v1
	v_lshlrev_b16 v12, 8, v2
	s_delay_alu instid0(VALU_DEP_4) | instskip(NEXT) | instid1(VALU_DEP_4)
	v_and_b32_e32 v9, 0xff, v9
	v_and_b32_e32 v10, 0xff, v10
	s_delay_alu instid0(VALU_DEP_2) | instskip(NEXT) | instid1(VALU_DEP_2)
	v_or_b32_e32 v9, v9, v11
	v_or_b32_e32 v10, v10, v12
	v_lshrrev_b32_e32 v11, 24, v3
	v_bfe_i32 v12, v2, 0, 8
	s_delay_alu instid0(VALU_DEP_4) | instskip(NEXT) | instid1(VALU_DEP_4)
	v_lshlrev_b32_e32 v9, 16, v9
	v_lshlrev_b32_e32 v10, 16, v10
	s_delay_alu instid0(VALU_DEP_4) | instskip(NEXT) | instid1(VALU_DEP_3)
	v_bfe_i32 v11, v11, 0, 8
	v_and_or_b32 v9, 0xffff, v0, v9
	s_delay_alu instid0(VALU_DEP_3) | instskip(NEXT) | instid1(VALU_DEP_3)
	v_and_or_b32 v10, 0xffff, v3, v10
	v_cmp_lt_i16_e64 s7, v12, v11
	v_perm_b32 v11, v0, v1, 0x3020107
	s_delay_alu instid0(VALU_DEP_2) | instskip(NEXT) | instid1(VALU_DEP_4)
	v_cndmask_b32_e64 v0, v0, v9, s7
	v_cndmask_b32_e64 v9, v3, v10, s7
	v_perm_b32 v3, v3, v2, 0x3020107
	s_delay_alu instid0(VALU_DEP_4) | instskip(NEXT) | instid1(VALU_DEP_3)
	v_cndmask_b32_e64 v1, v1, v11, s7
	v_lshrrev_b32_e32 v10, 8, v9
	s_delay_alu instid0(VALU_DEP_3)
	v_cndmask_b32_e64 v2, v2, v3, s7
	v_perm_b32 v3, 0, v0, 0xc0c0001
	v_perm_b32 v11, 0, v9, 0xc0c0001
	v_bfe_i32 v12, v9, 0, 8
	v_bfe_i32 v10, v10, 0, 8
	v_lshrrev_b32_e32 v13, 16, v2
	v_lshrrev_b32_e32 v14, 8, v2
	v_and_or_b32 v3, 0xffff0000, v0, v3
	v_and_or_b32 v11, 0xffff0000, v9, v11
	v_cmp_lt_i16_e64 s7, v10, v12
	v_bfe_i32 v10, v13, 0, 8
	v_bfe_i32 v12, v14, 0, 8
	v_perm_b32 v13, v2, v2, 0x7050604
	s_delay_alu instid0(VALU_DEP_4) | instskip(SKIP_3) | instid1(VALU_DEP_4)
	v_cndmask_b32_e64 v0, v0, v3, s7
	v_cndmask_b32_e64 v3, v9, v11, s7
	v_perm_b32 v9, v1, v1, 0x7050604
	v_cmp_lt_i16_e64 s7, v10, v12
	v_lshrrev_b32_e32 v10, 16, v0
	s_delay_alu instid0(VALU_DEP_4) | instskip(NEXT) | instid1(VALU_DEP_3)
	v_lshrrev_b32_e32 v11, 16, v3
	v_cndmask_b32_e64 v1, v1, v9, s7
	v_cndmask_b32_e64 v2, v2, v13, s7
	v_lshrrev_b32_e32 v9, 24, v3
	s_delay_alu instid0(VALU_DEP_4)
	v_perm_b32 v12, 0, v11, 0xc0c0001
	v_perm_b32 v10, 0, v10, 0xc0c0001
	v_bfe_i32 v11, v11, 0, 8
	v_lshrrev_b32_e32 v14, 8, v2
	v_bfe_i32 v9, v9, 0, 8
	v_lshlrev_b32_e32 v12, 16, v12
	v_lshlrev_b32_e32 v10, 16, v10
	v_bfe_i32 v15, v2, 0, 8
	v_bfe_i32 v14, v14, 0, 8
	v_cmp_lt_i16_e64 s7, v9, v11
	v_and_or_b32 v12, 0xffff, v3, v12
	v_and_or_b32 v10, 0xffff, v0, v10
	v_perm_b32 v9, v2, v2, 0x7060405
	v_cmp_lt_i16_e64 s8, v14, v15
	v_perm_b32 v13, v1, v1, 0x7060405
	v_cndmask_b32_e64 v3, v3, v12, s7
	v_cndmask_b32_e64 v0, v0, v10, s7
	s_delay_alu instid0(VALU_DEP_4) | instskip(NEXT) | instid1(VALU_DEP_4)
	v_cndmask_b32_e64 v2, v2, v9, s8
	v_cndmask_b32_e64 v1, v1, v13, s8
	s_delay_alu instid0(VALU_DEP_4)
	v_lshrrev_b32_e32 v9, 16, v3
	v_lshrrev_b32_e32 v10, 8, v3
	v_perm_b32 v13, v0, v0, 0x7050604
	v_lshrrev_b32_e32 v11, 24, v2
	v_lshrrev_b32_e32 v12, 16, v2
	v_bfe_i32 v9, v9, 0, 8
	v_bfe_i32 v10, v10, 0, 8
	v_perm_b32 v14, v3, v3, 0x7050604
	v_bfe_i32 v11, v11, 0, 8
	v_bfe_i32 v12, v12, 0, 8
	s_delay_alu instid0(VALU_DEP_4) | instskip(SKIP_2) | instid1(VALU_DEP_4)
	v_cmp_lt_i16_e64 s7, v9, v10
	v_perm_b32 v9, v1, v1, 0x6070504
	v_perm_b32 v10, v2, v2, 0x6070504
	v_cmp_lt_i16_e64 s8, v11, v12
	s_delay_alu instid0(VALU_DEP_4) | instskip(SKIP_1) | instid1(VALU_DEP_3)
	v_cndmask_b32_e64 v0, v0, v13, s7
	v_cndmask_b32_e64 v3, v3, v14, s7
	;; [unrolled: 1-line block ×4, first 2 shown]
	s_delay_alu instid0(VALU_DEP_4) | instskip(NEXT) | instid1(VALU_DEP_4)
	v_lshrrev_b32_e32 v9, 16, v0
	v_lshrrev_b32_e32 v10, 16, v3
	s_delay_alu instid0(VALU_DEP_4) | instskip(NEXT) | instid1(VALU_DEP_4)
	v_lshlrev_b16 v11, 8, v1
	v_lshlrev_b16 v12, 8, v2
	s_delay_alu instid0(VALU_DEP_4) | instskip(NEXT) | instid1(VALU_DEP_4)
	v_and_b32_e32 v9, 0xff, v9
	v_and_b32_e32 v10, 0xff, v10
	s_delay_alu instid0(VALU_DEP_2) | instskip(NEXT) | instid1(VALU_DEP_2)
	v_or_b32_e32 v9, v9, v11
	v_or_b32_e32 v10, v10, v12
	v_lshrrev_b32_e32 v11, 24, v3
	v_bfe_i32 v12, v2, 0, 8
	s_delay_alu instid0(VALU_DEP_4) | instskip(NEXT) | instid1(VALU_DEP_4)
	v_lshlrev_b32_e32 v9, 16, v9
	v_lshlrev_b32_e32 v10, 16, v10
	s_delay_alu instid0(VALU_DEP_4) | instskip(NEXT) | instid1(VALU_DEP_3)
	v_bfe_i32 v11, v11, 0, 8
	v_and_or_b32 v9, 0xffff, v0, v9
	s_delay_alu instid0(VALU_DEP_3) | instskip(NEXT) | instid1(VALU_DEP_3)
	v_and_or_b32 v10, 0xffff, v3, v10
	v_cmp_lt_i16_e64 s7, v12, v11
	v_perm_b32 v11, v0, v1, 0x3020107
	s_delay_alu instid0(VALU_DEP_2) | instskip(NEXT) | instid1(VALU_DEP_4)
	v_cndmask_b32_e64 v0, v0, v9, s7
	v_cndmask_b32_e64 v9, v3, v10, s7
	v_perm_b32 v3, v3, v2, 0x3020107
	s_delay_alu instid0(VALU_DEP_4) | instskip(NEXT) | instid1(VALU_DEP_3)
	v_cndmask_b32_e64 v1, v1, v11, s7
	v_lshrrev_b32_e32 v10, 8, v9
	s_delay_alu instid0(VALU_DEP_3)
	v_cndmask_b32_e64 v2, v2, v3, s7
	v_perm_b32 v3, 0, v0, 0xc0c0001
	v_perm_b32 v11, 0, v9, 0xc0c0001
	v_bfe_i32 v12, v9, 0, 8
	v_bfe_i32 v10, v10, 0, 8
	v_lshrrev_b32_e32 v13, 16, v2
	v_lshrrev_b32_e32 v14, 8, v2
	v_and_or_b32 v3, 0xffff0000, v0, v3
	v_and_or_b32 v11, 0xffff0000, v9, v11
	v_cmp_lt_i16_e64 s7, v10, v12
	v_bfe_i32 v10, v13, 0, 8
	v_bfe_i32 v12, v14, 0, 8
	v_perm_b32 v13, v2, v2, 0x7050604
	s_delay_alu instid0(VALU_DEP_4) | instskip(SKIP_3) | instid1(VALU_DEP_4)
	v_cndmask_b32_e64 v0, v0, v3, s7
	v_cndmask_b32_e64 v3, v9, v11, s7
	v_perm_b32 v9, v1, v1, 0x7050604
	v_cmp_lt_i16_e64 s7, v10, v12
	v_lshrrev_b32_e32 v10, 16, v0
	s_delay_alu instid0(VALU_DEP_4) | instskip(NEXT) | instid1(VALU_DEP_3)
	v_lshrrev_b32_e32 v11, 16, v3
	v_cndmask_b32_e64 v1, v1, v9, s7
	v_cndmask_b32_e64 v2, v2, v13, s7
	v_lshrrev_b32_e32 v9, 24, v3
	s_delay_alu instid0(VALU_DEP_4)
	v_perm_b32 v12, 0, v11, 0xc0c0001
	v_perm_b32 v10, 0, v10, 0xc0c0001
	v_bfe_i32 v11, v11, 0, 8
	v_lshrrev_b32_e32 v13, 8, v2
	v_bfe_i32 v9, v9, 0, 8
	v_lshlrev_b32_e32 v12, 16, v12
	v_lshlrev_b32_e32 v10, 16, v10
	v_bfe_i32 v14, v2, 0, 8
	v_bfe_i32 v13, v13, 0, 8
	v_cmp_lt_i16_e64 s7, v9, v11
	v_and_or_b32 v12, 0xffff, v3, v12
	v_and_or_b32 v10, 0xffff, v0, v10
	v_perm_b32 v9, v1, v1, 0x7060405
	v_perm_b32 v11, v2, v2, 0x7060405
	v_cmp_lt_i16_e64 s8, v13, v14
	v_cndmask_b32_e64 v3, v3, v12, s7
	v_cndmask_b32_e64 v0, v0, v10, s7
	s_delay_alu instid0(VALU_DEP_3) | instskip(SKIP_1) | instid1(VALU_DEP_4)
	v_cndmask_b32_e64 v1, v1, v9, s8
	v_cndmask_b32_e64 v2, v2, v11, s8
	v_lshrrev_b32_e32 v9, 16, v3
	v_lshrrev_b32_e32 v10, 8, v3
	v_perm_b32 v13, v0, v0, 0x7050604
	v_perm_b32 v14, v1, v1, 0x6070504
	v_lshrrev_b32_e32 v11, 24, v2
	v_lshrrev_b32_e32 v12, 16, v2
	v_bfe_i32 v9, v9, 0, 8
	v_bfe_i32 v10, v10, 0, 8
	s_delay_alu instid0(VALU_DEP_4) | instskip(NEXT) | instid1(VALU_DEP_4)
	v_bfe_i32 v11, v11, 0, 8
	v_bfe_i32 v12, v12, 0, 8
	s_delay_alu instid0(VALU_DEP_3) | instskip(SKIP_1) | instid1(VALU_DEP_3)
	v_cmp_lt_i16_e64 s7, v9, v10
	v_perm_b32 v10, v3, v3, 0x7050604
	v_cmp_lt_i16_e64 s8, v11, v12
	v_perm_b32 v11, v2, v2, 0x6070504
	s_delay_alu instid0(VALU_DEP_4) | instskip(NEXT) | instid1(VALU_DEP_4)
	v_cndmask_b32_e64 v9, v0, v13, s7
	v_cndmask_b32_e64 v3, v3, v10, s7
	s_delay_alu instid0(VALU_DEP_4) | instskip(NEXT) | instid1(VALU_DEP_4)
	v_cndmask_b32_e64 v1, v1, v14, s8
	v_cndmask_b32_e64 v2, v2, v11, s8
	s_delay_alu instid0(VALU_DEP_4) | instskip(NEXT) | instid1(VALU_DEP_4)
	v_lshrrev_b32_e32 v0, 16, v9
	v_lshrrev_b32_e32 v10, 24, v3
	;; [unrolled: 1-line block ×3, first 2 shown]
	v_lshlrev_b16 v12, 8, v1
	v_bfe_i32 v11, v2, 0, 8
	v_and_b32_e32 v0, 0xff, v0
	v_bfe_i32 v10, v10, 0, 8
	s_delay_alu instid0(VALU_DEP_2) | instskip(SKIP_1) | instid1(VALU_DEP_3)
	v_or_b32_e32 v0, v0, v12
	v_perm_b32 v12, v3, v2, 0x3020107
	v_cmp_lt_i16_e64 s7, v11, v10
	v_lshlrev_b16 v10, 8, v2
	v_and_b32_e32 v11, 0xff, v13
	v_lshlrev_b32_e32 v0, 16, v0
	s_delay_alu instid0(VALU_DEP_4) | instskip(NEXT) | instid1(VALU_DEP_3)
	v_cndmask_b32_e64 v12, v2, v12, s7
	v_or_b32_e32 v2, v11, v10
	s_delay_alu instid0(VALU_DEP_3) | instskip(NEXT) | instid1(VALU_DEP_3)
	v_and_or_b32 v0, 0xffff, v9, v0
	v_lshrrev_b32_e32 v10, 16, v12
	v_lshrrev_b32_e32 v11, 8, v12
	s_delay_alu instid0(VALU_DEP_4) | instskip(NEXT) | instid1(VALU_DEP_4)
	v_lshlrev_b32_e32 v2, 16, v2
	v_cndmask_b32_e64 v0, v9, v0, s7
	v_perm_b32 v9, v9, v1, 0x3020107
	s_delay_alu instid0(VALU_DEP_3) | instskip(NEXT) | instid1(VALU_DEP_2)
	v_and_or_b32 v2, 0xffff, v3, v2
	v_cndmask_b32_e64 v1, v1, v9, s7
	v_bfe_i32 v9, v10, 0, 8
	v_bfe_i32 v10, v11, 0, 8
	v_perm_b32 v11, v12, v12, 0x7050604
	v_cndmask_b32_e64 v2, v3, v2, s7
	v_perm_b32 v13, v1, v1, 0x7050604
	s_delay_alu instid0(VALU_DEP_4) | instskip(NEXT) | instid1(VALU_DEP_1)
	v_cmp_lt_i16_e64 s8, v9, v10
	v_cndmask_b32_e64 v1, v1, v13, s8
	v_cndmask_b32_e64 v3, v12, v11, s8
.LBB71_18:
	s_or_b32 exec_lo, exec_lo, s9
	v_and_b32_e32 v9, 0x70, v8
	v_and_b32_e32 v12, 8, v8
	s_mov_b32 s8, exec_lo
	; wave barrier
	s_delay_alu instid0(VALU_DEP_2) | instskip(NEXT) | instid1(VALU_DEP_2)
	v_min_i32_e32 v11, v6, v9
	v_min_i32_e32 v12, v6, v12
	s_delay_alu instid0(VALU_DEP_2) | instskip(NEXT) | instid1(VALU_DEP_1)
	v_add_nc_u32_e32 v9, 8, v11
	v_min_i32_e32 v9, v6, v9
	s_delay_alu instid0(VALU_DEP_1) | instskip(SKIP_1) | instid1(VALU_DEP_2)
	v_add_nc_u32_e32 v10, 8, v9
	v_sub_nc_u32_e32 v15, v9, v11
	v_min_i32_e32 v10, v6, v10
	s_delay_alu instid0(VALU_DEP_1) | instskip(NEXT) | instid1(VALU_DEP_1)
	v_sub_nc_u32_e32 v13, v10, v9
	v_sub_nc_u32_e32 v14, v12, v13
	v_cmp_ge_i32_e64 s7, v12, v13
	s_delay_alu instid0(VALU_DEP_1)
	v_cndmask_b32_e64 v13, 0, v14, s7
	v_min_i32_e32 v14, v12, v15
	v_mad_u32_u24 v15, 0x81, v7, v4
	v_mul_u32_u24_e32 v7, 0x81, v7
	ds_store_b64 v15, v[2:3]
	; wave barrier
	v_cmpx_lt_i32_e64 v13, v14
	s_cbranch_execz .LBB71_22
; %bb.19:
	v_add_nc_u32_e32 v2, v7, v11
	v_add3_u32 v3, v7, v9, v12
	s_mov_b32 s9, 0
	.p2align	6
.LBB71_20:                              ; =>This Inner Loop Header: Depth=1
	v_sub_nc_u32_e32 v15, v14, v13
	s_delay_alu instid0(VALU_DEP_1) | instskip(NEXT) | instid1(VALU_DEP_1)
	v_lshrrev_b32_e32 v16, 31, v15
	v_add_nc_u32_e32 v15, v15, v16
	s_delay_alu instid0(VALU_DEP_1) | instskip(NEXT) | instid1(VALU_DEP_1)
	v_ashrrev_i32_e32 v15, 1, v15
	v_add_nc_u32_e32 v15, v15, v13
	s_delay_alu instid0(VALU_DEP_1)
	v_add_nc_u32_e32 v16, v2, v15
	v_xad_u32 v17, v15, -1, v3
	v_add_nc_u32_e32 v18, 1, v15
	ds_load_i8 v16, v16
	ds_load_i8 v17, v17
	s_waitcnt lgkmcnt(0)
	v_cmp_lt_i16_e64 s7, v17, v16
	s_delay_alu instid0(VALU_DEP_1) | instskip(SKIP_1) | instid1(VALU_DEP_1)
	v_cndmask_b32_e64 v14, v14, v15, s7
	v_cndmask_b32_e64 v13, v18, v13, s7
	v_cmp_ge_i32_e64 s7, v13, v14
	s_delay_alu instid0(VALU_DEP_1) | instskip(NEXT) | instid1(SALU_CYCLE_1)
	s_or_b32 s9, s7, s9
	s_and_not1_b32 exec_lo, exec_lo, s9
	s_cbranch_execnz .LBB71_20
; %bb.21:
	s_or_b32 exec_lo, exec_lo, s9
.LBB71_22:
	s_delay_alu instid0(SALU_CYCLE_1) | instskip(SKIP_2) | instid1(VALU_DEP_2)
	s_or_b32 exec_lo, exec_lo, s8
	v_add_nc_u32_e32 v3, v9, v12
	v_add_nc_u32_e32 v2, v13, v11
	v_sub_nc_u32_e32 v3, v3, v13
	s_delay_alu instid0(VALU_DEP_2) | instskip(SKIP_1) | instid1(VALU_DEP_3)
	v_add_nc_u32_e32 v14, v7, v2
	v_cmp_le_i32_e64 s7, v9, v2
                                        ; implicit-def: $vgpr13
	v_add_nc_u32_e32 v15, v7, v3
	v_cmp_gt_i32_e64 s9, v10, v3
	ds_load_u8 v11, v14
	ds_load_u8 v12, v15
	s_waitcnt lgkmcnt(1)
	v_bfe_i32 v11, v11, 0, 8
	s_waitcnt lgkmcnt(0)
	v_bfe_i32 v12, v12, 0, 8
	s_delay_alu instid0(VALU_DEP_1) | instskip(NEXT) | instid1(VALU_DEP_1)
	v_cmp_lt_i16_e64 s8, v12, v11
	s_or_b32 s7, s7, s8
	s_delay_alu instid0(SALU_CYCLE_1) | instskip(NEXT) | instid1(SALU_CYCLE_1)
	s_and_b32 s7, s9, s7
	s_xor_b32 s8, s7, -1
	s_delay_alu instid0(SALU_CYCLE_1) | instskip(NEXT) | instid1(SALU_CYCLE_1)
	s_and_saveexec_b32 s9, s8
	s_xor_b32 s8, exec_lo, s9
	s_cbranch_execz .LBB71_24
; %bb.23:
	ds_load_u8 v13, v14 offset:1
                                        ; implicit-def: $vgpr15
.LBB71_24:
	s_or_saveexec_b32 s8, s8
	v_mov_b32_e32 v14, v12
	s_xor_b32 exec_lo, exec_lo, s8
	s_cbranch_execz .LBB71_26
; %bb.25:
	ds_load_u8 v14, v15 offset:1
	s_waitcnt lgkmcnt(1)
	v_mov_b32_e32 v13, v11
.LBB71_26:
	s_or_b32 exec_lo, exec_lo, s8
	v_add_nc_u32_e32 v15, 1, v2
	v_add_nc_u32_e32 v16, 1, v3
	s_waitcnt lgkmcnt(0)
	v_bfe_i32 v17, v13, 0, 8
	v_bfe_i32 v18, v14, 0, 8
	v_cndmask_b32_e64 v15, v15, v2, s7
	v_cndmask_b32_e64 v16, v3, v16, s7
	s_delay_alu instid0(VALU_DEP_3) | instskip(NEXT) | instid1(VALU_DEP_3)
	v_cmp_lt_i16_e64 s9, v18, v17
                                        ; implicit-def: $vgpr17
	v_cmp_ge_i32_e64 s8, v15, v9
	s_delay_alu instid0(VALU_DEP_3) | instskip(NEXT) | instid1(VALU_DEP_2)
	v_cmp_lt_i32_e64 s10, v16, v10
	s_or_b32 s8, s8, s9
	s_delay_alu instid0(VALU_DEP_1) | instid1(SALU_CYCLE_1)
	s_and_b32 s8, s10, s8
	s_delay_alu instid0(SALU_CYCLE_1) | instskip(NEXT) | instid1(SALU_CYCLE_1)
	s_xor_b32 s9, s8, -1
	s_and_saveexec_b32 s10, s9
	s_delay_alu instid0(SALU_CYCLE_1)
	s_xor_b32 s9, exec_lo, s10
	s_cbranch_execz .LBB71_28
; %bb.27:
	v_add_nc_u32_e32 v17, v7, v15
	ds_load_u8 v17, v17 offset:1
.LBB71_28:
	s_or_saveexec_b32 s9, s9
	v_mov_b32_e32 v18, v14
	s_xor_b32 exec_lo, exec_lo, s9
	s_cbranch_execz .LBB71_30
; %bb.29:
	s_waitcnt lgkmcnt(0)
	v_add_nc_u32_e32 v17, v7, v16
	ds_load_u8 v18, v17 offset:1
	v_mov_b32_e32 v17, v13
.LBB71_30:
	s_or_b32 exec_lo, exec_lo, s9
	v_add_nc_u32_e32 v19, 1, v15
	v_add_nc_u32_e32 v20, 1, v16
	s_waitcnt lgkmcnt(0)
	v_bfe_i32 v21, v17, 0, 8
	v_bfe_i32 v22, v18, 0, 8
	v_cndmask_b32_e64 v19, v19, v15, s8
	v_cndmask_b32_e64 v20, v16, v20, s8
	s_delay_alu instid0(VALU_DEP_3) | instskip(NEXT) | instid1(VALU_DEP_3)
	v_cmp_lt_i16_e64 s10, v22, v21
                                        ; implicit-def: $vgpr21
	v_cmp_ge_i32_e64 s9, v19, v9
	s_delay_alu instid0(VALU_DEP_3) | instskip(NEXT) | instid1(VALU_DEP_2)
	v_cmp_lt_i32_e64 s11, v20, v10
	s_or_b32 s9, s9, s10
	s_delay_alu instid0(VALU_DEP_1) | instid1(SALU_CYCLE_1)
	s_and_b32 s9, s11, s9
	s_delay_alu instid0(SALU_CYCLE_1) | instskip(NEXT) | instid1(SALU_CYCLE_1)
	s_xor_b32 s10, s9, -1
	s_and_saveexec_b32 s11, s10
	s_delay_alu instid0(SALU_CYCLE_1)
	s_xor_b32 s10, exec_lo, s11
	s_cbranch_execz .LBB71_32
; %bb.31:
	v_add_nc_u32_e32 v21, v7, v19
	ds_load_u8 v21, v21 offset:1
.LBB71_32:
	s_or_saveexec_b32 s10, s10
	v_mov_b32_e32 v22, v18
	s_xor_b32 exec_lo, exec_lo, s10
	s_cbranch_execz .LBB71_34
; %bb.33:
	s_waitcnt lgkmcnt(0)
	v_add_nc_u32_e32 v21, v7, v20
	ds_load_u8 v22, v21 offset:1
	v_mov_b32_e32 v21, v17
.LBB71_34:
	s_or_b32 exec_lo, exec_lo, s10
	v_add_nc_u32_e32 v23, 1, v19
	v_add_nc_u32_e32 v24, 1, v20
	s_waitcnt lgkmcnt(0)
	v_bfe_i32 v25, v21, 0, 8
	v_bfe_i32 v26, v22, 0, 8
	v_cndmask_b32_e64 v23, v23, v19, s9
	v_cndmask_b32_e64 v24, v20, v24, s9
	s_delay_alu instid0(VALU_DEP_3) | instskip(NEXT) | instid1(VALU_DEP_3)
	v_cmp_lt_i16_e64 s11, v26, v25
                                        ; implicit-def: $vgpr25
	v_cmp_ge_i32_e64 s10, v23, v9
	s_delay_alu instid0(VALU_DEP_3) | instskip(NEXT) | instid1(VALU_DEP_2)
	v_cmp_lt_i32_e64 s12, v24, v10
	s_or_b32 s10, s10, s11
	s_delay_alu instid0(VALU_DEP_1) | instid1(SALU_CYCLE_1)
	s_and_b32 s10, s12, s10
	s_delay_alu instid0(SALU_CYCLE_1) | instskip(NEXT) | instid1(SALU_CYCLE_1)
	s_xor_b32 s11, s10, -1
	s_and_saveexec_b32 s12, s11
	s_delay_alu instid0(SALU_CYCLE_1)
	s_xor_b32 s11, exec_lo, s12
	s_cbranch_execz .LBB71_36
; %bb.35:
	v_add_nc_u32_e32 v25, v7, v23
	ds_load_u8 v25, v25 offset:1
.LBB71_36:
	s_or_saveexec_b32 s11, s11
	v_mov_b32_e32 v26, v22
	s_xor_b32 exec_lo, exec_lo, s11
	s_cbranch_execz .LBB71_38
; %bb.37:
	s_waitcnt lgkmcnt(0)
	v_add_nc_u32_e32 v25, v7, v24
	ds_load_u8 v26, v25 offset:1
	v_mov_b32_e32 v25, v21
.LBB71_38:
	s_or_b32 exec_lo, exec_lo, s11
	v_add_nc_u32_e32 v27, 1, v23
	v_add_nc_u32_e32 v28, 1, v24
	s_waitcnt lgkmcnt(0)
	v_bfe_i32 v29, v25, 0, 8
	v_bfe_i32 v30, v26, 0, 8
	v_cndmask_b32_e64 v27, v27, v23, s10
	v_cndmask_b32_e64 v28, v24, v28, s10
	s_delay_alu instid0(VALU_DEP_3) | instskip(NEXT) | instid1(VALU_DEP_3)
	v_cmp_lt_i16_e64 s12, v30, v29
                                        ; implicit-def: $vgpr29
	v_cmp_ge_i32_e64 s11, v27, v9
	s_delay_alu instid0(VALU_DEP_3) | instskip(NEXT) | instid1(VALU_DEP_2)
	v_cmp_lt_i32_e64 s13, v28, v10
	s_or_b32 s11, s11, s12
	s_delay_alu instid0(VALU_DEP_1) | instid1(SALU_CYCLE_1)
	s_and_b32 s11, s13, s11
	s_delay_alu instid0(SALU_CYCLE_1) | instskip(NEXT) | instid1(SALU_CYCLE_1)
	s_xor_b32 s12, s11, -1
	s_and_saveexec_b32 s13, s12
	s_delay_alu instid0(SALU_CYCLE_1)
	s_xor_b32 s12, exec_lo, s13
	s_cbranch_execz .LBB71_40
; %bb.39:
	v_add_nc_u32_e32 v29, v7, v27
	ds_load_u8 v29, v29 offset:1
.LBB71_40:
	s_or_saveexec_b32 s12, s12
	v_mov_b32_e32 v30, v26
	s_xor_b32 exec_lo, exec_lo, s12
	s_cbranch_execz .LBB71_42
; %bb.41:
	s_waitcnt lgkmcnt(0)
	v_add_nc_u32_e32 v29, v7, v28
	ds_load_u8 v30, v29 offset:1
	v_mov_b32_e32 v29, v25
.LBB71_42:
	s_or_b32 exec_lo, exec_lo, s12
	v_add_nc_u32_e32 v31, 1, v27
	v_add_nc_u32_e32 v32, 1, v28
	s_waitcnt lgkmcnt(0)
	v_bfe_i32 v33, v29, 0, 8
	v_bfe_i32 v34, v30, 0, 8
	v_cndmask_b32_e64 v31, v31, v27, s11
	v_cndmask_b32_e64 v32, v28, v32, s11
	s_delay_alu instid0(VALU_DEP_3) | instskip(NEXT) | instid1(VALU_DEP_3)
	v_cmp_lt_i16_e64 s13, v34, v33
                                        ; implicit-def: $vgpr33
	v_cmp_ge_i32_e64 s12, v31, v9
	s_delay_alu instid0(VALU_DEP_3) | instskip(NEXT) | instid1(VALU_DEP_2)
	v_cmp_lt_i32_e64 s14, v32, v10
	s_or_b32 s12, s12, s13
	s_delay_alu instid0(VALU_DEP_1) | instid1(SALU_CYCLE_1)
	s_and_b32 s12, s14, s12
	s_delay_alu instid0(SALU_CYCLE_1) | instskip(NEXT) | instid1(SALU_CYCLE_1)
	s_xor_b32 s13, s12, -1
	s_and_saveexec_b32 s14, s13
	s_delay_alu instid0(SALU_CYCLE_1)
	s_xor_b32 s13, exec_lo, s14
	s_cbranch_execz .LBB71_44
; %bb.43:
	v_add_nc_u32_e32 v33, v7, v31
	ds_load_u8 v33, v33 offset:1
.LBB71_44:
	s_or_saveexec_b32 s13, s13
	v_mov_b32_e32 v35, v30
	s_xor_b32 exec_lo, exec_lo, s13
	s_cbranch_execz .LBB71_46
; %bb.45:
	s_waitcnt lgkmcnt(0)
	v_add_nc_u32_e32 v33, v7, v32
	ds_load_u8 v35, v33 offset:1
	v_mov_b32_e32 v33, v29
.LBB71_46:
	s_or_b32 exec_lo, exec_lo, s13
	v_add_nc_u32_e32 v34, 1, v31
	v_add_nc_u32_e32 v36, 1, v32
	s_waitcnt lgkmcnt(0)
	v_bfe_i32 v39, v33, 0, 8
	s_delay_alu instid0(VALU_DEP_3) | instskip(SKIP_2) | instid1(VALU_DEP_3)
	v_cndmask_b32_e64 v37, v34, v31, s12
	v_bfe_i32 v34, v35, 0, 8
	v_cndmask_b32_e64 v38, v32, v36, s12
	v_cmp_ge_i32_e64 s13, v37, v9
	s_delay_alu instid0(VALU_DEP_3) | instskip(NEXT) | instid1(VALU_DEP_3)
	v_cmp_lt_i16_e64 s14, v34, v39
	v_cmp_lt_i32_e64 s15, v38, v10
                                        ; implicit-def: $vgpr34
	s_delay_alu instid0(VALU_DEP_2)
	s_or_b32 s13, s13, s14
	s_delay_alu instid0(VALU_DEP_1) | instid1(SALU_CYCLE_1)
	s_and_b32 s13, s15, s13
	s_delay_alu instid0(SALU_CYCLE_1) | instskip(NEXT) | instid1(SALU_CYCLE_1)
	s_xor_b32 s14, s13, -1
	s_and_saveexec_b32 s15, s14
	s_delay_alu instid0(SALU_CYCLE_1)
	s_xor_b32 s14, exec_lo, s15
	s_cbranch_execz .LBB71_48
; %bb.47:
	v_add_nc_u32_e32 v34, v7, v37
	ds_load_u8 v34, v34 offset:1
.LBB71_48:
	s_or_saveexec_b32 s14, s14
	v_mov_b32_e32 v36, v35
	s_xor_b32 exec_lo, exec_lo, s14
	s_cbranch_execz .LBB71_50
; %bb.49:
	s_waitcnt lgkmcnt(0)
	v_add_nc_u32_e32 v34, v7, v38
	ds_load_u8 v36, v34 offset:1
	v_mov_b32_e32 v34, v33
.LBB71_50:
	s_or_b32 exec_lo, exec_lo, s14
	v_add_nc_u32_e32 v40, 1, v37
	v_cndmask_b32_e64 v3, v2, v3, s7
	v_add_nc_u32_e32 v2, v7, v4
	v_add_nc_u32_e32 v39, 1, v38
	v_cndmask_b32_e64 v33, v33, v35, s13
	v_cndmask_b32_e64 v35, v37, v38, s13
	;; [unrolled: 1-line block ×5, first 2 shown]
	s_waitcnt lgkmcnt(0)
	v_bfe_i32 v23, v34, 0, 8
	v_bfe_i32 v24, v36, 0, 8
	; wave barrier
	ds_store_b64 v2, v[0:1]
	v_and_b32_e32 v0, 0x60, v8
	v_cndmask_b32_e64 v38, v38, v39, s13
	v_cndmask_b32_e64 v17, v17, v18, s9
	;; [unrolled: 1-line block ×3, first 2 shown]
	v_cmp_ge_i32_e64 s9, v37, v9
	v_cmp_lt_i16_e64 s10, v24, v23
	v_cndmask_b32_e64 v9, v15, v16, s8
	v_min_i32_e32 v16, v6, v0
	v_cndmask_b32_e64 v13, v13, v14, s8
	v_cmp_lt_i32_e64 s8, v38, v10
	v_cndmask_b32_e64 v10, v11, v12, s7
	s_or_b32 s7, s9, s10
	v_add_nc_u32_e32 v0, 16, v16
	v_cndmask_b32_e64 v25, v25, v26, s11
	s_and_b32 s7, s8, s7
	v_cndmask_b32_e64 v26, v27, v28, s11
	v_cndmask_b32_e64 v29, v29, v30, s12
	;; [unrolled: 1-line block ×4, first 2 shown]
	v_add_nc_u32_e32 v1, v7, v3
	v_add_nc_u32_e32 v9, v7, v9
	v_min_i32_e32 v15, v6, v0
	v_add_nc_u32_e32 v12, v7, v18
	v_add_nc_u32_e32 v14, v7, v22
	;; [unrolled: 1-line block ×3, first 2 shown]
	; wave barrier
	v_add_nc_u32_e32 v20, v7, v30
	v_add_nc_u32_e32 v22, v7, v35
	;; [unrolled: 1-line block ×3, first 2 shown]
	v_lshlrev_b16 v24, 8, v13
	v_and_b32_e32 v26, 0xff, v10
	ds_load_u8 v3, v1
	ds_load_u8 v10, v9
	;; [unrolled: 1-line block ×8, first 2 shown]
	v_cndmask_b32_e64 v19, v34, v36, s7
	v_lshlrev_b16 v21, 8, v21
	v_and_b32_e32 v17, 0xff, v17
	v_add_nc_u32_e32 v1, 16, v15
	v_and_b32_e32 v22, 24, v8
	v_and_b32_e32 v23, 0xff, v33
	v_lshlrev_b16 v19, 8, v19
	v_or_b32_e32 v20, v17, v21
	v_lshlrev_b16 v17, 8, v29
	v_and_b32_e32 v21, 0xff, v25
	v_min_i32_e32 v1, v6, v1
	v_or_b32_e32 v18, v26, v24
	v_or_b32_e32 v19, v23, v19
	v_lshlrev_b32_e32 v20, 16, v20
	v_or_b32_e32 v21, v21, v17
	v_min_i32_e32 v17, v6, v22
	v_sub_nc_u32_e32 v22, v1, v15
	v_and_b32_e32 v18, 0xffff, v18
	v_sub_nc_u32_e32 v24, v15, v16
	v_and_b32_e32 v21, 0xffff, v21
	v_lshlrev_b32_e32 v25, 16, v19
	v_sub_nc_u32_e32 v23, v17, v22
	v_cmp_ge_i32_e64 s7, v17, v22
	v_or_b32_e32 v20, v18, v20
	v_min_i32_e32 v19, v17, v24
	v_or_b32_e32 v21, v21, v25
	s_mov_b32 s9, 0
	v_cndmask_b32_e64 v18, 0, v23, s7
	s_mov_b32 s8, exec_lo
	; wave barrier
	ds_store_b64 v2, v[20:21]
	; wave barrier
	v_cmpx_lt_i32_e64 v18, v19
	s_cbranch_execz .LBB71_54
; %bb.51:
	v_add_nc_u32_e32 v20, v7, v16
	v_add3_u32 v21, v7, v15, v17
	.p2align	6
.LBB71_52:                              ; =>This Inner Loop Header: Depth=1
	v_sub_nc_u32_e32 v22, v19, v18
	s_delay_alu instid0(VALU_DEP_1) | instskip(NEXT) | instid1(VALU_DEP_1)
	v_lshrrev_b32_e32 v23, 31, v22
	v_add_nc_u32_e32 v22, v22, v23
	s_delay_alu instid0(VALU_DEP_1) | instskip(NEXT) | instid1(VALU_DEP_1)
	v_ashrrev_i32_e32 v22, 1, v22
	v_add_nc_u32_e32 v22, v22, v18
	s_delay_alu instid0(VALU_DEP_1)
	v_add_nc_u32_e32 v23, v20, v22
	v_xad_u32 v24, v22, -1, v21
	v_add_nc_u32_e32 v25, 1, v22
	ds_load_i8 v23, v23
	ds_load_i8 v24, v24
	s_waitcnt lgkmcnt(0)
	v_cmp_lt_i16_e64 s7, v24, v23
	s_delay_alu instid0(VALU_DEP_1) | instskip(SKIP_1) | instid1(VALU_DEP_1)
	v_cndmask_b32_e64 v19, v19, v22, s7
	v_cndmask_b32_e64 v18, v25, v18, s7
	v_cmp_ge_i32_e64 s7, v18, v19
	s_delay_alu instid0(VALU_DEP_1) | instskip(NEXT) | instid1(SALU_CYCLE_1)
	s_or_b32 s9, s7, s9
	s_and_not1_b32 exec_lo, exec_lo, s9
	s_cbranch_execnz .LBB71_52
; %bb.53:
	s_or_b32 exec_lo, exec_lo, s9
.LBB71_54:
	s_delay_alu instid0(SALU_CYCLE_1) | instskip(SKIP_2) | instid1(VALU_DEP_2)
	s_or_b32 exec_lo, exec_lo, s8
	v_add_nc_u32_e32 v17, v15, v17
	v_add_nc_u32_e32 v16, v18, v16
                                        ; implicit-def: $vgpr20
	v_sub_nc_u32_e32 v17, v17, v18
	s_delay_alu instid0(VALU_DEP_2) | instskip(SKIP_1) | instid1(VALU_DEP_3)
	v_add_nc_u32_e32 v21, v7, v16
	v_cmp_le_i32_e64 s7, v15, v16
	v_add_nc_u32_e32 v22, v7, v17
	v_cmp_gt_i32_e64 s9, v1, v17
	ds_load_u8 v18, v21
	ds_load_u8 v19, v22
	s_waitcnt lgkmcnt(1)
	v_bfe_i32 v18, v18, 0, 8
	s_waitcnt lgkmcnt(0)
	v_bfe_i32 v19, v19, 0, 8
	s_delay_alu instid0(VALU_DEP_1) | instskip(NEXT) | instid1(VALU_DEP_1)
	v_cmp_lt_i16_e64 s8, v19, v18
	s_or_b32 s7, s7, s8
	s_delay_alu instid0(SALU_CYCLE_1) | instskip(NEXT) | instid1(SALU_CYCLE_1)
	s_and_b32 s7, s9, s7
	s_xor_b32 s8, s7, -1
	s_delay_alu instid0(SALU_CYCLE_1) | instskip(NEXT) | instid1(SALU_CYCLE_1)
	s_and_saveexec_b32 s9, s8
	s_xor_b32 s8, exec_lo, s9
	s_cbranch_execz .LBB71_56
; %bb.55:
	ds_load_u8 v20, v21 offset:1
                                        ; implicit-def: $vgpr22
.LBB71_56:
	s_or_saveexec_b32 s8, s8
	v_mov_b32_e32 v21, v19
	s_xor_b32 exec_lo, exec_lo, s8
	s_cbranch_execz .LBB71_58
; %bb.57:
	ds_load_u8 v21, v22 offset:1
	s_waitcnt lgkmcnt(1)
	v_mov_b32_e32 v20, v18
.LBB71_58:
	s_or_b32 exec_lo, exec_lo, s8
	v_add_nc_u32_e32 v22, 1, v16
	v_add_nc_u32_e32 v23, 1, v17
	s_waitcnt lgkmcnt(0)
	v_bfe_i32 v24, v20, 0, 8
	v_bfe_i32 v25, v21, 0, 8
	v_cndmask_b32_e64 v22, v22, v16, s7
	v_cndmask_b32_e64 v23, v17, v23, s7
	s_delay_alu instid0(VALU_DEP_3) | instskip(NEXT) | instid1(VALU_DEP_3)
	v_cmp_lt_i16_e64 s9, v25, v24
                                        ; implicit-def: $vgpr24
	v_cmp_ge_i32_e64 s8, v22, v15
	s_delay_alu instid0(VALU_DEP_3) | instskip(NEXT) | instid1(VALU_DEP_2)
	v_cmp_lt_i32_e64 s10, v23, v1
	s_or_b32 s8, s8, s9
	s_delay_alu instid0(VALU_DEP_1) | instid1(SALU_CYCLE_1)
	s_and_b32 s8, s10, s8
	s_delay_alu instid0(SALU_CYCLE_1) | instskip(NEXT) | instid1(SALU_CYCLE_1)
	s_xor_b32 s9, s8, -1
	s_and_saveexec_b32 s10, s9
	s_delay_alu instid0(SALU_CYCLE_1)
	s_xor_b32 s9, exec_lo, s10
	s_cbranch_execz .LBB71_60
; %bb.59:
	v_add_nc_u32_e32 v24, v7, v22
	ds_load_u8 v24, v24 offset:1
.LBB71_60:
	s_or_saveexec_b32 s9, s9
	v_mov_b32_e32 v25, v21
	s_xor_b32 exec_lo, exec_lo, s9
	s_cbranch_execz .LBB71_62
; %bb.61:
	s_waitcnt lgkmcnt(0)
	v_add_nc_u32_e32 v24, v7, v23
	ds_load_u8 v25, v24 offset:1
	v_mov_b32_e32 v24, v20
.LBB71_62:
	s_or_b32 exec_lo, exec_lo, s9
	v_add_nc_u32_e32 v26, 1, v22
	v_add_nc_u32_e32 v27, 1, v23
	s_waitcnt lgkmcnt(0)
	v_bfe_i32 v28, v24, 0, 8
	v_bfe_i32 v29, v25, 0, 8
	v_cndmask_b32_e64 v26, v26, v22, s8
	v_cndmask_b32_e64 v27, v23, v27, s8
	s_delay_alu instid0(VALU_DEP_3) | instskip(NEXT) | instid1(VALU_DEP_3)
	v_cmp_lt_i16_e64 s10, v29, v28
                                        ; implicit-def: $vgpr28
	v_cmp_ge_i32_e64 s9, v26, v15
	s_delay_alu instid0(VALU_DEP_3) | instskip(NEXT) | instid1(VALU_DEP_2)
	v_cmp_lt_i32_e64 s11, v27, v1
	s_or_b32 s9, s9, s10
	s_delay_alu instid0(VALU_DEP_1) | instid1(SALU_CYCLE_1)
	s_and_b32 s9, s11, s9
	s_delay_alu instid0(SALU_CYCLE_1) | instskip(NEXT) | instid1(SALU_CYCLE_1)
	s_xor_b32 s10, s9, -1
	s_and_saveexec_b32 s11, s10
	s_delay_alu instid0(SALU_CYCLE_1)
	s_xor_b32 s10, exec_lo, s11
	s_cbranch_execz .LBB71_64
; %bb.63:
	v_add_nc_u32_e32 v28, v7, v26
	ds_load_u8 v28, v28 offset:1
.LBB71_64:
	s_or_saveexec_b32 s10, s10
	v_mov_b32_e32 v29, v25
	s_xor_b32 exec_lo, exec_lo, s10
	s_cbranch_execz .LBB71_66
; %bb.65:
	s_waitcnt lgkmcnt(0)
	v_add_nc_u32_e32 v28, v7, v27
	ds_load_u8 v29, v28 offset:1
	v_mov_b32_e32 v28, v24
.LBB71_66:
	s_or_b32 exec_lo, exec_lo, s10
	v_add_nc_u32_e32 v30, 1, v26
	v_add_nc_u32_e32 v31, 1, v27
	s_waitcnt lgkmcnt(0)
	v_bfe_i32 v32, v28, 0, 8
	v_bfe_i32 v33, v29, 0, 8
	v_cndmask_b32_e64 v30, v30, v26, s9
	v_cndmask_b32_e64 v31, v27, v31, s9
	s_delay_alu instid0(VALU_DEP_3) | instskip(NEXT) | instid1(VALU_DEP_3)
	v_cmp_lt_i16_e64 s11, v33, v32
                                        ; implicit-def: $vgpr32
	v_cmp_ge_i32_e64 s10, v30, v15
	s_delay_alu instid0(VALU_DEP_3) | instskip(NEXT) | instid1(VALU_DEP_2)
	v_cmp_lt_i32_e64 s12, v31, v1
	s_or_b32 s10, s10, s11
	s_delay_alu instid0(VALU_DEP_1) | instid1(SALU_CYCLE_1)
	s_and_b32 s10, s12, s10
	s_delay_alu instid0(SALU_CYCLE_1) | instskip(NEXT) | instid1(SALU_CYCLE_1)
	s_xor_b32 s11, s10, -1
	s_and_saveexec_b32 s12, s11
	s_delay_alu instid0(SALU_CYCLE_1)
	s_xor_b32 s11, exec_lo, s12
	s_cbranch_execz .LBB71_68
; %bb.67:
	v_add_nc_u32_e32 v32, v7, v30
	ds_load_u8 v32, v32 offset:1
.LBB71_68:
	s_or_saveexec_b32 s11, s11
	v_mov_b32_e32 v33, v29
	s_xor_b32 exec_lo, exec_lo, s11
	s_cbranch_execz .LBB71_70
; %bb.69:
	s_waitcnt lgkmcnt(0)
	v_add_nc_u32_e32 v32, v7, v31
	ds_load_u8 v33, v32 offset:1
	v_mov_b32_e32 v32, v28
.LBB71_70:
	s_or_b32 exec_lo, exec_lo, s11
	v_add_nc_u32_e32 v34, 1, v30
	v_add_nc_u32_e32 v35, 1, v31
	s_waitcnt lgkmcnt(0)
	v_bfe_i32 v36, v32, 0, 8
	v_bfe_i32 v37, v33, 0, 8
	v_cndmask_b32_e64 v34, v34, v30, s10
	v_cndmask_b32_e64 v35, v31, v35, s10
	s_delay_alu instid0(VALU_DEP_3) | instskip(NEXT) | instid1(VALU_DEP_3)
	v_cmp_lt_i16_e64 s12, v37, v36
                                        ; implicit-def: $vgpr36
	v_cmp_ge_i32_e64 s11, v34, v15
	s_delay_alu instid0(VALU_DEP_3) | instskip(NEXT) | instid1(VALU_DEP_2)
	v_cmp_lt_i32_e64 s13, v35, v1
	s_or_b32 s11, s11, s12
	s_delay_alu instid0(VALU_DEP_1) | instid1(SALU_CYCLE_1)
	s_and_b32 s11, s13, s11
	s_delay_alu instid0(SALU_CYCLE_1) | instskip(NEXT) | instid1(SALU_CYCLE_1)
	s_xor_b32 s12, s11, -1
	s_and_saveexec_b32 s13, s12
	s_delay_alu instid0(SALU_CYCLE_1)
	s_xor_b32 s12, exec_lo, s13
	s_cbranch_execz .LBB71_72
; %bb.71:
	v_add_nc_u32_e32 v36, v7, v34
	ds_load_u8 v36, v36 offset:1
.LBB71_72:
	s_or_saveexec_b32 s12, s12
	v_mov_b32_e32 v37, v33
	s_xor_b32 exec_lo, exec_lo, s12
	s_cbranch_execz .LBB71_74
; %bb.73:
	s_waitcnt lgkmcnt(0)
	v_add_nc_u32_e32 v36, v7, v35
	ds_load_u8 v37, v36 offset:1
	v_mov_b32_e32 v36, v32
.LBB71_74:
	s_or_b32 exec_lo, exec_lo, s12
	v_add_nc_u32_e32 v38, 1, v34
	v_add_nc_u32_e32 v39, 1, v35
	s_waitcnt lgkmcnt(0)
	v_bfe_i32 v40, v36, 0, 8
	v_bfe_i32 v41, v37, 0, 8
	v_cndmask_b32_e64 v38, v38, v34, s11
	v_cndmask_b32_e64 v39, v35, v39, s11
	s_delay_alu instid0(VALU_DEP_3) | instskip(NEXT) | instid1(VALU_DEP_3)
	v_cmp_lt_i16_e64 s13, v41, v40
                                        ; implicit-def: $vgpr41
	v_cmp_ge_i32_e64 s12, v38, v15
	s_delay_alu instid0(VALU_DEP_3) | instskip(NEXT) | instid1(VALU_DEP_2)
	v_cmp_lt_i32_e64 s14, v39, v1
	s_or_b32 s12, s12, s13
	s_delay_alu instid0(VALU_DEP_1) | instid1(SALU_CYCLE_1)
	s_and_b32 s12, s14, s12
	s_delay_alu instid0(SALU_CYCLE_1) | instskip(NEXT) | instid1(SALU_CYCLE_1)
	s_xor_b32 s13, s12, -1
	s_and_saveexec_b32 s14, s13
	s_delay_alu instid0(SALU_CYCLE_1)
	s_xor_b32 s13, exec_lo, s14
	s_cbranch_execz .LBB71_76
; %bb.75:
	v_add_nc_u32_e32 v40, v7, v38
	ds_load_u8 v41, v40 offset:1
.LBB71_76:
	s_or_saveexec_b32 s13, s13
	v_mov_b32_e32 v43, v37
	s_xor_b32 exec_lo, exec_lo, s13
	s_cbranch_execz .LBB71_78
; %bb.77:
	s_waitcnt lgkmcnt(0)
	v_dual_mov_b32 v41, v36 :: v_dual_add_nc_u32 v40, v7, v39
	ds_load_u8 v43, v40 offset:1
.LBB71_78:
	s_or_b32 exec_lo, exec_lo, s13
	v_add_nc_u32_e32 v40, 1, v38
	v_add_nc_u32_e32 v42, 1, v39
	s_waitcnt lgkmcnt(0)
	v_bfe_i32 v46, v41, 0, 8
	s_delay_alu instid0(VALU_DEP_3) | instskip(SKIP_2) | instid1(VALU_DEP_3)
	v_cndmask_b32_e64 v44, v40, v38, s12
	v_bfe_i32 v40, v43, 0, 8
	v_cndmask_b32_e64 v45, v39, v42, s12
	v_cmp_ge_i32_e64 s13, v44, v15
	s_delay_alu instid0(VALU_DEP_3) | instskip(NEXT) | instid1(VALU_DEP_3)
	v_cmp_lt_i16_e64 s14, v40, v46
	v_cmp_lt_i32_e64 s15, v45, v1
                                        ; implicit-def: $vgpr40
	s_delay_alu instid0(VALU_DEP_2)
	s_or_b32 s13, s13, s14
	s_delay_alu instid0(VALU_DEP_1) | instid1(SALU_CYCLE_1)
	s_and_b32 s13, s15, s13
	s_delay_alu instid0(SALU_CYCLE_1) | instskip(NEXT) | instid1(SALU_CYCLE_1)
	s_xor_b32 s14, s13, -1
	s_and_saveexec_b32 s15, s14
	s_delay_alu instid0(SALU_CYCLE_1)
	s_xor_b32 s14, exec_lo, s15
	s_cbranch_execz .LBB71_80
; %bb.79:
	v_add_nc_u32_e32 v40, v7, v44
	ds_load_u8 v40, v40 offset:1
.LBB71_80:
	s_or_saveexec_b32 s14, s14
	v_mov_b32_e32 v42, v43
	s_xor_b32 exec_lo, exec_lo, s14
	s_cbranch_execz .LBB71_82
; %bb.81:
	s_waitcnt lgkmcnt(0)
	v_add_nc_u32_e32 v40, v7, v45
	ds_load_u8 v42, v40 offset:1
	v_mov_b32_e32 v40, v41
.LBB71_82:
	s_or_b32 exec_lo, exec_lo, s14
	v_lshlrev_b16 v14, 8, v14
	v_and_b32_e32 v12, 0xff, v12
	v_lshlrev_b16 v13, 8, v13
	v_and_b32_e32 v11, 0xff, v11
	v_lshlrev_b16 v10, 8, v10
	v_and_b32_e32 v3, 0xff, v3
	v_lshlrev_b16 v9, 8, v9
	v_and_b32_e32 v0, 0xff, v0
	v_add_nc_u32_e32 v46, 1, v45
	v_or_b32_e32 v12, v12, v14
	v_or_b32_e32 v11, v11, v13
	;; [unrolled: 1-line block ×4, first 2 shown]
	v_add_nc_u32_e32 v47, 1, v44
	v_cndmask_b32_e64 v41, v41, v43, s13
	v_cndmask_b32_e64 v43, v44, v45, s13
	v_cndmask_b32_e64 v45, v45, v46, s13
	v_and_b32_e32 v9, 0xffff, v12
	v_lshlrev_b32_e32 v10, 16, v11
	v_and_b32_e32 v3, 0xffff, v3
	v_lshlrev_b32_e32 v0, 16, v0
	v_cndmask_b32_e64 v44, v47, v44, s13
	v_cndmask_b32_e64 v28, v28, v29, s10
	;; [unrolled: 1-line block ×3, first 2 shown]
	v_cmp_lt_i32_e64 s10, v45, v1
	v_or_b32_e32 v1, v9, v10
	v_or_b32_e32 v0, v3, v0
	v_cndmask_b32_e64 v20, v20, v21, s8
	v_cndmask_b32_e64 v21, v22, v23, s8
	;; [unrolled: 1-line block ×3, first 2 shown]
	v_cmp_ge_i32_e64 s8, v44, v15
	s_waitcnt lgkmcnt(0)
	v_bfe_i32 v15, v40, 0, 8
	v_bfe_i32 v19, v42, 0, 8
	; wave barrier
	ds_store_b64 v2, v[0:1]
	v_and_b32_e32 v0, 64, v8
	v_cndmask_b32_e64 v24, v24, v25, s9
	v_cndmask_b32_e64 v25, v26, v27, s9
	v_cmp_lt_i16_e64 s9, v19, v15
	v_cndmask_b32_e64 v11, v16, v17, s7
	v_min_i32_e32 v16, v6, v0
	v_cndmask_b32_e64 v36, v36, v37, s12
	v_cndmask_b32_e64 v37, v38, v39, s12
	s_or_b32 s7, s8, s9
	v_cndmask_b32_e64 v32, v32, v33, s11
	v_add_nc_u32_e32 v0, 32, v16
	s_and_b32 s7, s10, s7
	v_cndmask_b32_e64 v33, v34, v35, s11
	v_cndmask_b32_e64 v3, v44, v45, s7
	v_add_nc_u32_e32 v1, v7, v11
	v_add_nc_u32_e32 v9, v7, v21
	v_min_i32_e32 v15, v6, v0
	v_add_nc_u32_e32 v11, v7, v25
	v_add_nc_u32_e32 v12, v7, v29
	;; [unrolled: 1-line block ×4, first 2 shown]
	; wave barrier
	v_add_nc_u32_e32 v19, v7, v43
	v_add_nc_u32_e32 v21, v7, v3
	ds_load_u8 v3, v1
	ds_load_u8 v10, v9
	;; [unrolled: 1-line block ×8, first 2 shown]
	v_cndmask_b32_e64 v17, v40, v42, s7
	v_lshlrev_b16 v20, 8, v20
	v_and_b32_e32 v18, 0xff, v18
	v_lshlrev_b16 v22, 8, v28
	v_and_b32_e32 v23, 0xff, v24
	v_add_nc_u32_e32 v1, 32, v15
	v_and_b32_e32 v21, 0xff, v32
	v_or_b32_e32 v18, v18, v20
	v_lshlrev_b16 v20, 8, v36
	v_or_b32_e32 v19, v23, v22
	v_and_b32_e32 v8, 56, v8
	v_min_i32_e32 v1, v6, v1
	v_and_b32_e32 v22, 0xff, v41
	v_lshlrev_b16 v17, 8, v17
	v_or_b32_e32 v20, v21, v20
	v_min_i32_e32 v8, v6, v8
	v_sub_nc_u32_e32 v21, v1, v15
	v_and_b32_e32 v18, 0xffff, v18
	v_or_b32_e32 v17, v22, v17
	v_lshlrev_b32_e32 v19, 16, v19
	v_and_b32_e32 v20, 0xffff, v20
	v_sub_nc_u32_e32 v22, v8, v21
	v_sub_nc_u32_e32 v23, v15, v16
	v_lshlrev_b32_e32 v24, 16, v17
	v_cmp_ge_i32_e64 s7, v8, v21
	v_or_b32_e32 v19, v18, v19
	s_mov_b32 s9, 0
	v_min_i32_e32 v18, v8, v23
	v_or_b32_e32 v20, v20, v24
	v_cndmask_b32_e64 v17, 0, v22, s7
	s_mov_b32 s8, exec_lo
	; wave barrier
	ds_store_b64 v2, v[19:20]
	; wave barrier
	v_cmpx_lt_i32_e64 v17, v18
	s_cbranch_execz .LBB71_86
; %bb.83:
	v_add_nc_u32_e32 v19, v7, v16
	v_add3_u32 v20, v7, v15, v8
	.p2align	6
.LBB71_84:                              ; =>This Inner Loop Header: Depth=1
	v_sub_nc_u32_e32 v21, v18, v17
	s_delay_alu instid0(VALU_DEP_1) | instskip(NEXT) | instid1(VALU_DEP_1)
	v_lshrrev_b32_e32 v22, 31, v21
	v_add_nc_u32_e32 v21, v21, v22
	s_delay_alu instid0(VALU_DEP_1) | instskip(NEXT) | instid1(VALU_DEP_1)
	v_ashrrev_i32_e32 v21, 1, v21
	v_add_nc_u32_e32 v21, v21, v17
	s_delay_alu instid0(VALU_DEP_1)
	v_add_nc_u32_e32 v22, v19, v21
	v_xad_u32 v23, v21, -1, v20
	v_add_nc_u32_e32 v24, 1, v21
	ds_load_i8 v22, v22
	ds_load_i8 v23, v23
	s_waitcnt lgkmcnt(0)
	v_cmp_lt_i16_e64 s7, v23, v22
	s_delay_alu instid0(VALU_DEP_1) | instskip(SKIP_1) | instid1(VALU_DEP_1)
	v_cndmask_b32_e64 v18, v18, v21, s7
	v_cndmask_b32_e64 v17, v24, v17, s7
	v_cmp_ge_i32_e64 s7, v17, v18
	s_delay_alu instid0(VALU_DEP_1) | instskip(NEXT) | instid1(SALU_CYCLE_1)
	s_or_b32 s9, s7, s9
	s_and_not1_b32 exec_lo, exec_lo, s9
	s_cbranch_execnz .LBB71_84
; %bb.85:
	s_or_b32 exec_lo, exec_lo, s9
.LBB71_86:
	s_delay_alu instid0(SALU_CYCLE_1) | instskip(SKIP_2) | instid1(VALU_DEP_2)
	s_or_b32 exec_lo, exec_lo, s8
	v_add_nc_u32_e32 v18, v15, v8
	v_add_nc_u32_e32 v8, v17, v16
                                        ; implicit-def: $vgpr19
	v_sub_nc_u32_e32 v16, v18, v17
	s_delay_alu instid0(VALU_DEP_2) | instskip(SKIP_1) | instid1(VALU_DEP_3)
	v_add_nc_u32_e32 v20, v7, v8
	v_cmp_le_i32_e64 s7, v15, v8
	v_add_nc_u32_e32 v21, v7, v16
	v_cmp_gt_i32_e64 s9, v1, v16
	ds_load_u8 v17, v20
	ds_load_u8 v18, v21
	s_waitcnt lgkmcnt(1)
	v_bfe_i32 v17, v17, 0, 8
	s_waitcnt lgkmcnt(0)
	v_bfe_i32 v18, v18, 0, 8
	s_delay_alu instid0(VALU_DEP_1) | instskip(NEXT) | instid1(VALU_DEP_1)
	v_cmp_lt_i16_e64 s8, v18, v17
	s_or_b32 s7, s7, s8
	s_delay_alu instid0(SALU_CYCLE_1) | instskip(NEXT) | instid1(SALU_CYCLE_1)
	s_and_b32 s7, s9, s7
	s_xor_b32 s8, s7, -1
	s_delay_alu instid0(SALU_CYCLE_1) | instskip(NEXT) | instid1(SALU_CYCLE_1)
	s_and_saveexec_b32 s9, s8
	s_xor_b32 s8, exec_lo, s9
	s_cbranch_execz .LBB71_88
; %bb.87:
	ds_load_u8 v19, v20 offset:1
                                        ; implicit-def: $vgpr21
.LBB71_88:
	s_or_saveexec_b32 s8, s8
	v_mov_b32_e32 v20, v18
	s_xor_b32 exec_lo, exec_lo, s8
	s_cbranch_execz .LBB71_90
; %bb.89:
	ds_load_u8 v20, v21 offset:1
	s_waitcnt lgkmcnt(1)
	v_mov_b32_e32 v19, v17
.LBB71_90:
	s_or_b32 exec_lo, exec_lo, s8
	v_add_nc_u32_e32 v21, 1, v8
	v_add_nc_u32_e32 v22, 1, v16
	s_waitcnt lgkmcnt(0)
	v_bfe_i32 v23, v19, 0, 8
	v_bfe_i32 v24, v20, 0, 8
	v_cndmask_b32_e64 v21, v21, v8, s7
	v_cndmask_b32_e64 v22, v16, v22, s7
	s_delay_alu instid0(VALU_DEP_3) | instskip(NEXT) | instid1(VALU_DEP_3)
	v_cmp_lt_i16_e64 s9, v24, v23
                                        ; implicit-def: $vgpr23
	v_cmp_ge_i32_e64 s8, v21, v15
	s_delay_alu instid0(VALU_DEP_3) | instskip(NEXT) | instid1(VALU_DEP_2)
	v_cmp_lt_i32_e64 s10, v22, v1
	s_or_b32 s8, s8, s9
	s_delay_alu instid0(VALU_DEP_1) | instid1(SALU_CYCLE_1)
	s_and_b32 s8, s10, s8
	s_delay_alu instid0(SALU_CYCLE_1) | instskip(NEXT) | instid1(SALU_CYCLE_1)
	s_xor_b32 s9, s8, -1
	s_and_saveexec_b32 s10, s9
	s_delay_alu instid0(SALU_CYCLE_1)
	s_xor_b32 s9, exec_lo, s10
	s_cbranch_execz .LBB71_92
; %bb.91:
	v_add_nc_u32_e32 v23, v7, v21
	ds_load_u8 v23, v23 offset:1
.LBB71_92:
	s_or_saveexec_b32 s9, s9
	v_mov_b32_e32 v24, v20
	s_xor_b32 exec_lo, exec_lo, s9
	s_cbranch_execz .LBB71_94
; %bb.93:
	s_waitcnt lgkmcnt(0)
	v_add_nc_u32_e32 v23, v7, v22
	ds_load_u8 v24, v23 offset:1
	v_mov_b32_e32 v23, v19
.LBB71_94:
	s_or_b32 exec_lo, exec_lo, s9
	v_add_nc_u32_e32 v25, 1, v21
	v_add_nc_u32_e32 v26, 1, v22
	s_waitcnt lgkmcnt(0)
	v_bfe_i32 v27, v23, 0, 8
	v_bfe_i32 v28, v24, 0, 8
	v_cndmask_b32_e64 v25, v25, v21, s8
	v_cndmask_b32_e64 v26, v22, v26, s8
	s_delay_alu instid0(VALU_DEP_3) | instskip(NEXT) | instid1(VALU_DEP_3)
	v_cmp_lt_i16_e64 s10, v28, v27
                                        ; implicit-def: $vgpr27
	v_cmp_ge_i32_e64 s9, v25, v15
	s_delay_alu instid0(VALU_DEP_3) | instskip(NEXT) | instid1(VALU_DEP_2)
	v_cmp_lt_i32_e64 s11, v26, v1
	s_or_b32 s9, s9, s10
	s_delay_alu instid0(VALU_DEP_1) | instid1(SALU_CYCLE_1)
	s_and_b32 s9, s11, s9
	s_delay_alu instid0(SALU_CYCLE_1) | instskip(NEXT) | instid1(SALU_CYCLE_1)
	s_xor_b32 s10, s9, -1
	s_and_saveexec_b32 s11, s10
	s_delay_alu instid0(SALU_CYCLE_1)
	s_xor_b32 s10, exec_lo, s11
	s_cbranch_execz .LBB71_96
; %bb.95:
	v_add_nc_u32_e32 v27, v7, v25
	ds_load_u8 v27, v27 offset:1
.LBB71_96:
	s_or_saveexec_b32 s10, s10
	v_mov_b32_e32 v28, v24
	s_xor_b32 exec_lo, exec_lo, s10
	s_cbranch_execz .LBB71_98
; %bb.97:
	s_waitcnt lgkmcnt(0)
	v_add_nc_u32_e32 v27, v7, v26
	ds_load_u8 v28, v27 offset:1
	v_mov_b32_e32 v27, v23
.LBB71_98:
	s_or_b32 exec_lo, exec_lo, s10
	v_add_nc_u32_e32 v29, 1, v25
	v_add_nc_u32_e32 v30, 1, v26
	s_waitcnt lgkmcnt(0)
	v_bfe_i32 v31, v27, 0, 8
	v_bfe_i32 v32, v28, 0, 8
	v_cndmask_b32_e64 v29, v29, v25, s9
	v_cndmask_b32_e64 v30, v26, v30, s9
	s_delay_alu instid0(VALU_DEP_3) | instskip(NEXT) | instid1(VALU_DEP_3)
	v_cmp_lt_i16_e64 s11, v32, v31
                                        ; implicit-def: $vgpr31
	v_cmp_ge_i32_e64 s10, v29, v15
	s_delay_alu instid0(VALU_DEP_3) | instskip(NEXT) | instid1(VALU_DEP_2)
	v_cmp_lt_i32_e64 s12, v30, v1
	s_or_b32 s10, s10, s11
	s_delay_alu instid0(VALU_DEP_1) | instid1(SALU_CYCLE_1)
	s_and_b32 s10, s12, s10
	s_delay_alu instid0(SALU_CYCLE_1) | instskip(NEXT) | instid1(SALU_CYCLE_1)
	s_xor_b32 s11, s10, -1
	s_and_saveexec_b32 s12, s11
	s_delay_alu instid0(SALU_CYCLE_1)
	s_xor_b32 s11, exec_lo, s12
	s_cbranch_execz .LBB71_100
; %bb.99:
	v_add_nc_u32_e32 v31, v7, v29
	ds_load_u8 v31, v31 offset:1
.LBB71_100:
	s_or_saveexec_b32 s11, s11
	v_mov_b32_e32 v32, v28
	s_xor_b32 exec_lo, exec_lo, s11
	s_cbranch_execz .LBB71_102
; %bb.101:
	s_waitcnt lgkmcnt(0)
	v_add_nc_u32_e32 v31, v7, v30
	ds_load_u8 v32, v31 offset:1
	v_mov_b32_e32 v31, v27
.LBB71_102:
	s_or_b32 exec_lo, exec_lo, s11
	v_add_nc_u32_e32 v33, 1, v29
	v_add_nc_u32_e32 v34, 1, v30
	s_waitcnt lgkmcnt(0)
	v_bfe_i32 v35, v31, 0, 8
	v_bfe_i32 v36, v32, 0, 8
	v_cndmask_b32_e64 v33, v33, v29, s10
	v_cndmask_b32_e64 v34, v30, v34, s10
	s_delay_alu instid0(VALU_DEP_3) | instskip(NEXT) | instid1(VALU_DEP_3)
	v_cmp_lt_i16_e64 s12, v36, v35
                                        ; implicit-def: $vgpr35
	v_cmp_ge_i32_e64 s11, v33, v15
	s_delay_alu instid0(VALU_DEP_3) | instskip(NEXT) | instid1(VALU_DEP_2)
	v_cmp_lt_i32_e64 s13, v34, v1
	s_or_b32 s11, s11, s12
	s_delay_alu instid0(VALU_DEP_1) | instid1(SALU_CYCLE_1)
	s_and_b32 s11, s13, s11
	s_delay_alu instid0(SALU_CYCLE_1) | instskip(NEXT) | instid1(SALU_CYCLE_1)
	s_xor_b32 s12, s11, -1
	s_and_saveexec_b32 s13, s12
	s_delay_alu instid0(SALU_CYCLE_1)
	s_xor_b32 s12, exec_lo, s13
	s_cbranch_execz .LBB71_104
; %bb.103:
	v_add_nc_u32_e32 v35, v7, v33
	ds_load_u8 v35, v35 offset:1
.LBB71_104:
	s_or_saveexec_b32 s12, s12
	v_mov_b32_e32 v36, v32
	s_xor_b32 exec_lo, exec_lo, s12
	s_cbranch_execz .LBB71_106
; %bb.105:
	s_waitcnt lgkmcnt(0)
	v_add_nc_u32_e32 v35, v7, v34
	ds_load_u8 v36, v35 offset:1
	v_mov_b32_e32 v35, v31
.LBB71_106:
	s_or_b32 exec_lo, exec_lo, s12
	v_add_nc_u32_e32 v37, 1, v33
	v_add_nc_u32_e32 v38, 1, v34
	s_waitcnt lgkmcnt(0)
	v_bfe_i32 v39, v35, 0, 8
	v_bfe_i32 v40, v36, 0, 8
	v_cndmask_b32_e64 v37, v37, v33, s11
	v_cndmask_b32_e64 v38, v34, v38, s11
	s_delay_alu instid0(VALU_DEP_3) | instskip(NEXT) | instid1(VALU_DEP_3)
	v_cmp_lt_i16_e64 s13, v40, v39
                                        ; implicit-def: $vgpr40
	v_cmp_ge_i32_e64 s12, v37, v15
	s_delay_alu instid0(VALU_DEP_3) | instskip(NEXT) | instid1(VALU_DEP_2)
	v_cmp_lt_i32_e64 s14, v38, v1
	s_or_b32 s12, s12, s13
	s_delay_alu instid0(VALU_DEP_1) | instid1(SALU_CYCLE_1)
	s_and_b32 s12, s14, s12
	s_delay_alu instid0(SALU_CYCLE_1) | instskip(NEXT) | instid1(SALU_CYCLE_1)
	s_xor_b32 s13, s12, -1
	s_and_saveexec_b32 s14, s13
	s_delay_alu instid0(SALU_CYCLE_1)
	s_xor_b32 s13, exec_lo, s14
	s_cbranch_execz .LBB71_108
; %bb.107:
	v_add_nc_u32_e32 v39, v7, v37
	ds_load_u8 v40, v39 offset:1
.LBB71_108:
	s_or_saveexec_b32 s13, s13
	v_mov_b32_e32 v42, v36
	s_xor_b32 exec_lo, exec_lo, s13
	s_cbranch_execz .LBB71_110
; %bb.109:
	v_add_nc_u32_e32 v39, v7, v38
	s_waitcnt lgkmcnt(0)
	v_mov_b32_e32 v40, v35
	ds_load_u8 v42, v39 offset:1
.LBB71_110:
	s_or_b32 exec_lo, exec_lo, s13
	v_add_nc_u32_e32 v39, 1, v37
	v_add_nc_u32_e32 v41, 1, v38
	s_waitcnt lgkmcnt(0)
	v_bfe_i32 v45, v40, 0, 8
	s_delay_alu instid0(VALU_DEP_3) | instskip(SKIP_2) | instid1(VALU_DEP_3)
	v_cndmask_b32_e64 v43, v39, v37, s12
	v_bfe_i32 v39, v42, 0, 8
	v_cndmask_b32_e64 v44, v38, v41, s12
	v_cmp_ge_i32_e64 s13, v43, v15
	s_delay_alu instid0(VALU_DEP_3) | instskip(NEXT) | instid1(VALU_DEP_3)
	v_cmp_lt_i16_e64 s14, v39, v45
	v_cmp_lt_i32_e64 s15, v44, v1
                                        ; implicit-def: $vgpr39
	s_delay_alu instid0(VALU_DEP_2)
	s_or_b32 s13, s13, s14
	s_delay_alu instid0(VALU_DEP_1) | instid1(SALU_CYCLE_1)
	s_and_b32 s13, s15, s13
	s_delay_alu instid0(SALU_CYCLE_1) | instskip(NEXT) | instid1(SALU_CYCLE_1)
	s_xor_b32 s14, s13, -1
	s_and_saveexec_b32 s15, s14
	s_delay_alu instid0(SALU_CYCLE_1)
	s_xor_b32 s14, exec_lo, s15
	s_cbranch_execz .LBB71_112
; %bb.111:
	v_add_nc_u32_e32 v39, v7, v43
	ds_load_u8 v39, v39 offset:1
.LBB71_112:
	s_or_saveexec_b32 s14, s14
	v_mov_b32_e32 v41, v42
	s_xor_b32 exec_lo, exec_lo, s14
	s_cbranch_execz .LBB71_114
; %bb.113:
	s_waitcnt lgkmcnt(0)
	v_add_nc_u32_e32 v39, v7, v44
	ds_load_u8 v41, v39 offset:1
	v_mov_b32_e32 v39, v40
.LBB71_114:
	s_or_b32 exec_lo, exec_lo, s14
	v_add_nc_u32_e32 v46, 1, v43
	v_lshlrev_b16 v14, 8, v14
	v_and_b32_e32 v12, 0xff, v12
	v_lshlrev_b16 v13, 8, v13
	v_and_b32_e32 v11, 0xff, v11
	;; [unrolled: 2-line block ×4, first 2 shown]
	v_add_nc_u32_e32 v45, 1, v44
	v_cndmask_b32_e64 v40, v40, v42, s13
	v_cndmask_b32_e64 v42, v43, v44, s13
	;; [unrolled: 1-line block ×3, first 2 shown]
	v_or_b32_e32 v12, v12, v14
	v_or_b32_e32 v11, v11, v13
	;; [unrolled: 1-line block ×4, first 2 shown]
	v_cndmask_b32_e64 v44, v44, v45, s13
	v_cndmask_b32_e64 v19, v19, v20, s8
	v_cndmask_b32_e64 v20, v21, v22, s8
	v_cndmask_b32_e64 v17, v17, v18, s7
	v_cmp_ge_i32_e64 s8, v43, v15
	s_waitcnt lgkmcnt(0)
	v_bfe_i32 v15, v39, 0, 8
	v_bfe_i32 v18, v41, 0, 8
	v_and_b32_e32 v9, 0xffff, v12
	v_lshlrev_b32_e32 v10, 16, v11
	v_and_b32_e32 v3, 0xffff, v3
	v_lshlrev_b32_e32 v0, 16, v0
	v_cndmask_b32_e64 v27, v27, v28, s10
	v_cndmask_b32_e64 v28, v29, v30, s10
	v_cndmask_b32_e64 v23, v23, v24, s9
	v_cndmask_b32_e64 v24, v25, v26, s9
	v_cmp_lt_i16_e64 s9, v18, v15
	v_cmp_lt_i32_e64 s10, v44, v1
	v_or_b32_e32 v1, v9, v10
	v_or_b32_e32 v0, v3, v0
	v_min_i32_e32 v15, 0, v6
	v_cndmask_b32_e64 v8, v8, v16, s7
	s_or_b32 s7, s8, s9
	; wave barrier
	ds_store_b64 v2, v[0:1]
	v_add_nc_u32_e32 v0, 64, v15
	s_and_b32 s7, s10, s7
	v_cndmask_b32_e64 v35, v35, v36, s12
	v_cndmask_b32_e64 v36, v37, v38, s12
	;; [unrolled: 1-line block ×5, first 2 shown]
	v_add_nc_u32_e32 v1, v7, v8
	v_add_nc_u32_e32 v9, v7, v20
	v_min_i32_e32 v0, v6, v0
	v_add_nc_u32_e32 v11, v7, v24
	v_add_nc_u32_e32 v12, v7, v28
	;; [unrolled: 1-line block ×4, first 2 shown]
	; wave barrier
	v_add_nc_u32_e32 v18, v7, v42
	v_add_nc_u32_e32 v3, v7, v3
	ds_load_u8 v8, v1
	ds_load_u8 v10, v9
	ds_load_u8 v1, v11
	ds_load_u8 v9, v12
	ds_load_u8 v12, v13
	ds_load_u8 v14, v14
	ds_load_u8 v11, v18
	ds_load_u8 v13, v3
	v_cndmask_b32_e64 v16, v39, v41, s7
	v_lshlrev_b16 v19, 8, v19
	v_and_b32_e32 v17, 0xff, v17
	v_lshlrev_b16 v3, 8, v27
	v_and_b32_e32 v18, 0xff, v23
	v_add_nc_u32_e32 v20, 64, v0
	v_and_b32_e32 v21, 0xff, v31
	v_or_b32_e32 v17, v17, v19
	v_lshlrev_b16 v19, 8, v35
	v_or_b32_e32 v18, v18, v3
	v_min_i32_e32 v3, v6, v20
	v_and_b32_e32 v20, 0xff, v40
	v_lshlrev_b16 v16, 8, v16
	v_or_b32_e32 v19, v21, v19
	v_min_i32_e32 v6, v6, v4
	v_sub_nc_u32_e32 v21, v3, v0
	v_and_b32_e32 v17, 0xffff, v17
	v_or_b32_e32 v16, v20, v16
	v_lshlrev_b32_e32 v18, 16, v18
	v_and_b32_e32 v19, 0xffff, v19
	v_sub_nc_u32_e32 v20, v6, v21
	v_sub_nc_u32_e32 v22, v0, v15
	v_lshlrev_b32_e32 v23, 16, v16
	v_cmp_ge_i32_e64 s7, v6, v21
	v_or_b32_e32 v18, v17, v18
	s_mov_b32 s9, 0
	v_min_i32_e32 v17, v6, v22
	v_or_b32_e32 v19, v19, v23
	v_cndmask_b32_e64 v16, 0, v20, s7
	s_mov_b32 s8, exec_lo
	; wave barrier
	ds_store_b64 v2, v[18:19]
	; wave barrier
	v_cmpx_lt_i32_e64 v16, v17
	s_cbranch_execz .LBB71_118
; %bb.115:
	v_add_nc_u32_e32 v18, v7, v15
	v_add3_u32 v19, v7, v0, v6
	.p2align	6
.LBB71_116:                             ; =>This Inner Loop Header: Depth=1
	v_sub_nc_u32_e32 v20, v17, v16
	s_delay_alu instid0(VALU_DEP_1) | instskip(NEXT) | instid1(VALU_DEP_1)
	v_lshrrev_b32_e32 v21, 31, v20
	v_add_nc_u32_e32 v20, v20, v21
	s_delay_alu instid0(VALU_DEP_1) | instskip(NEXT) | instid1(VALU_DEP_1)
	v_ashrrev_i32_e32 v20, 1, v20
	v_add_nc_u32_e32 v20, v20, v16
	s_delay_alu instid0(VALU_DEP_1)
	v_add_nc_u32_e32 v21, v18, v20
	v_xad_u32 v22, v20, -1, v19
	v_add_nc_u32_e32 v23, 1, v20
	ds_load_i8 v21, v21
	ds_load_i8 v22, v22
	s_waitcnt lgkmcnt(0)
	v_cmp_lt_i16_e64 s7, v22, v21
	s_delay_alu instid0(VALU_DEP_1) | instskip(SKIP_1) | instid1(VALU_DEP_1)
	v_cndmask_b32_e64 v17, v17, v20, s7
	v_cndmask_b32_e64 v16, v23, v16, s7
	v_cmp_ge_i32_e64 s7, v16, v17
	s_delay_alu instid0(VALU_DEP_1) | instskip(NEXT) | instid1(SALU_CYCLE_1)
	s_or_b32 s9, s7, s9
	s_and_not1_b32 exec_lo, exec_lo, s9
	s_cbranch_execnz .LBB71_116
; %bb.117:
	s_or_b32 exec_lo, exec_lo, s9
.LBB71_118:
	s_delay_alu instid0(SALU_CYCLE_1) | instskip(SKIP_2) | instid1(VALU_DEP_2)
	s_or_b32 exec_lo, exec_lo, s8
	v_add_nc_u32_e32 v17, v0, v6
	v_add_nc_u32_e32 v6, v16, v15
                                        ; implicit-def: $vgpr20
	v_sub_nc_u32_e32 v15, v17, v16
	s_delay_alu instid0(VALU_DEP_2) | instskip(SKIP_1) | instid1(VALU_DEP_3)
	v_add_nc_u32_e32 v19, v7, v6
	v_cmp_le_i32_e64 s7, v0, v6
	v_add_nc_u32_e32 v18, v7, v15
	v_cmp_gt_i32_e64 s9, v3, v15
	ds_load_u8 v16, v19
	ds_load_u8 v17, v18
	s_waitcnt lgkmcnt(1)
	v_bfe_i32 v16, v16, 0, 8
	s_waitcnt lgkmcnt(0)
	v_bfe_i32 v17, v17, 0, 8
	s_delay_alu instid0(VALU_DEP_1) | instskip(NEXT) | instid1(VALU_DEP_1)
	v_cmp_lt_i16_e64 s8, v17, v16
	s_or_b32 s7, s7, s8
	s_delay_alu instid0(SALU_CYCLE_1) | instskip(NEXT) | instid1(SALU_CYCLE_1)
	s_and_b32 s7, s9, s7
	s_xor_b32 s8, s7, -1
	s_delay_alu instid0(SALU_CYCLE_1) | instskip(NEXT) | instid1(SALU_CYCLE_1)
	s_and_saveexec_b32 s9, s8
	s_xor_b32 s8, exec_lo, s9
	s_cbranch_execz .LBB71_120
; %bb.119:
	ds_load_u8 v20, v19 offset:1
                                        ; implicit-def: $vgpr18
.LBB71_120:
	s_or_saveexec_b32 s8, s8
	v_mov_b32_e32 v21, v17
	s_xor_b32 exec_lo, exec_lo, s8
	s_cbranch_execz .LBB71_122
; %bb.121:
	ds_load_u8 v21, v18 offset:1
	s_waitcnt lgkmcnt(1)
	v_mov_b32_e32 v20, v16
.LBB71_122:
	s_or_b32 exec_lo, exec_lo, s8
	v_add_nc_u32_e32 v18, 1, v6
	v_add_nc_u32_e32 v19, 1, v15
	s_waitcnt lgkmcnt(0)
	v_bfe_i32 v24, v20, 0, 8
	s_delay_alu instid0(VALU_DEP_3) | instskip(SKIP_2) | instid1(VALU_DEP_3)
	v_cndmask_b32_e64 v22, v18, v6, s7
	v_bfe_i32 v18, v21, 0, 8
	v_cndmask_b32_e64 v23, v15, v19, s7
	v_cmp_ge_i32_e64 s8, v22, v0
	s_delay_alu instid0(VALU_DEP_3) | instskip(NEXT) | instid1(VALU_DEP_3)
	v_cmp_lt_i16_e64 s9, v18, v24
	v_cmp_lt_i32_e64 s10, v23, v3
                                        ; implicit-def: $vgpr24
	s_delay_alu instid0(VALU_DEP_2)
	s_or_b32 s8, s8, s9
	s_delay_alu instid0(VALU_DEP_1) | instid1(SALU_CYCLE_1)
	s_and_b32 s9, s10, s8
	s_delay_alu instid0(SALU_CYCLE_1) | instskip(NEXT) | instid1(SALU_CYCLE_1)
	s_xor_b32 s8, s9, -1
	s_and_saveexec_b32 s10, s8
	s_delay_alu instid0(SALU_CYCLE_1)
	s_xor_b32 s8, exec_lo, s10
	s_cbranch_execz .LBB71_124
; %bb.123:
	v_add_nc_u32_e32 v18, v7, v22
	ds_load_u8 v24, v18 offset:1
.LBB71_124:
	s_or_saveexec_b32 s8, s8
	v_mov_b32_e32 v25, v21
	s_xor_b32 exec_lo, exec_lo, s8
	s_cbranch_execz .LBB71_126
; %bb.125:
	v_add_nc_u32_e32 v18, v7, v23
	s_waitcnt lgkmcnt(0)
	v_mov_b32_e32 v24, v20
	ds_load_u8 v25, v18 offset:1
.LBB71_126:
	s_or_b32 exec_lo, exec_lo, s8
	v_add_nc_u32_e32 v18, 1, v22
	v_add_nc_u32_e32 v19, 1, v23
	s_waitcnt lgkmcnt(0)
	v_bfe_i32 v26, v24, 0, 8
	v_bfe_i32 v27, v25, 0, 8
	v_cndmask_b32_e64 v18, v18, v22, s9
	v_cndmask_b32_e64 v19, v23, v19, s9
	s_delay_alu instid0(VALU_DEP_3) | instskip(NEXT) | instid1(VALU_DEP_3)
	v_cmp_lt_i16_e64 s10, v27, v26
                                        ; implicit-def: $vgpr26
	v_cmp_ge_i32_e64 s8, v18, v0
	s_delay_alu instid0(VALU_DEP_3) | instskip(NEXT) | instid1(VALU_DEP_2)
	v_cmp_lt_i32_e64 s11, v19, v3
	s_or_b32 s8, s8, s10
	s_delay_alu instid0(VALU_DEP_1) | instid1(SALU_CYCLE_1)
	s_and_b32 s8, s11, s8
	s_delay_alu instid0(SALU_CYCLE_1) | instskip(NEXT) | instid1(SALU_CYCLE_1)
	s_xor_b32 s10, s8, -1
	s_and_saveexec_b32 s11, s10
	s_delay_alu instid0(SALU_CYCLE_1)
	s_xor_b32 s10, exec_lo, s11
	s_cbranch_execz .LBB71_128
; %bb.127:
	v_add_nc_u32_e32 v26, v7, v18
	ds_load_u8 v26, v26 offset:1
.LBB71_128:
	s_or_saveexec_b32 s10, s10
	v_mov_b32_e32 v27, v25
	s_xor_b32 exec_lo, exec_lo, s10
	s_cbranch_execz .LBB71_130
; %bb.129:
	s_waitcnt lgkmcnt(0)
	v_add_nc_u32_e32 v26, v7, v19
	ds_load_u8 v27, v26 offset:1
	v_mov_b32_e32 v26, v24
.LBB71_130:
	s_or_b32 exec_lo, exec_lo, s10
	v_add_nc_u32_e32 v28, 1, v18
	v_add_nc_u32_e32 v29, 1, v19
	s_waitcnt lgkmcnt(0)
	v_bfe_i32 v30, v26, 0, 8
	v_bfe_i32 v31, v27, 0, 8
	v_cndmask_b32_e64 v28, v28, v18, s8
	v_cndmask_b32_e64 v29, v19, v29, s8
	s_delay_alu instid0(VALU_DEP_3) | instskip(NEXT) | instid1(VALU_DEP_3)
	v_cmp_lt_i16_e64 s11, v31, v30
                                        ; implicit-def: $vgpr30
	v_cmp_ge_i32_e64 s10, v28, v0
	s_delay_alu instid0(VALU_DEP_3) | instskip(NEXT) | instid1(VALU_DEP_2)
	v_cmp_lt_i32_e64 s12, v29, v3
	s_or_b32 s10, s10, s11
	s_delay_alu instid0(VALU_DEP_1) | instid1(SALU_CYCLE_1)
	s_and_b32 s10, s12, s10
	s_delay_alu instid0(SALU_CYCLE_1) | instskip(NEXT) | instid1(SALU_CYCLE_1)
	s_xor_b32 s11, s10, -1
	s_and_saveexec_b32 s12, s11
	s_delay_alu instid0(SALU_CYCLE_1)
	s_xor_b32 s11, exec_lo, s12
	s_cbranch_execz .LBB71_132
; %bb.131:
	v_add_nc_u32_e32 v30, v7, v28
	ds_load_u8 v30, v30 offset:1
.LBB71_132:
	s_or_saveexec_b32 s11, s11
	v_mov_b32_e32 v31, v27
	s_xor_b32 exec_lo, exec_lo, s11
	s_cbranch_execz .LBB71_134
; %bb.133:
	s_waitcnt lgkmcnt(0)
	v_add_nc_u32_e32 v30, v7, v29
	ds_load_u8 v31, v30 offset:1
	v_mov_b32_e32 v30, v26
.LBB71_134:
	s_or_b32 exec_lo, exec_lo, s11
	v_add_nc_u32_e32 v32, 1, v28
	v_add_nc_u32_e32 v33, 1, v29
	s_waitcnt lgkmcnt(0)
	v_bfe_i32 v34, v30, 0, 8
	v_bfe_i32 v35, v31, 0, 8
	v_cndmask_b32_e64 v32, v32, v28, s10
	v_cndmask_b32_e64 v33, v29, v33, s10
	s_delay_alu instid0(VALU_DEP_3) | instskip(NEXT) | instid1(VALU_DEP_3)
	v_cmp_lt_i16_e64 s12, v35, v34
                                        ; implicit-def: $vgpr35
	v_cmp_ge_i32_e64 s11, v32, v0
	s_delay_alu instid0(VALU_DEP_3) | instskip(NEXT) | instid1(VALU_DEP_2)
	v_cmp_lt_i32_e64 s13, v33, v3
	s_or_b32 s11, s11, s12
	s_delay_alu instid0(VALU_DEP_1) | instid1(SALU_CYCLE_1)
	s_and_b32 s11, s13, s11
	s_delay_alu instid0(SALU_CYCLE_1) | instskip(NEXT) | instid1(SALU_CYCLE_1)
	s_xor_b32 s12, s11, -1
	s_and_saveexec_b32 s13, s12
	s_delay_alu instid0(SALU_CYCLE_1)
	s_xor_b32 s12, exec_lo, s13
	s_cbranch_execz .LBB71_136
; %bb.135:
	v_add_nc_u32_e32 v34, v7, v32
	ds_load_u8 v35, v34 offset:1
.LBB71_136:
	s_or_saveexec_b32 s12, s12
	v_mov_b32_e32 v36, v31
	s_xor_b32 exec_lo, exec_lo, s12
	s_cbranch_execz .LBB71_138
; %bb.137:
	s_waitcnt lgkmcnt(0)
	v_dual_mov_b32 v35, v30 :: v_dual_add_nc_u32 v34, v7, v33
	ds_load_u8 v36, v34 offset:1
.LBB71_138:
	s_or_b32 exec_lo, exec_lo, s12
	v_add_nc_u32_e32 v34, 1, v32
	v_add_nc_u32_e32 v37, 1, v33
	s_waitcnt lgkmcnt(0)
	v_bfe_i32 v38, v35, 0, 8
                                        ; implicit-def: $vgpr43
	s_delay_alu instid0(VALU_DEP_3) | instskip(SKIP_2) | instid1(VALU_DEP_3)
	v_cndmask_b32_e64 v40, v34, v32, s11
	v_bfe_i32 v34, v36, 0, 8
	v_cndmask_b32_e64 v41, v33, v37, s11
	v_cmp_ge_i32_e64 s12, v40, v0
	s_delay_alu instid0(VALU_DEP_3) | instskip(NEXT) | instid1(VALU_DEP_3)
	v_cmp_lt_i16_e64 s13, v34, v38
	v_cmp_lt_i32_e64 s14, v41, v3
	s_delay_alu instid0(VALU_DEP_2)
	s_or_b32 s12, s12, s13
	s_delay_alu instid0(VALU_DEP_1) | instid1(SALU_CYCLE_1)
	s_and_b32 s12, s14, s12
	s_delay_alu instid0(SALU_CYCLE_1) | instskip(NEXT) | instid1(SALU_CYCLE_1)
	s_xor_b32 s13, s12, -1
	s_and_saveexec_b32 s14, s13
	s_delay_alu instid0(SALU_CYCLE_1)
	s_xor_b32 s13, exec_lo, s14
	s_cbranch_execz .LBB71_140
; %bb.139:
	v_add_nc_u32_e32 v34, v7, v40
	ds_load_u8 v43, v34 offset:1
.LBB71_140:
	s_or_saveexec_b32 s13, s13
	v_mov_b32_e32 v44, v36
	s_xor_b32 exec_lo, exec_lo, s13
	s_cbranch_execz .LBB71_142
; %bb.141:
	v_add_nc_u32_e32 v34, v7, v41
	s_waitcnt lgkmcnt(0)
	v_mov_b32_e32 v43, v35
	ds_load_u8 v44, v34 offset:1
.LBB71_142:
	s_or_b32 exec_lo, exec_lo, s13
	v_add_nc_u32_e32 v34, 1, v40
	v_add_nc_u32_e32 v37, 1, v41
	s_waitcnt lgkmcnt(0)
	v_bfe_i32 v38, v43, 0, 8
	v_bfe_i32 v39, v44, 0, 8
	v_cndmask_b32_e64 v45, v34, v40, s12
	v_cndmask_b32_e64 v34, v41, v37, s12
                                        ; implicit-def: $vgpr37
	s_delay_alu instid0(VALU_DEP_3) | instskip(NEXT) | instid1(VALU_DEP_3)
	v_cmp_lt_i16_e64 s14, v39, v38
                                        ; implicit-def: $vgpr38
	v_cmp_ge_i32_e64 s13, v45, v0
	s_delay_alu instid0(VALU_DEP_3) | instskip(NEXT) | instid1(VALU_DEP_2)
	v_cmp_lt_i32_e64 s15, v34, v3
	s_or_b32 s13, s13, s14
	s_delay_alu instid0(VALU_DEP_1) | instid1(SALU_CYCLE_1)
	s_and_b32 s13, s15, s13
	s_delay_alu instid0(SALU_CYCLE_1) | instskip(NEXT) | instid1(SALU_CYCLE_1)
	s_xor_b32 s14, s13, -1
	s_and_saveexec_b32 s15, s14
	s_delay_alu instid0(SALU_CYCLE_1)
	s_xor_b32 s14, exec_lo, s15
	s_cbranch_execz .LBB71_144
; %bb.143:
	v_add_nc_u32_e32 v37, v7, v45
	ds_load_u8 v38, v37 offset:1
	v_add_nc_u32_e32 v37, 1, v45
.LBB71_144:
	s_or_saveexec_b32 s14, s14
	v_dual_mov_b32 v39, v45 :: v_dual_mov_b32 v42, v44
	s_xor_b32 exec_lo, exec_lo, s14
	s_cbranch_execz .LBB71_146
; %bb.145:
	s_waitcnt lgkmcnt(0)
	v_dual_mov_b32 v39, v34 :: v_dual_add_nc_u32 v38, 1, v34
	s_delay_alu instid0(VALU_DEP_1)
	v_dual_mov_b32 v34, v38 :: v_dual_add_nc_u32 v37, v7, v34
	v_mov_b32_e32 v38, v43
	ds_load_u8 v42, v37 offset:1
	v_mov_b32_e32 v37, v45
.LBB71_146:
	s_or_b32 exec_lo, exec_lo, s14
	v_lshlrev_b16 v14, 8, v14
	v_and_b32_e32 v12, 0xff, v12
	v_lshlrev_b16 v13, 8, v13
	v_and_b32_e32 v11, 0xff, v11
	;; [unrolled: 2-line block ×4, first 2 shown]
	v_or_b32_e32 v12, v12, v14
	v_or_b32_e32 v11, v11, v13
	;; [unrolled: 1-line block ×3, first 2 shown]
	v_cndmask_b32_e64 v6, v6, v15, s7
	v_or_b32_e32 v1, v1, v9
	v_and_b32_e32 v10, 0xffff, v12
	v_lshlrev_b32_e32 v11, 16, v11
	v_and_b32_e32 v8, 0xffff, v8
	v_cndmask_b32_e64 v16, v16, v17, s7
	v_lshlrev_b32_e32 v12, 16, v1
	v_cndmask_b32_e64 v17, v20, v21, s9
	v_cndmask_b32_e64 v22, v22, v23, s9
	v_cmp_lt_i32_e64 s7, v34, v3
	v_cmp_ge_i32_e64 s9, v37, v0
	v_or_b32_e32 v1, v10, v11
	v_or_b32_e32 v0, v8, v12
	v_add_nc_u32_e32 v3, v7, v6
	; wave barrier
	s_waitcnt lgkmcnt(0)
	v_bfe_i32 v9, v38, 0, 8
	ds_store_b64 v2, v[0:1]
	; wave barrier
	ds_load_u8 v0, v3
	v_bfe_i32 v13, v42, 0, 8
	v_cndmask_b32_e64 v21, v26, v27, s10
	v_cndmask_b32_e64 v28, v28, v29, s10
	;; [unrolled: 1-line block ×4, first 2 shown]
	v_cmp_lt_i16_e64 s10, v13, v9
	v_cndmask_b32_e64 v24, v30, v31, s11
	v_cndmask_b32_e64 v30, v32, v33, s11
	;; [unrolled: 1-line block ×3, first 2 shown]
	v_add_nc_u32_e32 v6, v7, v22
	s_or_b32 s9, s9, s10
	v_add_nc_u32_e32 v1, v7, v1
	s_and_b32 s7, s7, s9
	v_add_nc_u32_e32 v8, v7, v28
	v_cndmask_b32_e64 v3, v37, v34, s7
	v_add_nc_u32_e32 v9, v7, v30
	v_add_nc_u32_e32 v10, v7, v27
	;; [unrolled: 1-line block ×3, first 2 shown]
	v_and_b32_e32 v12, 0xff, v16
	s_waitcnt lgkmcnt(0)
	v_add_nc_u16 v0, v0, v16
	v_add_nc_u32_e32 v3, v7, v3
	ds_load_u8 v6, v6
	ds_load_u8 v1, v1
	;; [unrolled: 1-line block ×7, first 2 shown]
	v_lshlrev_b16 v11, 8, v17
	v_lshlrev_b16 v13, 8, v21
	v_and_b32_e32 v14, 0xff, v20
	v_and_b32_e32 v0, 0xff, v0
	v_cndmask_b32_e64 v25, v35, v36, s12
	v_cndmask_b32_e64 v26, v43, v44, s13
	;; [unrolled: 1-line block ×3, first 2 shown]
	v_or_b32_e32 v12, v12, v11
	v_or_b32_e32 v13, v14, v13
	;; [unrolled: 1-line block ×3, first 2 shown]
	v_lshlrev_b16 v15, 8, v25
	v_and_b32_e32 v16, 0xff, v24
	v_and_b32_e32 v11, 0xff, v26
	v_lshlrev_b16 v2, 8, v2
	v_and_b32_e32 v12, 0xffff, v12
	v_lshlrev_b32_e32 v13, 16, v13
	v_and_b32_e32 v0, 0xffff, v0
	v_or_b32_e32 v14, v16, v15
	v_or_b32_e32 v2, v11, v2
	v_add_co_u32 v5, s7, s18, v5
	v_or_b32_e32 v11, v12, v13
	v_or_b32_e32 v0, v0, v13
	v_and_b32_e32 v12, 0xffff, v14
	v_lshlrev_b32_e32 v2, 16, v2
	s_waitcnt lgkmcnt(3)
	v_add_nc_u16 v8, v14, v8
	v_cndmask_b32_e32 v0, v11, v0, vcc_lo
	s_delay_alu instid0(VALU_DEP_3) | instskip(NEXT) | instid1(VALU_DEP_2)
	v_or_b32_e32 v2, v12, v2
	v_lshrrev_b32_e32 v11, 8, v0
	s_delay_alu instid0(VALU_DEP_2) | instskip(NEXT) | instid1(VALU_DEP_2)
	v_perm_b32 v8, v8, v2, 0x3020104
	v_add_nc_u16 v6, v11, v6
	s_delay_alu instid0(VALU_DEP_2) | instskip(SKIP_1) | instid1(VALU_DEP_3)
	v_cndmask_b32_e64 v2, v2, v8, s3
	v_and_b32_e32 v8, 0xff, v0
	v_lshlrev_b16 v6, 8, v6
	s_delay_alu instid0(VALU_DEP_3) | instskip(NEXT) | instid1(VALU_DEP_2)
	v_lshrrev_b32_e32 v11, 8, v2
	v_or_b32_e32 v6, v8, v6
	s_waitcnt lgkmcnt(2)
	s_delay_alu instid0(VALU_DEP_2) | instskip(SKIP_1) | instid1(VALU_DEP_3)
	v_add_nc_u16 v8, v11, v9
	v_and_b32_e32 v9, 0xff, v2
	v_and_b32_e32 v6, 0xffff, v6
	s_delay_alu instid0(VALU_DEP_3) | instskip(NEXT) | instid1(VALU_DEP_2)
	v_lshlrev_b16 v8, 8, v8
	v_and_or_b32 v6, 0xffff0000, v0, v6
	s_delay_alu instid0(VALU_DEP_2) | instskip(NEXT) | instid1(VALU_DEP_2)
	v_or_b32_e32 v8, v9, v8
	v_cndmask_b32_e64 v0, v0, v6, s0
	s_delay_alu instid0(VALU_DEP_2) | instskip(NEXT) | instid1(VALU_DEP_2)
	v_and_b32_e32 v6, 0xffff, v8
	v_lshrrev_b32_e32 v8, 16, v0
	s_delay_alu instid0(VALU_DEP_2) | instskip(NEXT) | instid1(VALU_DEP_2)
	v_and_or_b32 v6, 0xffff0000, v2, v6
	v_add_nc_u16 v1, v8, v1
	s_delay_alu instid0(VALU_DEP_2) | instskip(SKIP_1) | instid1(VALU_DEP_3)
	v_cndmask_b32_e64 v2, v2, v6, s4
	v_and_b32_e32 v6, 0xffffff00, v8
	v_and_b32_e32 v1, 0xff, v1
	s_delay_alu instid0(VALU_DEP_3) | instskip(NEXT) | instid1(VALU_DEP_2)
	v_lshrrev_b32_e32 v8, 16, v2
	v_or_b32_e32 v1, v1, v6
	s_waitcnt lgkmcnt(1)
	s_delay_alu instid0(VALU_DEP_2) | instskip(NEXT) | instid1(VALU_DEP_2)
	v_add_nc_u16 v6, v8, v10
	v_lshlrev_b32_e32 v1, 16, v1
	s_delay_alu instid0(VALU_DEP_2) | instskip(NEXT) | instid1(VALU_DEP_2)
	v_perm_b32 v6, v2, v6, 0x7000504
	v_and_or_b32 v1, 0xffff, v0, v1
	s_delay_alu instid0(VALU_DEP_2) | instskip(NEXT) | instid1(VALU_DEP_2)
	v_cndmask_b32_e64 v2, v2, v6, s5
	v_cndmask_b32_e64 v0, v0, v1, s1
	s_delay_alu instid0(VALU_DEP_2) | instskip(SKIP_1) | instid1(VALU_DEP_3)
	v_lshrrev_b32_e32 v1, 24, v2
	v_lshrrev_b32_e32 v8, 16, v2
	;; [unrolled: 1-line block ×3, first 2 shown]
	s_waitcnt lgkmcnt(0)
	s_delay_alu instid0(VALU_DEP_3) | instskip(SKIP_1) | instid1(VALU_DEP_3)
	v_add_nc_u16 v1, v1, v3
	v_lshrrev_b32_e32 v3, 16, v0
	v_add_nc_u16 v6, v6, v7
	v_and_b32_e32 v7, 0xff, v8
	s_delay_alu instid0(VALU_DEP_4) | instskip(NEXT) | instid1(VALU_DEP_4)
	v_lshlrev_b16 v1, 8, v1
	v_and_b32_e32 v3, 0xff, v3
	s_delay_alu instid0(VALU_DEP_4) | instskip(NEXT) | instid1(VALU_DEP_3)
	v_lshlrev_b16 v6, 8, v6
	v_or_b32_e32 v1, v7, v1
	s_delay_alu instid0(VALU_DEP_2) | instskip(SKIP_1) | instid1(VALU_DEP_3)
	v_or_b32_e32 v3, v3, v6
	v_add_co_ci_u32_e64 v6, null, s19, 0, s7
	v_lshlrev_b32_e32 v1, 16, v1
	s_delay_alu instid0(VALU_DEP_3) | instskip(NEXT) | instid1(VALU_DEP_2)
	v_lshlrev_b32_e32 v3, 16, v3
	v_and_or_b32 v1, 0xffff, v2, v1
	s_delay_alu instid0(VALU_DEP_2) | instskip(NEXT) | instid1(VALU_DEP_2)
	v_and_or_b32 v3, 0xffff, v0, v3
	v_cndmask_b32_e64 v2, v2, v1, s6
	s_delay_alu instid0(VALU_DEP_2) | instskip(SKIP_1) | instid1(VALU_DEP_1)
	v_cndmask_b32_e64 v3, v0, v3, s2
	v_add_co_u32 v0, s7, v5, v4
	v_add_co_ci_u32_e64 v1, s7, 0, v6, s7
	s_and_saveexec_b32 s7, vcc_lo
	s_cbranch_execnz .LBB71_155
; %bb.147:
	s_or_b32 exec_lo, exec_lo, s7
	s_and_saveexec_b32 s7, s0
	s_cbranch_execnz .LBB71_156
.LBB71_148:
	s_or_b32 exec_lo, exec_lo, s7
	s_and_saveexec_b32 s0, s1
	s_cbranch_execnz .LBB71_157
.LBB71_149:
	s_or_b32 exec_lo, exec_lo, s0
	s_and_saveexec_b32 s0, s2
	s_cbranch_execnz .LBB71_158
.LBB71_150:
	s_or_b32 exec_lo, exec_lo, s0
	s_and_saveexec_b32 s0, s3
	s_cbranch_execnz .LBB71_159
.LBB71_151:
	s_or_b32 exec_lo, exec_lo, s0
	s_and_saveexec_b32 s0, s4
	s_cbranch_execnz .LBB71_160
.LBB71_152:
	s_or_b32 exec_lo, exec_lo, s0
	s_and_saveexec_b32 s0, s5
	s_cbranch_execnz .LBB71_161
.LBB71_153:
	s_or_b32 exec_lo, exec_lo, s0
	s_and_saveexec_b32 s0, s6
	s_cbranch_execnz .LBB71_162
.LBB71_154:
	s_nop 0
	s_sendmsg sendmsg(MSG_DEALLOC_VGPRS)
	s_endpgm
.LBB71_155:
	global_store_b8 v[0:1], v3, off
	s_or_b32 exec_lo, exec_lo, s7
	s_and_saveexec_b32 s7, s0
	s_cbranch_execz .LBB71_148
.LBB71_156:
	v_lshrrev_b32_e32 v4, 8, v3
	global_store_b8 v[0:1], v4, off offset:1
	s_or_b32 exec_lo, exec_lo, s7
	s_and_saveexec_b32 s0, s1
	s_cbranch_execz .LBB71_149
.LBB71_157:
	global_store_d16_hi_b8 v[0:1], v3, off offset:2
	s_or_b32 exec_lo, exec_lo, s0
	s_and_saveexec_b32 s0, s2
	s_cbranch_execz .LBB71_150
.LBB71_158:
	v_lshrrev_b32_e32 v3, 24, v3
	global_store_b8 v[0:1], v3, off offset:3
	s_or_b32 exec_lo, exec_lo, s0
	s_and_saveexec_b32 s0, s3
	s_cbranch_execz .LBB71_151
.LBB71_159:
	global_store_b8 v[0:1], v2, off offset:4
	s_or_b32 exec_lo, exec_lo, s0
	s_and_saveexec_b32 s0, s4
	s_cbranch_execz .LBB71_152
.LBB71_160:
	v_lshrrev_b32_e32 v3, 8, v2
	global_store_b8 v[0:1], v3, off offset:5
	s_or_b32 exec_lo, exec_lo, s0
	s_and_saveexec_b32 s0, s5
	s_cbranch_execz .LBB71_153
.LBB71_161:
	global_store_d16_hi_b8 v[0:1], v2, off offset:6
	s_or_b32 exec_lo, exec_lo, s0
	s_and_saveexec_b32 s0, s6
	s_cbranch_execz .LBB71_154
.LBB71_162:
	v_lshrrev_b32_e32 v2, 24, v2
	global_store_b8 v[0:1], v2, off offset:7
	s_nop 0
	s_sendmsg sendmsg(MSG_DEALLOC_VGPRS)
	s_endpgm
	.section	.rodata,"a",@progbits
	.p2align	6, 0x0
	.amdhsa_kernel _Z20sort_pairs_segmentedILj256ELj16ELj8EaN10test_utils4lessEEvPKT2_PS2_PKjT3_
		.amdhsa_group_segment_fixed_size 2064
		.amdhsa_private_segment_fixed_size 0
		.amdhsa_kernarg_size 28
		.amdhsa_user_sgpr_count 15
		.amdhsa_user_sgpr_dispatch_ptr 0
		.amdhsa_user_sgpr_queue_ptr 0
		.amdhsa_user_sgpr_kernarg_segment_ptr 1
		.amdhsa_user_sgpr_dispatch_id 0
		.amdhsa_user_sgpr_private_segment_size 0
		.amdhsa_wavefront_size32 1
		.amdhsa_uses_dynamic_stack 0
		.amdhsa_enable_private_segment 0
		.amdhsa_system_sgpr_workgroup_id_x 1
		.amdhsa_system_sgpr_workgroup_id_y 0
		.amdhsa_system_sgpr_workgroup_id_z 0
		.amdhsa_system_sgpr_workgroup_info 0
		.amdhsa_system_vgpr_workitem_id 0
		.amdhsa_next_free_vgpr 48
		.amdhsa_next_free_sgpr 20
		.amdhsa_reserve_vcc 1
		.amdhsa_float_round_mode_32 0
		.amdhsa_float_round_mode_16_64 0
		.amdhsa_float_denorm_mode_32 3
		.amdhsa_float_denorm_mode_16_64 3
		.amdhsa_dx10_clamp 1
		.amdhsa_ieee_mode 1
		.amdhsa_fp16_overflow 0
		.amdhsa_workgroup_processor_mode 1
		.amdhsa_memory_ordered 1
		.amdhsa_forward_progress 0
		.amdhsa_shared_vgpr_count 0
		.amdhsa_exception_fp_ieee_invalid_op 0
		.amdhsa_exception_fp_denorm_src 0
		.amdhsa_exception_fp_ieee_div_zero 0
		.amdhsa_exception_fp_ieee_overflow 0
		.amdhsa_exception_fp_ieee_underflow 0
		.amdhsa_exception_fp_ieee_inexact 0
		.amdhsa_exception_int_div_zero 0
	.end_amdhsa_kernel
	.section	.text._Z20sort_pairs_segmentedILj256ELj16ELj8EaN10test_utils4lessEEvPKT2_PS2_PKjT3_,"axG",@progbits,_Z20sort_pairs_segmentedILj256ELj16ELj8EaN10test_utils4lessEEvPKT2_PS2_PKjT3_,comdat
.Lfunc_end71:
	.size	_Z20sort_pairs_segmentedILj256ELj16ELj8EaN10test_utils4lessEEvPKT2_PS2_PKjT3_, .Lfunc_end71-_Z20sort_pairs_segmentedILj256ELj16ELj8EaN10test_utils4lessEEvPKT2_PS2_PKjT3_
                                        ; -- End function
	.section	.AMDGPU.csdata,"",@progbits
; Kernel info:
; codeLenInByte = 12652
; NumSgprs: 22
; NumVgprs: 48
; ScratchSize: 0
; MemoryBound: 0
; FloatMode: 240
; IeeeMode: 1
; LDSByteSize: 2064 bytes/workgroup (compile time only)
; SGPRBlocks: 2
; VGPRBlocks: 5
; NumSGPRsForWavesPerEU: 22
; NumVGPRsForWavesPerEU: 48
; Occupancy: 16
; WaveLimiterHint : 0
; COMPUTE_PGM_RSRC2:SCRATCH_EN: 0
; COMPUTE_PGM_RSRC2:USER_SGPR: 15
; COMPUTE_PGM_RSRC2:TRAP_HANDLER: 0
; COMPUTE_PGM_RSRC2:TGID_X_EN: 1
; COMPUTE_PGM_RSRC2:TGID_Y_EN: 0
; COMPUTE_PGM_RSRC2:TGID_Z_EN: 0
; COMPUTE_PGM_RSRC2:TIDIG_COMP_CNT: 0
	.section	.text._Z9sort_keysILj256ELj32ELj1EaN10test_utils4lessEEvPKT2_PS2_T3_,"axG",@progbits,_Z9sort_keysILj256ELj32ELj1EaN10test_utils4lessEEvPKT2_PS2_T3_,comdat
	.protected	_Z9sort_keysILj256ELj32ELj1EaN10test_utils4lessEEvPKT2_PS2_T3_ ; -- Begin function _Z9sort_keysILj256ELj32ELj1EaN10test_utils4lessEEvPKT2_PS2_T3_
	.globl	_Z9sort_keysILj256ELj32ELj1EaN10test_utils4lessEEvPKT2_PS2_T3_
	.p2align	8
	.type	_Z9sort_keysILj256ELj32ELj1EaN10test_utils4lessEEvPKT2_PS2_T3_,@function
_Z9sort_keysILj256ELj32ELj1EaN10test_utils4lessEEvPKT2_PS2_T3_: ; @_Z9sort_keysILj256ELj32ELj1EaN10test_utils4lessEEvPKT2_PS2_T3_
; %bb.0:
	s_load_b128 s[4:7], s[0:1], 0x0
	s_lshl_b32 s3, s15, 8
	v_mbcnt_lo_u32_b32 v1, -1, 0
	v_lshrrev_b32_e32 v9, 5, v0
	s_delay_alu instid0(VALU_DEP_2) | instskip(NEXT) | instid1(VALU_DEP_2)
	v_and_b32_e32 v4, 1, v1
	v_mad_u32_u24 v10, v9, 33, v1
	s_delay_alu instid0(VALU_DEP_2) | instskip(SKIP_1) | instid1(VALU_DEP_2)
	v_add_nc_u32_e32 v2, -1, v4
	v_cmp_lt_i32_e32 vcc_lo, 0, v4
	v_dual_cndmask_b32 v6, 0, v2 :: v_dual_and_b32 v3, 30, v1
	s_delay_alu instid0(VALU_DEP_1)
	v_or_b32_e32 v5, 1, v3
	s_waitcnt lgkmcnt(0)
	s_add_u32 s0, s4, s3
	s_addc_u32 s1, s5, 0
	v_mul_u32_u24_e32 v2, 33, v9
	global_load_u8 v8, v0, s[0:1]
	v_sub_nc_u32_e32 v7, v5, v3
	s_mov_b32 s0, 0
	s_mov_b32 s1, exec_lo
	; wave barrier
	s_delay_alu instid0(VALU_DEP_1)
	v_min_i32_e32 v7, v4, v7
	s_waitcnt vmcnt(0)
	ds_store_b8 v10, v8
	; wave barrier
	v_cmpx_lt_i32_e64 v6, v7
	s_cbranch_execz .LBB72_4
; %bb.1:
	v_add_nc_u32_e32 v8, v2, v3
	v_add3_u32 v9, v2, v5, v4
	.p2align	6
.LBB72_2:                               ; =>This Inner Loop Header: Depth=1
	v_sub_nc_u32_e32 v10, v7, v6
	s_delay_alu instid0(VALU_DEP_1) | instskip(NEXT) | instid1(VALU_DEP_1)
	v_lshrrev_b32_e32 v11, 31, v10
	v_add_nc_u32_e32 v10, v10, v11
	s_delay_alu instid0(VALU_DEP_1) | instskip(NEXT) | instid1(VALU_DEP_1)
	v_ashrrev_i32_e32 v10, 1, v10
	v_add_nc_u32_e32 v10, v10, v6
	s_delay_alu instid0(VALU_DEP_1)
	v_add_nc_u32_e32 v11, v8, v10
	v_xad_u32 v12, v10, -1, v9
	v_add_nc_u32_e32 v13, 1, v10
	ds_load_i8 v11, v11
	ds_load_i8 v12, v12
	s_waitcnt lgkmcnt(0)
	v_cmp_lt_i16_e32 vcc_lo, v12, v11
	v_cndmask_b32_e32 v7, v7, v10, vcc_lo
	v_cndmask_b32_e32 v6, v13, v6, vcc_lo
	s_delay_alu instid0(VALU_DEP_1) | instskip(SKIP_1) | instid1(SALU_CYCLE_1)
	v_cmp_ge_i32_e32 vcc_lo, v6, v7
	s_or_b32 s0, vcc_lo, s0
	s_and_not1_b32 exec_lo, exec_lo, s0
	s_cbranch_execnz .LBB72_2
; %bb.3:
	s_or_b32 exec_lo, exec_lo, s0
.LBB72_4:
	s_delay_alu instid0(SALU_CYCLE_1) | instskip(SKIP_3) | instid1(VALU_DEP_3)
	s_or_b32 exec_lo, exec_lo, s1
	v_add_nc_u32_e32 v4, v5, v4
	v_add_nc_u32_e32 v3, v6, v3
	v_and_b32_e32 v8, 3, v1
	v_sub_nc_u32_e32 v9, v4, v6
	s_delay_alu instid0(VALU_DEP_3) | instskip(SKIP_2) | instid1(VALU_DEP_4)
	v_add_nc_u32_e32 v4, v2, v3
	v_cmp_le_i32_e32 vcc_lo, v5, v3
	v_add_nc_u32_e32 v3, v2, v1
	v_add_nc_u32_e32 v6, v2, v9
	v_cmp_ge_i32_e64 s1, v5, v9
	ds_load_u8 v10, v4
	ds_load_u8 v11, v6
	v_and_b32_e32 v7, 28, v1
	; wave barrier
	s_delay_alu instid0(VALU_DEP_1) | instskip(SKIP_1) | instid1(VALU_DEP_1)
	v_or_b32_e32 v6, 2, v7
	v_add_nc_u32_e32 v4, 4, v7
	v_sub_nc_u32_e32 v14, v4, v6
	s_waitcnt lgkmcnt(1)
	v_bfe_i32 v12, v10, 0, 8
	s_waitcnt lgkmcnt(0)
	v_bfe_i32 v13, v11, 0, 8
	s_delay_alu instid0(VALU_DEP_1) | instskip(SKIP_1) | instid1(VALU_DEP_2)
	v_cmp_lt_i16_e64 s0, v13, v12
	v_sub_nc_u32_e32 v12, v8, v14
	s_or_b32 s0, vcc_lo, s0
	v_cmp_ge_i32_e32 vcc_lo, v8, v14
	s_delay_alu instid0(VALU_DEP_2)
	v_cndmask_b32_e32 v5, 0, v12, vcc_lo
	s_and_b32 vcc_lo, s1, s0
	s_mov_b32 s0, 0
	v_cndmask_b32_e32 v10, v10, v11, vcc_lo
	v_sub_nc_u32_e32 v15, v6, v7
	s_mov_b32 s1, exec_lo
	ds_store_b8 v3, v10
	v_min_i32_e32 v9, v8, v15
	; wave barrier
	s_delay_alu instid0(VALU_DEP_1)
	v_cmpx_lt_i32_e64 v5, v9
	s_cbranch_execz .LBB72_8
; %bb.5:
	v_add_nc_u32_e32 v10, v2, v7
	v_add3_u32 v11, v2, v6, v8
	.p2align	6
.LBB72_6:                               ; =>This Inner Loop Header: Depth=1
	v_sub_nc_u32_e32 v12, v9, v5
	s_delay_alu instid0(VALU_DEP_1) | instskip(NEXT) | instid1(VALU_DEP_1)
	v_lshrrev_b32_e32 v13, 31, v12
	v_add_nc_u32_e32 v12, v12, v13
	s_delay_alu instid0(VALU_DEP_1) | instskip(NEXT) | instid1(VALU_DEP_1)
	v_ashrrev_i32_e32 v12, 1, v12
	v_add_nc_u32_e32 v12, v12, v5
	s_delay_alu instid0(VALU_DEP_1)
	v_add_nc_u32_e32 v13, v10, v12
	v_xad_u32 v14, v12, -1, v11
	v_add_nc_u32_e32 v15, 1, v12
	ds_load_i8 v13, v13
	ds_load_i8 v14, v14
	s_waitcnt lgkmcnt(0)
	v_cmp_lt_i16_e32 vcc_lo, v14, v13
	v_cndmask_b32_e32 v9, v9, v12, vcc_lo
	v_cndmask_b32_e32 v5, v15, v5, vcc_lo
	s_delay_alu instid0(VALU_DEP_1) | instskip(SKIP_1) | instid1(SALU_CYCLE_1)
	v_cmp_ge_i32_e32 vcc_lo, v5, v9
	s_or_b32 s0, vcc_lo, s0
	s_and_not1_b32 exec_lo, exec_lo, s0
	s_cbranch_execnz .LBB72_6
; %bb.7:
	s_or_b32 exec_lo, exec_lo, s0
.LBB72_8:
	s_delay_alu instid0(SALU_CYCLE_1) | instskip(SKIP_3) | instid1(VALU_DEP_3)
	s_or_b32 exec_lo, exec_lo, s1
	v_add_nc_u32_e32 v8, v6, v8
	v_add_nc_u32_e32 v10, v5, v7
	v_and_b32_e32 v9, 7, v1
	v_sub_nc_u32_e32 v11, v8, v5
	s_delay_alu instid0(VALU_DEP_3) | instskip(SKIP_2) | instid1(VALU_DEP_4)
	v_add_nc_u32_e32 v5, v2, v10
	v_and_b32_e32 v8, 24, v1
	v_cmp_le_i32_e32 vcc_lo, v6, v10
	v_add_nc_u32_e32 v7, v2, v11
	v_cmp_gt_i32_e64 s1, v4, v11
	ds_load_u8 v12, v5
	ds_load_u8 v13, v7
	v_or_b32_e32 v7, 4, v8
	v_add_nc_u32_e32 v5, 8, v8
	; wave barrier
	s_delay_alu instid0(VALU_DEP_2) | instskip(NEXT) | instid1(VALU_DEP_2)
	v_sub_nc_u32_e32 v6, v7, v8
	v_sub_nc_u32_e32 v16, v5, v7
	s_delay_alu instid0(VALU_DEP_2) | instskip(NEXT) | instid1(VALU_DEP_2)
	v_min_i32_e32 v6, v9, v6
	v_sub_nc_u32_e32 v10, v9, v16
	s_waitcnt lgkmcnt(1)
	v_bfe_i32 v14, v12, 0, 8
	s_waitcnt lgkmcnt(0)
	v_bfe_i32 v15, v13, 0, 8
	s_delay_alu instid0(VALU_DEP_1) | instskip(NEXT) | instid1(VALU_DEP_1)
	v_cmp_lt_i16_e64 s0, v15, v14
	s_or_b32 s0, vcc_lo, s0
	v_cmp_ge_i32_e32 vcc_lo, v9, v16
	v_cndmask_b32_e32 v4, 0, v10, vcc_lo
	s_and_b32 vcc_lo, s1, s0
	s_mov_b32 s0, 0
	v_cndmask_b32_e32 v10, v12, v13, vcc_lo
	s_mov_b32 s1, exec_lo
	ds_store_b8 v3, v10
	; wave barrier
	v_cmpx_lt_i32_e64 v4, v6
	s_cbranch_execz .LBB72_12
; %bb.9:
	v_add_nc_u32_e32 v10, v2, v8
	v_add3_u32 v11, v2, v7, v9
	.p2align	6
.LBB72_10:                              ; =>This Inner Loop Header: Depth=1
	v_sub_nc_u32_e32 v12, v6, v4
	s_delay_alu instid0(VALU_DEP_1) | instskip(NEXT) | instid1(VALU_DEP_1)
	v_lshrrev_b32_e32 v13, 31, v12
	v_add_nc_u32_e32 v12, v12, v13
	s_delay_alu instid0(VALU_DEP_1) | instskip(NEXT) | instid1(VALU_DEP_1)
	v_ashrrev_i32_e32 v12, 1, v12
	v_add_nc_u32_e32 v12, v12, v4
	s_delay_alu instid0(VALU_DEP_1)
	v_add_nc_u32_e32 v13, v10, v12
	v_xad_u32 v14, v12, -1, v11
	v_add_nc_u32_e32 v15, 1, v12
	ds_load_i8 v13, v13
	ds_load_i8 v14, v14
	s_waitcnt lgkmcnt(0)
	v_cmp_lt_i16_e32 vcc_lo, v14, v13
	v_cndmask_b32_e32 v6, v6, v12, vcc_lo
	v_cndmask_b32_e32 v4, v15, v4, vcc_lo
	s_delay_alu instid0(VALU_DEP_1) | instskip(SKIP_1) | instid1(SALU_CYCLE_1)
	v_cmp_ge_i32_e32 vcc_lo, v4, v6
	s_or_b32 s0, vcc_lo, s0
	s_and_not1_b32 exec_lo, exec_lo, s0
	s_cbranch_execnz .LBB72_10
; %bb.11:
	s_or_b32 exec_lo, exec_lo, s0
.LBB72_12:
	s_delay_alu instid0(SALU_CYCLE_1) | instskip(SKIP_4) | instid1(VALU_DEP_4)
	s_or_b32 exec_lo, exec_lo, s1
	v_add_nc_u32_e32 v6, v7, v9
	v_add_nc_u32_e32 v10, v4, v8
	v_and_b32_e32 v8, 16, v1
	v_and_b32_e32 v9, 15, v1
	v_sub_nc_u32_e32 v11, v6, v4
	s_delay_alu instid0(VALU_DEP_4) | instskip(SKIP_1) | instid1(VALU_DEP_3)
	v_add_nc_u32_e32 v4, v2, v10
	v_cmp_le_i32_e32 vcc_lo, v7, v10
	v_add_nc_u32_e32 v6, v2, v11
	v_cmp_gt_i32_e64 s1, v5, v11
	ds_load_u8 v12, v4
	ds_load_u8 v13, v6
	v_or_b32_e32 v6, 8, v8
	v_add_nc_u32_e32 v4, 16, v8
	; wave barrier
	s_delay_alu instid0(VALU_DEP_2) | instskip(NEXT) | instid1(VALU_DEP_2)
	v_sub_nc_u32_e32 v7, v6, v8
	v_sub_nc_u32_e32 v16, v4, v6
	s_delay_alu instid0(VALU_DEP_2) | instskip(NEXT) | instid1(VALU_DEP_2)
	v_min_i32_e32 v7, v9, v7
	v_sub_nc_u32_e32 v10, v9, v16
	s_waitcnt lgkmcnt(1)
	v_bfe_i32 v14, v12, 0, 8
	s_waitcnt lgkmcnt(0)
	v_bfe_i32 v15, v13, 0, 8
	s_delay_alu instid0(VALU_DEP_1) | instskip(NEXT) | instid1(VALU_DEP_1)
	v_cmp_lt_i16_e64 s0, v15, v14
	s_or_b32 s0, vcc_lo, s0
	v_cmp_ge_i32_e32 vcc_lo, v9, v16
	v_cndmask_b32_e32 v5, 0, v10, vcc_lo
	s_and_b32 vcc_lo, s1, s0
	s_mov_b32 s0, 0
	v_cndmask_b32_e32 v10, v12, v13, vcc_lo
	s_mov_b32 s1, exec_lo
	ds_store_b8 v3, v10
	; wave barrier
	v_cmpx_lt_i32_e64 v5, v7
	s_cbranch_execz .LBB72_16
; %bb.13:
	v_add_nc_u32_e32 v10, v2, v8
	v_add3_u32 v11, v2, v6, v9
	.p2align	6
.LBB72_14:                              ; =>This Inner Loop Header: Depth=1
	v_sub_nc_u32_e32 v12, v7, v5
	s_delay_alu instid0(VALU_DEP_1) | instskip(NEXT) | instid1(VALU_DEP_1)
	v_lshrrev_b32_e32 v13, 31, v12
	v_add_nc_u32_e32 v12, v12, v13
	s_delay_alu instid0(VALU_DEP_1) | instskip(NEXT) | instid1(VALU_DEP_1)
	v_ashrrev_i32_e32 v12, 1, v12
	v_add_nc_u32_e32 v12, v12, v5
	s_delay_alu instid0(VALU_DEP_1)
	v_add_nc_u32_e32 v13, v10, v12
	v_xad_u32 v14, v12, -1, v11
	v_add_nc_u32_e32 v15, 1, v12
	ds_load_i8 v13, v13
	ds_load_i8 v14, v14
	s_waitcnt lgkmcnt(0)
	v_cmp_lt_i16_e32 vcc_lo, v14, v13
	v_cndmask_b32_e32 v7, v7, v12, vcc_lo
	v_cndmask_b32_e32 v5, v15, v5, vcc_lo
	s_delay_alu instid0(VALU_DEP_1) | instskip(SKIP_1) | instid1(SALU_CYCLE_1)
	v_cmp_ge_i32_e32 vcc_lo, v5, v7
	s_or_b32 s0, vcc_lo, s0
	s_and_not1_b32 exec_lo, exec_lo, s0
	s_cbranch_execnz .LBB72_14
; %bb.15:
	s_or_b32 exec_lo, exec_lo, s0
.LBB72_16:
	s_delay_alu instid0(SALU_CYCLE_1) | instskip(SKIP_4) | instid1(VALU_DEP_4)
	s_or_b32 exec_lo, exec_lo, s1
	v_add_nc_u32_e32 v7, v6, v9
	v_add_nc_u32_e32 v8, v5, v8
	v_add_nc_u32_e32 v12, -16, v1
	v_cmp_lt_i32_e64 s2, 15, v1
	v_sub_nc_u32_e32 v7, v7, v5
	s_delay_alu instid0(VALU_DEP_4) | instskip(SKIP_1) | instid1(VALU_DEP_3)
	v_add_nc_u32_e32 v5, v2, v8
	v_cmp_le_i32_e32 vcc_lo, v6, v8
	v_add_nc_u32_e32 v9, v2, v7
	v_cmp_gt_i32_e64 s1, v4, v7
	v_cndmask_b32_e64 v4, 0, v12, s2
	ds_load_u8 v10, v5
	ds_load_u8 v9, v9
	; wave barrier
	s_waitcnt lgkmcnt(1)
	v_bfe_i32 v5, v10, 0, 8
	s_waitcnt lgkmcnt(0)
	v_bfe_i32 v11, v9, 0, 8
	s_delay_alu instid0(VALU_DEP_1) | instskip(SKIP_1) | instid1(VALU_DEP_2)
	v_cmp_lt_i16_e64 s0, v11, v5
	v_min_i32_e32 v5, 16, v1
	s_or_b32 s0, vcc_lo, s0
	s_delay_alu instid0(SALU_CYCLE_1)
	s_and_b32 vcc_lo, s1, s0
	s_mov_b32 s0, exec_lo
	v_cndmask_b32_e32 v6, v10, v9, vcc_lo
	ds_store_b8 v3, v6
	; wave barrier
	v_cmpx_lt_i32_e64 v4, v5
	s_cbranch_execz .LBB72_20
; %bb.17:
	v_add3_u32 v3, v2, 16, v1
	s_mov_b32 s1, 0
	.p2align	6
.LBB72_18:                              ; =>This Inner Loop Header: Depth=1
	v_sub_nc_u32_e32 v6, v5, v4
	s_delay_alu instid0(VALU_DEP_1) | instskip(NEXT) | instid1(VALU_DEP_1)
	v_lshrrev_b32_e32 v7, 31, v6
	v_add_nc_u32_e32 v6, v6, v7
	s_delay_alu instid0(VALU_DEP_1) | instskip(NEXT) | instid1(VALU_DEP_1)
	v_ashrrev_i32_e32 v6, 1, v6
	v_add_nc_u32_e32 v6, v6, v4
	s_delay_alu instid0(VALU_DEP_1)
	v_add_nc_u32_e32 v9, 1, v6
	v_add_nc_u32_e32 v7, v2, v6
	v_xad_u32 v8, v6, -1, v3
	ds_load_i8 v7, v7
	ds_load_i8 v8, v8
	s_waitcnt lgkmcnt(0)
	v_cmp_lt_i16_e32 vcc_lo, v8, v7
	v_cndmask_b32_e32 v4, v9, v4, vcc_lo
	v_cndmask_b32_e32 v5, v5, v6, vcc_lo
	s_delay_alu instid0(VALU_DEP_1) | instskip(SKIP_1) | instid1(SALU_CYCLE_1)
	v_cmp_ge_i32_e32 vcc_lo, v4, v5
	s_or_b32 s1, vcc_lo, s1
	s_and_not1_b32 exec_lo, exec_lo, s1
	s_cbranch_execnz .LBB72_18
; %bb.19:
	s_or_b32 exec_lo, exec_lo, s1
.LBB72_20:
	s_delay_alu instid0(SALU_CYCLE_1) | instskip(SKIP_3) | instid1(VALU_DEP_3)
	s_or_b32 exec_lo, exec_lo, s0
	v_add_nc_u32_e32 v1, 16, v1
	v_add_nc_u32_e32 v3, v2, v4
	v_cmp_le_i32_e32 vcc_lo, 16, v4
	v_sub_nc_u32_e32 v1, v1, v4
	s_delay_alu instid0(VALU_DEP_1)
	v_add_nc_u32_e32 v2, v2, v1
	v_cmp_gt_i32_e64 s1, 32, v1
	ds_load_u8 v3, v3
	ds_load_u8 v2, v2
	s_waitcnt lgkmcnt(1)
	v_bfe_i32 v5, v3, 0, 8
	s_waitcnt lgkmcnt(0)
	v_bfe_i32 v6, v2, 0, 8
	s_delay_alu instid0(VALU_DEP_1) | instskip(NEXT) | instid1(VALU_DEP_1)
	v_cmp_lt_i16_e64 s0, v6, v5
	s_or_b32 s0, vcc_lo, s0
	s_delay_alu instid0(SALU_CYCLE_1) | instskip(SKIP_4) | instid1(VALU_DEP_1)
	s_and_b32 vcc_lo, s1, s0
	s_add_u32 s0, s6, s3
	v_cndmask_b32_e32 v2, v3, v2, vcc_lo
	s_addc_u32 s1, s7, 0
	v_add_co_u32 v0, s0, s0, v0
	v_add_co_ci_u32_e64 v1, null, s1, 0, s0
	global_store_b8 v[0:1], v2, off
	s_nop 0
	s_sendmsg sendmsg(MSG_DEALLOC_VGPRS)
	s_endpgm
	.section	.rodata,"a",@progbits
	.p2align	6, 0x0
	.amdhsa_kernel _Z9sort_keysILj256ELj32ELj1EaN10test_utils4lessEEvPKT2_PS2_T3_
		.amdhsa_group_segment_fixed_size 264
		.amdhsa_private_segment_fixed_size 0
		.amdhsa_kernarg_size 20
		.amdhsa_user_sgpr_count 15
		.amdhsa_user_sgpr_dispatch_ptr 0
		.amdhsa_user_sgpr_queue_ptr 0
		.amdhsa_user_sgpr_kernarg_segment_ptr 1
		.amdhsa_user_sgpr_dispatch_id 0
		.amdhsa_user_sgpr_private_segment_size 0
		.amdhsa_wavefront_size32 1
		.amdhsa_uses_dynamic_stack 0
		.amdhsa_enable_private_segment 0
		.amdhsa_system_sgpr_workgroup_id_x 1
		.amdhsa_system_sgpr_workgroup_id_y 0
		.amdhsa_system_sgpr_workgroup_id_z 0
		.amdhsa_system_sgpr_workgroup_info 0
		.amdhsa_system_vgpr_workitem_id 0
		.amdhsa_next_free_vgpr 17
		.amdhsa_next_free_sgpr 16
		.amdhsa_reserve_vcc 1
		.amdhsa_float_round_mode_32 0
		.amdhsa_float_round_mode_16_64 0
		.amdhsa_float_denorm_mode_32 3
		.amdhsa_float_denorm_mode_16_64 3
		.amdhsa_dx10_clamp 1
		.amdhsa_ieee_mode 1
		.amdhsa_fp16_overflow 0
		.amdhsa_workgroup_processor_mode 1
		.amdhsa_memory_ordered 1
		.amdhsa_forward_progress 0
		.amdhsa_shared_vgpr_count 0
		.amdhsa_exception_fp_ieee_invalid_op 0
		.amdhsa_exception_fp_denorm_src 0
		.amdhsa_exception_fp_ieee_div_zero 0
		.amdhsa_exception_fp_ieee_overflow 0
		.amdhsa_exception_fp_ieee_underflow 0
		.amdhsa_exception_fp_ieee_inexact 0
		.amdhsa_exception_int_div_zero 0
	.end_amdhsa_kernel
	.section	.text._Z9sort_keysILj256ELj32ELj1EaN10test_utils4lessEEvPKT2_PS2_T3_,"axG",@progbits,_Z9sort_keysILj256ELj32ELj1EaN10test_utils4lessEEvPKT2_PS2_T3_,comdat
.Lfunc_end72:
	.size	_Z9sort_keysILj256ELj32ELj1EaN10test_utils4lessEEvPKT2_PS2_T3_, .Lfunc_end72-_Z9sort_keysILj256ELj32ELj1EaN10test_utils4lessEEvPKT2_PS2_T3_
                                        ; -- End function
	.section	.AMDGPU.csdata,"",@progbits
; Kernel info:
; codeLenInByte = 1588
; NumSgprs: 18
; NumVgprs: 17
; ScratchSize: 0
; MemoryBound: 0
; FloatMode: 240
; IeeeMode: 1
; LDSByteSize: 264 bytes/workgroup (compile time only)
; SGPRBlocks: 2
; VGPRBlocks: 2
; NumSGPRsForWavesPerEU: 18
; NumVGPRsForWavesPerEU: 17
; Occupancy: 16
; WaveLimiterHint : 0
; COMPUTE_PGM_RSRC2:SCRATCH_EN: 0
; COMPUTE_PGM_RSRC2:USER_SGPR: 15
; COMPUTE_PGM_RSRC2:TRAP_HANDLER: 0
; COMPUTE_PGM_RSRC2:TGID_X_EN: 1
; COMPUTE_PGM_RSRC2:TGID_Y_EN: 0
; COMPUTE_PGM_RSRC2:TGID_Z_EN: 0
; COMPUTE_PGM_RSRC2:TIDIG_COMP_CNT: 0
	.section	.text._Z10sort_pairsILj256ELj32ELj1EaN10test_utils4lessEEvPKT2_PS2_T3_,"axG",@progbits,_Z10sort_pairsILj256ELj32ELj1EaN10test_utils4lessEEvPKT2_PS2_T3_,comdat
	.protected	_Z10sort_pairsILj256ELj32ELj1EaN10test_utils4lessEEvPKT2_PS2_T3_ ; -- Begin function _Z10sort_pairsILj256ELj32ELj1EaN10test_utils4lessEEvPKT2_PS2_T3_
	.globl	_Z10sort_pairsILj256ELj32ELj1EaN10test_utils4lessEEvPKT2_PS2_T3_
	.p2align	8
	.type	_Z10sort_pairsILj256ELj32ELj1EaN10test_utils4lessEEvPKT2_PS2_T3_,@function
_Z10sort_pairsILj256ELj32ELj1EaN10test_utils4lessEEvPKT2_PS2_T3_: ; @_Z10sort_pairsILj256ELj32ELj1EaN10test_utils4lessEEvPKT2_PS2_T3_
; %bb.0:
	s_load_b128 s[0:3], s[0:1], 0x0
	s_lshl_b32 s4, s15, 8
	v_mbcnt_lo_u32_b32 v2, -1, 0
	v_lshrrev_b32_e32 v9, 5, v0
	s_delay_alu instid0(VALU_DEP_2) | instskip(SKIP_1) | instid1(VALU_DEP_3)
	v_and_b32_e32 v5, 30, v2
	v_and_b32_e32 v6, 1, v2
	v_mad_u32_u24 v10, v9, 33, v2
	s_delay_alu instid0(VALU_DEP_3) | instskip(NEXT) | instid1(VALU_DEP_3)
	v_or_b32_e32 v4, 1, v5
	v_add_nc_u32_e32 v1, -1, v6
	v_cmp_lt_i32_e32 vcc_lo, 0, v6
	s_delay_alu instid0(VALU_DEP_3) | instskip(NEXT) | instid1(VALU_DEP_3)
	v_sub_nc_u32_e32 v8, v4, v5
	v_cndmask_b32_e32 v7, 0, v1, vcc_lo
	s_waitcnt lgkmcnt(0)
	s_add_u32 s0, s0, s4
	s_addc_u32 s1, s1, 0
	v_min_i32_e32 v8, v6, v8
	global_load_u8 v3, v0, s[0:1]
	v_mul_u32_u24_e32 v1, 33, v9
	s_mov_b32 s0, 0
	s_mov_b32 s1, exec_lo
	; wave barrier
	s_waitcnt vmcnt(0)
	ds_store_b8 v10, v3
	; wave barrier
	v_cmpx_lt_i32_e64 v7, v8
	s_cbranch_execz .LBB73_4
; %bb.1:
	v_add_nc_u32_e32 v9, v1, v5
	v_add3_u32 v10, v1, v4, v6
	.p2align	6
.LBB73_2:                               ; =>This Inner Loop Header: Depth=1
	v_sub_nc_u32_e32 v11, v8, v7
	s_delay_alu instid0(VALU_DEP_1) | instskip(NEXT) | instid1(VALU_DEP_1)
	v_lshrrev_b32_e32 v12, 31, v11
	v_add_nc_u32_e32 v11, v11, v12
	s_delay_alu instid0(VALU_DEP_1) | instskip(NEXT) | instid1(VALU_DEP_1)
	v_ashrrev_i32_e32 v11, 1, v11
	v_add_nc_u32_e32 v11, v11, v7
	s_delay_alu instid0(VALU_DEP_1)
	v_add_nc_u32_e32 v12, v9, v11
	v_xad_u32 v13, v11, -1, v10
	v_add_nc_u32_e32 v14, 1, v11
	ds_load_i8 v12, v12
	ds_load_i8 v13, v13
	s_waitcnt lgkmcnt(0)
	v_cmp_lt_i16_e32 vcc_lo, v13, v12
	v_cndmask_b32_e32 v8, v8, v11, vcc_lo
	v_cndmask_b32_e32 v7, v14, v7, vcc_lo
	s_delay_alu instid0(VALU_DEP_1) | instskip(SKIP_1) | instid1(SALU_CYCLE_1)
	v_cmp_ge_i32_e32 vcc_lo, v7, v8
	s_or_b32 s0, vcc_lo, s0
	s_and_not1_b32 exec_lo, exec_lo, s0
	s_cbranch_execnz .LBB73_2
; %bb.3:
	s_or_b32 exec_lo, exec_lo, s0
.LBB73_4:
	s_delay_alu instid0(SALU_CYCLE_1) | instskip(SKIP_2) | instid1(VALU_DEP_2)
	s_or_b32 exec_lo, exec_lo, s1
	v_add_nc_u32_e32 v6, v4, v6
	v_add_nc_u32_e32 v5, v7, v5
	v_sub_nc_u32_e32 v6, v6, v7
	s_delay_alu instid0(VALU_DEP_2) | instskip(SKIP_1) | instid1(VALU_DEP_3)
	v_add_nc_u32_e32 v7, v1, v5
	v_cmp_le_i32_e32 vcc_lo, v4, v5
	v_add_nc_u32_e32 v8, v1, v6
	v_cmp_ge_i32_e64 s1, v4, v6
	v_add_nc_u16 v4, v3, 1
	v_add_nc_u32_e32 v3, v1, v2
	ds_load_u8 v9, v7
	ds_load_u8 v8, v8
	; wave barrier
	ds_store_b8 v3, v4
	; wave barrier
	s_waitcnt lgkmcnt(2)
	v_bfe_i32 v7, v9, 0, 8
	s_waitcnt lgkmcnt(1)
	v_bfe_i32 v10, v8, 0, 8
	s_delay_alu instid0(VALU_DEP_1) | instskip(SKIP_1) | instid1(VALU_DEP_2)
	v_cmp_lt_i16_e64 s0, v10, v7
	v_and_b32_e32 v7, 28, v2
	s_or_b32 s0, vcc_lo, s0
	s_delay_alu instid0(SALU_CYCLE_1)
	s_and_b32 vcc_lo, s1, s0
	s_mov_b32 s1, 0
	v_cndmask_b32_e32 v11, v9, v8, vcc_lo
	v_dual_cndmask_b32 v8, v5, v6 :: v_dual_add_nc_u32 v5, 4, v7
	v_or_b32_e32 v6, 2, v7
	s_mov_b32 s0, exec_lo
	s_delay_alu instid0(VALU_DEP_2) | instskip(SKIP_1) | instid1(VALU_DEP_3)
	v_add_nc_u32_e32 v4, v1, v8
	v_and_b32_e32 v8, 3, v2
	v_sub_nc_u32_e32 v9, v5, v6
	v_sub_nc_u32_e32 v12, v6, v7
	s_delay_alu instid0(VALU_DEP_2) | instskip(SKIP_1) | instid1(VALU_DEP_2)
	v_sub_nc_u32_e32 v10, v8, v9
	v_cmp_ge_i32_e32 vcc_lo, v8, v9
	v_cndmask_b32_e32 v9, 0, v10, vcc_lo
	ds_load_u8 v4, v4
	v_min_i32_e32 v10, v8, v12
	; wave barrier
	ds_store_b8 v3, v11
	; wave barrier
	v_cmpx_lt_i32_e64 v9, v10
	s_cbranch_execz .LBB73_8
; %bb.5:
	v_add_nc_u32_e32 v11, v1, v7
	v_add3_u32 v12, v1, v6, v8
	.p2align	6
.LBB73_6:                               ; =>This Inner Loop Header: Depth=1
	v_sub_nc_u32_e32 v13, v10, v9
	s_delay_alu instid0(VALU_DEP_1) | instskip(NEXT) | instid1(VALU_DEP_1)
	v_lshrrev_b32_e32 v14, 31, v13
	v_add_nc_u32_e32 v13, v13, v14
	s_delay_alu instid0(VALU_DEP_1) | instskip(NEXT) | instid1(VALU_DEP_1)
	v_ashrrev_i32_e32 v13, 1, v13
	v_add_nc_u32_e32 v13, v13, v9
	s_delay_alu instid0(VALU_DEP_1)
	v_add_nc_u32_e32 v14, v11, v13
	v_xad_u32 v15, v13, -1, v12
	v_add_nc_u32_e32 v16, 1, v13
	ds_load_i8 v14, v14
	ds_load_i8 v15, v15
	s_waitcnt lgkmcnt(0)
	v_cmp_lt_i16_e32 vcc_lo, v15, v14
	v_cndmask_b32_e32 v10, v10, v13, vcc_lo
	v_cndmask_b32_e32 v9, v16, v9, vcc_lo
	s_delay_alu instid0(VALU_DEP_1) | instskip(SKIP_1) | instid1(SALU_CYCLE_1)
	v_cmp_ge_i32_e32 vcc_lo, v9, v10
	s_or_b32 s1, vcc_lo, s1
	s_and_not1_b32 exec_lo, exec_lo, s1
	s_cbranch_execnz .LBB73_6
; %bb.7:
	s_or_b32 exec_lo, exec_lo, s1
.LBB73_8:
	s_delay_alu instid0(SALU_CYCLE_1) | instskip(SKIP_2) | instid1(VALU_DEP_2)
	s_or_b32 exec_lo, exec_lo, s0
	v_add_nc_u32_e32 v8, v6, v8
	v_add_nc_u32_e32 v10, v9, v7
	v_sub_nc_u32_e32 v8, v8, v9
	s_delay_alu instid0(VALU_DEP_2) | instskip(SKIP_1) | instid1(VALU_DEP_3)
	v_add_nc_u32_e32 v7, v1, v10
	v_cmp_le_i32_e32 vcc_lo, v6, v10
	v_add_nc_u32_e32 v9, v1, v8
	v_cmp_gt_i32_e64 s1, v5, v8
	ds_load_u8 v11, v7
	ds_load_u8 v9, v9
	; wave barrier
	s_waitcnt lgkmcnt(3)
	ds_store_b8 v3, v4
	; wave barrier
	s_waitcnt lgkmcnt(2)
	v_bfe_i32 v7, v11, 0, 8
	s_waitcnt lgkmcnt(1)
	v_bfe_i32 v12, v9, 0, 8
	s_delay_alu instid0(VALU_DEP_1) | instskip(SKIP_1) | instid1(VALU_DEP_2)
	v_cmp_lt_i16_e64 s0, v12, v7
	v_and_b32_e32 v7, 24, v2
	s_or_b32 s0, vcc_lo, s0
	s_delay_alu instid0(VALU_DEP_1) | instskip(SKIP_3) | instid1(VALU_DEP_3)
	v_or_b32_e32 v6, 4, v7
	s_and_b32 vcc_lo, s1, s0
	v_dual_cndmask_b32 v8, v10, v8 :: v_dual_add_nc_u32 v5, 8, v7
	v_cndmask_b32_e32 v11, v11, v9, vcc_lo
	v_sub_nc_u32_e32 v12, v6, v7
	s_mov_b32 s1, 0
	s_delay_alu instid0(VALU_DEP_3) | instskip(SKIP_3) | instid1(VALU_DEP_1)
	v_sub_nc_u32_e32 v9, v5, v6
	v_add_nc_u32_e32 v4, v1, v8
	v_and_b32_e32 v8, 7, v2
	s_mov_b32 s0, exec_lo
	v_sub_nc_u32_e32 v10, v8, v9
	v_cmp_ge_i32_e32 vcc_lo, v8, v9
	s_delay_alu instid0(VALU_DEP_2)
	v_cndmask_b32_e32 v9, 0, v10, vcc_lo
	ds_load_u8 v4, v4
	v_min_i32_e32 v10, v8, v12
	; wave barrier
	ds_store_b8 v3, v11
	; wave barrier
	v_cmpx_lt_i32_e64 v9, v10
	s_cbranch_execz .LBB73_12
; %bb.9:
	v_add_nc_u32_e32 v11, v1, v7
	v_add3_u32 v12, v1, v6, v8
	.p2align	6
.LBB73_10:                              ; =>This Inner Loop Header: Depth=1
	v_sub_nc_u32_e32 v13, v10, v9
	s_delay_alu instid0(VALU_DEP_1) | instskip(NEXT) | instid1(VALU_DEP_1)
	v_lshrrev_b32_e32 v14, 31, v13
	v_add_nc_u32_e32 v13, v13, v14
	s_delay_alu instid0(VALU_DEP_1) | instskip(NEXT) | instid1(VALU_DEP_1)
	v_ashrrev_i32_e32 v13, 1, v13
	v_add_nc_u32_e32 v13, v13, v9
	s_delay_alu instid0(VALU_DEP_1)
	v_add_nc_u32_e32 v14, v11, v13
	v_xad_u32 v15, v13, -1, v12
	v_add_nc_u32_e32 v16, 1, v13
	ds_load_i8 v14, v14
	ds_load_i8 v15, v15
	s_waitcnt lgkmcnt(0)
	v_cmp_lt_i16_e32 vcc_lo, v15, v14
	v_cndmask_b32_e32 v10, v10, v13, vcc_lo
	v_cndmask_b32_e32 v9, v16, v9, vcc_lo
	s_delay_alu instid0(VALU_DEP_1) | instskip(SKIP_1) | instid1(SALU_CYCLE_1)
	v_cmp_ge_i32_e32 vcc_lo, v9, v10
	s_or_b32 s1, vcc_lo, s1
	s_and_not1_b32 exec_lo, exec_lo, s1
	s_cbranch_execnz .LBB73_10
; %bb.11:
	s_or_b32 exec_lo, exec_lo, s1
.LBB73_12:
	s_delay_alu instid0(SALU_CYCLE_1) | instskip(SKIP_2) | instid1(VALU_DEP_2)
	s_or_b32 exec_lo, exec_lo, s0
	v_add_nc_u32_e32 v8, v6, v8
	v_add_nc_u32_e32 v10, v9, v7
	v_sub_nc_u32_e32 v8, v8, v9
	s_delay_alu instid0(VALU_DEP_2) | instskip(SKIP_1) | instid1(VALU_DEP_3)
	v_add_nc_u32_e32 v7, v1, v10
	v_cmp_le_i32_e32 vcc_lo, v6, v10
	v_add_nc_u32_e32 v9, v1, v8
	v_cmp_gt_i32_e64 s1, v5, v8
	ds_load_u8 v11, v7
	ds_load_u8 v9, v9
	; wave barrier
	s_waitcnt lgkmcnt(3)
	ds_store_b8 v3, v4
	; wave barrier
	s_waitcnt lgkmcnt(2)
	v_bfe_i32 v7, v11, 0, 8
	s_waitcnt lgkmcnt(1)
	v_bfe_i32 v12, v9, 0, 8
	s_delay_alu instid0(VALU_DEP_1) | instskip(SKIP_1) | instid1(VALU_DEP_2)
	v_cmp_lt_i16_e64 s0, v12, v7
	v_and_b32_e32 v7, 16, v2
	s_or_b32 s0, vcc_lo, s0
	s_delay_alu instid0(VALU_DEP_1) | instskip(SKIP_3) | instid1(VALU_DEP_3)
	v_or_b32_e32 v6, 8, v7
	s_and_b32 vcc_lo, s1, s0
	v_dual_cndmask_b32 v8, v10, v8 :: v_dual_add_nc_u32 v5, 16, v7
	v_cndmask_b32_e32 v11, v11, v9, vcc_lo
	v_sub_nc_u32_e32 v12, v6, v7
	s_mov_b32 s1, 0
	s_delay_alu instid0(VALU_DEP_3) | instskip(SKIP_3) | instid1(VALU_DEP_1)
	v_sub_nc_u32_e32 v9, v5, v6
	v_add_nc_u32_e32 v4, v1, v8
	v_and_b32_e32 v8, 15, v2
	s_mov_b32 s0, exec_lo
	v_sub_nc_u32_e32 v10, v8, v9
	v_cmp_ge_i32_e32 vcc_lo, v8, v9
	s_delay_alu instid0(VALU_DEP_2)
	v_cndmask_b32_e32 v9, 0, v10, vcc_lo
	ds_load_u8 v4, v4
	v_min_i32_e32 v10, v8, v12
	; wave barrier
	ds_store_b8 v3, v11
	; wave barrier
	v_cmpx_lt_i32_e64 v9, v10
	s_cbranch_execz .LBB73_16
; %bb.13:
	v_add_nc_u32_e32 v11, v1, v7
	v_add3_u32 v12, v1, v6, v8
	.p2align	6
.LBB73_14:                              ; =>This Inner Loop Header: Depth=1
	v_sub_nc_u32_e32 v13, v10, v9
	s_delay_alu instid0(VALU_DEP_1) | instskip(NEXT) | instid1(VALU_DEP_1)
	v_lshrrev_b32_e32 v14, 31, v13
	v_add_nc_u32_e32 v13, v13, v14
	s_delay_alu instid0(VALU_DEP_1) | instskip(NEXT) | instid1(VALU_DEP_1)
	v_ashrrev_i32_e32 v13, 1, v13
	v_add_nc_u32_e32 v13, v13, v9
	s_delay_alu instid0(VALU_DEP_1)
	v_add_nc_u32_e32 v14, v11, v13
	v_xad_u32 v15, v13, -1, v12
	v_add_nc_u32_e32 v16, 1, v13
	ds_load_i8 v14, v14
	ds_load_i8 v15, v15
	s_waitcnt lgkmcnt(0)
	v_cmp_lt_i16_e32 vcc_lo, v15, v14
	v_cndmask_b32_e32 v10, v10, v13, vcc_lo
	v_cndmask_b32_e32 v9, v16, v9, vcc_lo
	s_delay_alu instid0(VALU_DEP_1) | instskip(SKIP_1) | instid1(SALU_CYCLE_1)
	v_cmp_ge_i32_e32 vcc_lo, v9, v10
	s_or_b32 s1, vcc_lo, s1
	s_and_not1_b32 exec_lo, exec_lo, s1
	s_cbranch_execnz .LBB73_14
; %bb.15:
	s_or_b32 exec_lo, exec_lo, s1
.LBB73_16:
	s_delay_alu instid0(SALU_CYCLE_1) | instskip(SKIP_2) | instid1(VALU_DEP_2)
	s_or_b32 exec_lo, exec_lo, s0
	v_add_nc_u32_e32 v8, v6, v8
	v_add_nc_u32_e32 v7, v9, v7
	v_sub_nc_u32_e32 v8, v8, v9
	s_delay_alu instid0(VALU_DEP_2) | instskip(SKIP_2) | instid1(VALU_DEP_4)
	v_add_nc_u32_e32 v9, v1, v7
	v_cmp_le_i32_e32 vcc_lo, v6, v7
	v_min_i32_e32 v6, 16, v2
	v_add_nc_u32_e32 v10, v1, v8
	v_cmp_gt_i32_e64 s1, v5, v8
	ds_load_u8 v9, v9
	ds_load_u8 v10, v10
	; wave barrier
	s_waitcnt lgkmcnt(3)
	ds_store_b8 v3, v4
	; wave barrier
	s_waitcnt lgkmcnt(2)
	v_bfe_i32 v11, v9, 0, 8
	s_waitcnt lgkmcnt(1)
	v_bfe_i32 v12, v10, 0, 8
	s_delay_alu instid0(VALU_DEP_1) | instskip(NEXT) | instid1(VALU_DEP_1)
	v_cmp_lt_i16_e64 s0, v12, v11
	s_or_b32 s0, vcc_lo, s0
	s_delay_alu instid0(SALU_CYCLE_1) | instskip(SKIP_4) | instid1(VALU_DEP_3)
	s_and_b32 vcc_lo, s1, s0
	s_mov_b32 s0, exec_lo
	v_cndmask_b32_e32 v5, v7, v8, vcc_lo
	v_cndmask_b32_e32 v9, v9, v10, vcc_lo
	v_cmp_lt_i32_e32 vcc_lo, 15, v2
	v_add_nc_u32_e32 v5, v1, v5
	ds_load_u8 v4, v5
	v_add_nc_u32_e32 v5, -16, v2
	; wave barrier
	ds_store_b8 v3, v9
	v_cndmask_b32_e32 v5, 0, v5, vcc_lo
	; wave barrier
	s_delay_alu instid0(VALU_DEP_1)
	v_cmpx_lt_i32_e64 v5, v6
	s_cbranch_execz .LBB73_20
; %bb.17:
	v_add3_u32 v7, v1, 16, v2
	s_mov_b32 s1, 0
	.p2align	6
.LBB73_18:                              ; =>This Inner Loop Header: Depth=1
	v_sub_nc_u32_e32 v8, v6, v5
	s_delay_alu instid0(VALU_DEP_1) | instskip(NEXT) | instid1(VALU_DEP_1)
	v_lshrrev_b32_e32 v9, 31, v8
	v_add_nc_u32_e32 v8, v8, v9
	s_delay_alu instid0(VALU_DEP_1) | instskip(NEXT) | instid1(VALU_DEP_1)
	v_ashrrev_i32_e32 v8, 1, v8
	v_add_nc_u32_e32 v8, v8, v5
	s_delay_alu instid0(VALU_DEP_1)
	v_add_nc_u32_e32 v9, v1, v8
	v_xad_u32 v10, v8, -1, v7
	v_add_nc_u32_e32 v11, 1, v8
	ds_load_i8 v9, v9
	ds_load_i8 v10, v10
	s_waitcnt lgkmcnt(0)
	v_cmp_lt_i16_e32 vcc_lo, v10, v9
	v_dual_cndmask_b32 v6, v6, v8 :: v_dual_cndmask_b32 v5, v11, v5
	s_delay_alu instid0(VALU_DEP_1) | instskip(SKIP_1) | instid1(SALU_CYCLE_1)
	v_cmp_ge_i32_e32 vcc_lo, v5, v6
	s_or_b32 s1, vcc_lo, s1
	s_and_not1_b32 exec_lo, exec_lo, s1
	s_cbranch_execnz .LBB73_18
; %bb.19:
	s_or_b32 exec_lo, exec_lo, s1
.LBB73_20:
	s_delay_alu instid0(SALU_CYCLE_1) | instskip(SKIP_3) | instid1(VALU_DEP_3)
	s_or_b32 exec_lo, exec_lo, s0
	v_add_nc_u32_e32 v2, 16, v2
	v_add_nc_u32_e32 v6, v1, v5
	v_cmp_le_i32_e32 vcc_lo, 16, v5
	v_sub_nc_u32_e32 v2, v2, v5
	s_delay_alu instid0(VALU_DEP_1)
	v_add_nc_u32_e32 v7, v1, v2
	v_cmp_gt_i32_e64 s1, 32, v2
	ds_load_u8 v6, v6
	ds_load_u8 v7, v7
	; wave barrier
	s_waitcnt lgkmcnt(3)
	ds_store_b8 v3, v4
	; wave barrier
	s_waitcnt lgkmcnt(2)
	v_bfe_i32 v8, v6, 0, 8
	s_waitcnt lgkmcnt(1)
	v_bfe_i32 v9, v7, 0, 8
	s_delay_alu instid0(VALU_DEP_1) | instskip(NEXT) | instid1(VALU_DEP_1)
	v_cmp_lt_i16_e64 s0, v9, v8
	s_or_b32 s0, vcc_lo, s0
	s_delay_alu instid0(SALU_CYCLE_1)
	s_and_b32 vcc_lo, s1, s0
	s_add_u32 s0, s2, s4
	v_cndmask_b32_e32 v2, v5, v2, vcc_lo
	v_cndmask_b32_e32 v6, v6, v7, vcc_lo
	s_addc_u32 s1, s3, 0
	v_add_co_u32 v0, s0, s0, v0
	s_delay_alu instid0(VALU_DEP_3)
	v_add_nc_u32_e32 v1, v1, v2
	ds_load_u8 v1, v1
	s_waitcnt lgkmcnt(0)
	v_add_nc_u16 v2, v1, v6
	v_add_co_ci_u32_e64 v1, null, s1, 0, s0
	global_store_b8 v[0:1], v2, off
	s_nop 0
	s_sendmsg sendmsg(MSG_DEALLOC_VGPRS)
	s_endpgm
	.section	.rodata,"a",@progbits
	.p2align	6, 0x0
	.amdhsa_kernel _Z10sort_pairsILj256ELj32ELj1EaN10test_utils4lessEEvPKT2_PS2_T3_
		.amdhsa_group_segment_fixed_size 264
		.amdhsa_private_segment_fixed_size 0
		.amdhsa_kernarg_size 20
		.amdhsa_user_sgpr_count 15
		.amdhsa_user_sgpr_dispatch_ptr 0
		.amdhsa_user_sgpr_queue_ptr 0
		.amdhsa_user_sgpr_kernarg_segment_ptr 1
		.amdhsa_user_sgpr_dispatch_id 0
		.amdhsa_user_sgpr_private_segment_size 0
		.amdhsa_wavefront_size32 1
		.amdhsa_uses_dynamic_stack 0
		.amdhsa_enable_private_segment 0
		.amdhsa_system_sgpr_workgroup_id_x 1
		.amdhsa_system_sgpr_workgroup_id_y 0
		.amdhsa_system_sgpr_workgroup_id_z 0
		.amdhsa_system_sgpr_workgroup_info 0
		.amdhsa_system_vgpr_workitem_id 0
		.amdhsa_next_free_vgpr 17
		.amdhsa_next_free_sgpr 16
		.amdhsa_reserve_vcc 1
		.amdhsa_float_round_mode_32 0
		.amdhsa_float_round_mode_16_64 0
		.amdhsa_float_denorm_mode_32 3
		.amdhsa_float_denorm_mode_16_64 3
		.amdhsa_dx10_clamp 1
		.amdhsa_ieee_mode 1
		.amdhsa_fp16_overflow 0
		.amdhsa_workgroup_processor_mode 1
		.amdhsa_memory_ordered 1
		.amdhsa_forward_progress 0
		.amdhsa_shared_vgpr_count 0
		.amdhsa_exception_fp_ieee_invalid_op 0
		.amdhsa_exception_fp_denorm_src 0
		.amdhsa_exception_fp_ieee_div_zero 0
		.amdhsa_exception_fp_ieee_overflow 0
		.amdhsa_exception_fp_ieee_underflow 0
		.amdhsa_exception_fp_ieee_inexact 0
		.amdhsa_exception_int_div_zero 0
	.end_amdhsa_kernel
	.section	.text._Z10sort_pairsILj256ELj32ELj1EaN10test_utils4lessEEvPKT2_PS2_T3_,"axG",@progbits,_Z10sort_pairsILj256ELj32ELj1EaN10test_utils4lessEEvPKT2_PS2_T3_,comdat
.Lfunc_end73:
	.size	_Z10sort_pairsILj256ELj32ELj1EaN10test_utils4lessEEvPKT2_PS2_T3_, .Lfunc_end73-_Z10sort_pairsILj256ELj32ELj1EaN10test_utils4lessEEvPKT2_PS2_T3_
                                        ; -- End function
	.section	.AMDGPU.csdata,"",@progbits
; Kernel info:
; codeLenInByte = 1748
; NumSgprs: 18
; NumVgprs: 17
; ScratchSize: 0
; MemoryBound: 0
; FloatMode: 240
; IeeeMode: 1
; LDSByteSize: 264 bytes/workgroup (compile time only)
; SGPRBlocks: 2
; VGPRBlocks: 2
; NumSGPRsForWavesPerEU: 18
; NumVGPRsForWavesPerEU: 17
; Occupancy: 16
; WaveLimiterHint : 0
; COMPUTE_PGM_RSRC2:SCRATCH_EN: 0
; COMPUTE_PGM_RSRC2:USER_SGPR: 15
; COMPUTE_PGM_RSRC2:TRAP_HANDLER: 0
; COMPUTE_PGM_RSRC2:TGID_X_EN: 1
; COMPUTE_PGM_RSRC2:TGID_Y_EN: 0
; COMPUTE_PGM_RSRC2:TGID_Z_EN: 0
; COMPUTE_PGM_RSRC2:TIDIG_COMP_CNT: 0
	.section	.text._Z19sort_keys_segmentedILj256ELj32ELj1EaN10test_utils4lessEEvPKT2_PS2_PKjT3_,"axG",@progbits,_Z19sort_keys_segmentedILj256ELj32ELj1EaN10test_utils4lessEEvPKT2_PS2_PKjT3_,comdat
	.protected	_Z19sort_keys_segmentedILj256ELj32ELj1EaN10test_utils4lessEEvPKT2_PS2_PKjT3_ ; -- Begin function _Z19sort_keys_segmentedILj256ELj32ELj1EaN10test_utils4lessEEvPKT2_PS2_PKjT3_
	.globl	_Z19sort_keys_segmentedILj256ELj32ELj1EaN10test_utils4lessEEvPKT2_PS2_PKjT3_
	.p2align	8
	.type	_Z19sort_keys_segmentedILj256ELj32ELj1EaN10test_utils4lessEEvPKT2_PS2_PKjT3_,@function
_Z19sort_keys_segmentedILj256ELj32ELj1EaN10test_utils4lessEEvPKT2_PS2_PKjT3_: ; @_Z19sort_keys_segmentedILj256ELj32ELj1EaN10test_utils4lessEEvPKT2_PS2_PKjT3_
; %bb.0:
	s_clause 0x1
	s_load_b64 s[2:3], s[0:1], 0x10
	s_load_b128 s[4:7], s[0:1], 0x0
	v_lshrrev_b32_e32 v2, 5, v0
	v_mov_b32_e32 v5, 0
                                        ; implicit-def: $vgpr10
	s_delay_alu instid0(VALU_DEP_2) | instskip(NEXT) | instid1(VALU_DEP_1)
	v_lshl_or_b32 v4, s15, 3, v2
	v_lshlrev_b64 v[0:1], 2, v[4:5]
	s_waitcnt lgkmcnt(0)
	s_delay_alu instid0(VALU_DEP_1) | instskip(NEXT) | instid1(VALU_DEP_2)
	v_add_co_u32 v0, vcc_lo, s2, v0
	v_add_co_ci_u32_e32 v1, vcc_lo, s3, v1, vcc_lo
	global_load_b32 v3, v[0:1], off
	v_mbcnt_lo_u32_b32 v0, -1, 0
	v_lshlrev_b32_e32 v1, 5, v4
	s_waitcnt vmcnt(0)
	s_delay_alu instid0(VALU_DEP_2)
	v_cmp_lt_u32_e32 vcc_lo, v0, v3
	s_and_saveexec_b32 s1, vcc_lo
	s_cbranch_execz .LBB74_2
; %bb.1:
	v_add_co_u32 v4, s0, s4, v1
	s_delay_alu instid0(VALU_DEP_1) | instskip(NEXT) | instid1(VALU_DEP_2)
	v_add_co_ci_u32_e64 v5, null, s5, 0, s0
	v_add_co_u32 v4, s0, v4, v0
	s_delay_alu instid0(VALU_DEP_1)
	v_add_co_ci_u32_e64 v5, s0, 0, v5, s0
	global_load_u8 v10, v[4:5], off
.LBB74_2:
	s_or_b32 exec_lo, exec_lo, s1
	v_and_b32_e32 v4, 30, v0
	v_and_b32_e32 v8, 1, v0
	s_mov_b32 s1, exec_lo
	; wave barrier
	s_delay_alu instid0(VALU_DEP_2) | instskip(NEXT) | instid1(VALU_DEP_1)
	v_min_i32_e32 v5, v3, v4
	v_add_nc_u32_e32 v4, 1, v5
	s_delay_alu instid0(VALU_DEP_1) | instskip(NEXT) | instid1(VALU_DEP_1)
	v_min_i32_e32 v4, v3, v4
	v_add_nc_u32_e32 v6, 1, v4
	v_sub_nc_u32_e32 v11, v4, v5
	s_delay_alu instid0(VALU_DEP_2) | instskip(SKIP_1) | instid1(VALU_DEP_2)
	v_min_i32_e32 v7, v3, v6
	v_min_i32_e32 v6, v3, v8
	v_sub_nc_u32_e32 v8, v7, v4
	s_delay_alu instid0(VALU_DEP_1) | instskip(SKIP_1) | instid1(VALU_DEP_1)
	v_sub_nc_u32_e32 v9, v6, v8
	v_cmp_ge_i32_e64 s0, v6, v8
	v_cndmask_b32_e64 v8, 0, v9, s0
	v_min_i32_e32 v9, v6, v11
	v_mad_u32_u24 v11, v2, 33, v0
	v_mul_u32_u24_e32 v2, 33, v2
	s_waitcnt vmcnt(0)
	ds_store_b8 v11, v10
	; wave barrier
	v_cmpx_lt_i32_e64 v8, v9
	s_cbranch_execz .LBB74_6
; %bb.3:
	v_add_nc_u32_e32 v10, v2, v5
	v_add3_u32 v11, v2, v4, v6
	s_mov_b32 s2, 0
	.p2align	6
.LBB74_4:                               ; =>This Inner Loop Header: Depth=1
	v_sub_nc_u32_e32 v12, v9, v8
	s_delay_alu instid0(VALU_DEP_1) | instskip(NEXT) | instid1(VALU_DEP_1)
	v_lshrrev_b32_e32 v13, 31, v12
	v_add_nc_u32_e32 v12, v12, v13
	s_delay_alu instid0(VALU_DEP_1) | instskip(NEXT) | instid1(VALU_DEP_1)
	v_ashrrev_i32_e32 v12, 1, v12
	v_add_nc_u32_e32 v12, v12, v8
	s_delay_alu instid0(VALU_DEP_1)
	v_add_nc_u32_e32 v13, v10, v12
	v_xad_u32 v14, v12, -1, v11
	v_add_nc_u32_e32 v15, 1, v12
	ds_load_i8 v13, v13
	ds_load_i8 v14, v14
	s_waitcnt lgkmcnt(0)
	v_cmp_lt_i16_e64 s0, v14, v13
	s_delay_alu instid0(VALU_DEP_1) | instskip(SKIP_1) | instid1(VALU_DEP_1)
	v_cndmask_b32_e64 v9, v9, v12, s0
	v_cndmask_b32_e64 v8, v15, v8, s0
	v_cmp_ge_i32_e64 s0, v8, v9
	s_delay_alu instid0(VALU_DEP_1) | instskip(NEXT) | instid1(SALU_CYCLE_1)
	s_or_b32 s2, s0, s2
	s_and_not1_b32 exec_lo, exec_lo, s2
	s_cbranch_execnz .LBB74_4
; %bb.5:
	s_or_b32 exec_lo, exec_lo, s2
.LBB74_6:
	s_delay_alu instid0(SALU_CYCLE_1) | instskip(SKIP_3) | instid1(VALU_DEP_3)
	s_or_b32 exec_lo, exec_lo, s1
	v_add_nc_u32_e32 v6, v4, v6
	v_add_nc_u32_e32 v10, v8, v5
	v_and_b32_e32 v5, 28, v0
	v_sub_nc_u32_e32 v11, v6, v8
	s_delay_alu instid0(VALU_DEP_3) | instskip(NEXT) | instid1(VALU_DEP_3)
	v_add_nc_u32_e32 v6, v2, v10
	v_min_i32_e32 v8, v3, v5
	v_cmp_le_i32_e64 s0, v4, v10
	v_add_nc_u32_e32 v4, v2, v0
	v_add_nc_u32_e32 v9, v2, v11
	v_cmp_gt_i32_e64 s2, v7, v11
	v_add_nc_u32_e32 v5, 2, v8
	ds_load_u8 v12, v6
	ds_load_u8 v13, v9
	v_and_b32_e32 v9, 3, v0
	v_min_i32_e32 v6, v3, v5
	; wave barrier
	s_delay_alu instid0(VALU_DEP_2) | instskip(NEXT) | instid1(VALU_DEP_2)
	v_min_i32_e32 v9, v3, v9
	v_add_nc_u32_e32 v5, 2, v6
	v_sub_nc_u32_e32 v10, v6, v8
	s_delay_alu instid0(VALU_DEP_2) | instskip(NEXT) | instid1(VALU_DEP_2)
	v_min_i32_e32 v5, v3, v5
	v_min_i32_e32 v10, v9, v10
	s_delay_alu instid0(VALU_DEP_2) | instskip(SKIP_4) | instid1(VALU_DEP_1)
	v_sub_nc_u32_e32 v16, v5, v6
	s_waitcnt lgkmcnt(1)
	v_bfe_i32 v14, v12, 0, 8
	s_waitcnt lgkmcnt(0)
	v_bfe_i32 v15, v13, 0, 8
	v_cmp_lt_i16_e64 s1, v15, v14
	v_sub_nc_u32_e32 v14, v9, v16
	s_delay_alu instid0(VALU_DEP_2) | instskip(SKIP_1) | instid1(VALU_DEP_1)
	s_or_b32 s1, s0, s1
	v_cmp_ge_i32_e64 s0, v9, v16
	v_cndmask_b32_e64 v7, 0, v14, s0
	s_and_b32 s0, s2, s1
	s_mov_b32 s1, 0
	v_cndmask_b32_e64 v11, v12, v13, s0
	s_mov_b32 s2, exec_lo
	ds_store_b8 v4, v11
	; wave barrier
	v_cmpx_lt_i32_e64 v7, v10
	s_cbranch_execz .LBB74_10
; %bb.7:
	v_add_nc_u32_e32 v11, v2, v8
	v_add3_u32 v12, v2, v6, v9
	.p2align	6
.LBB74_8:                               ; =>This Inner Loop Header: Depth=1
	v_sub_nc_u32_e32 v13, v10, v7
	s_delay_alu instid0(VALU_DEP_1) | instskip(NEXT) | instid1(VALU_DEP_1)
	v_lshrrev_b32_e32 v14, 31, v13
	v_add_nc_u32_e32 v13, v13, v14
	s_delay_alu instid0(VALU_DEP_1) | instskip(NEXT) | instid1(VALU_DEP_1)
	v_ashrrev_i32_e32 v13, 1, v13
	v_add_nc_u32_e32 v13, v13, v7
	s_delay_alu instid0(VALU_DEP_1)
	v_add_nc_u32_e32 v14, v11, v13
	v_xad_u32 v15, v13, -1, v12
	v_add_nc_u32_e32 v16, 1, v13
	ds_load_i8 v14, v14
	ds_load_i8 v15, v15
	s_waitcnt lgkmcnt(0)
	v_cmp_lt_i16_e64 s0, v15, v14
	s_delay_alu instid0(VALU_DEP_1) | instskip(SKIP_1) | instid1(VALU_DEP_1)
	v_cndmask_b32_e64 v10, v10, v13, s0
	v_cndmask_b32_e64 v7, v16, v7, s0
	v_cmp_ge_i32_e64 s0, v7, v10
	s_delay_alu instid0(VALU_DEP_1) | instskip(NEXT) | instid1(SALU_CYCLE_1)
	s_or_b32 s1, s0, s1
	s_and_not1_b32 exec_lo, exec_lo, s1
	s_cbranch_execnz .LBB74_8
; %bb.9:
	s_or_b32 exec_lo, exec_lo, s1
.LBB74_10:
	s_delay_alu instid0(SALU_CYCLE_1) | instskip(SKIP_2) | instid1(VALU_DEP_2)
	s_or_b32 exec_lo, exec_lo, s2
	v_add_nc_u32_e32 v9, v6, v9
	v_add_nc_u32_e32 v11, v7, v8
	v_sub_nc_u32_e32 v12, v9, v7
	v_and_b32_e32 v7, 24, v0
	s_delay_alu instid0(VALU_DEP_3) | instskip(SKIP_1) | instid1(VALU_DEP_4)
	v_add_nc_u32_e32 v8, v2, v11
	v_cmp_le_i32_e64 s0, v6, v11
	v_add_nc_u32_e32 v10, v2, v12
	s_delay_alu instid0(VALU_DEP_4)
	v_min_i32_e32 v9, v3, v7
	v_cmp_gt_i32_e64 s2, v5, v12
	ds_load_u8 v13, v8
	ds_load_u8 v14, v10
	v_and_b32_e32 v10, 7, v0
	v_add_nc_u32_e32 v7, 4, v9
	; wave barrier
	s_delay_alu instid0(VALU_DEP_2) | instskip(NEXT) | instid1(VALU_DEP_2)
	v_min_i32_e32 v10, v3, v10
	v_min_i32_e32 v8, v3, v7
	s_delay_alu instid0(VALU_DEP_1) | instskip(SKIP_1) | instid1(VALU_DEP_2)
	v_add_nc_u32_e32 v7, 4, v8
	v_sub_nc_u32_e32 v6, v8, v9
	v_min_i32_e32 v7, v3, v7
	s_delay_alu instid0(VALU_DEP_2)
	v_min_i32_e32 v6, v10, v6
	s_waitcnt lgkmcnt(1)
	v_bfe_i32 v15, v13, 0, 8
	s_waitcnt lgkmcnt(0)
	v_bfe_i32 v16, v14, 0, 8
	v_sub_nc_u32_e32 v17, v7, v8
	s_delay_alu instid0(VALU_DEP_2) | instskip(NEXT) | instid1(VALU_DEP_2)
	v_cmp_lt_i16_e64 s1, v16, v15
	v_sub_nc_u32_e32 v11, v10, v17
	s_delay_alu instid0(VALU_DEP_2) | instskip(SKIP_1) | instid1(VALU_DEP_1)
	s_or_b32 s1, s0, s1
	v_cmp_ge_i32_e64 s0, v10, v17
	v_cndmask_b32_e64 v5, 0, v11, s0
	s_and_b32 s0, s2, s1
	s_mov_b32 s1, 0
	v_cndmask_b32_e64 v11, v13, v14, s0
	s_mov_b32 s2, exec_lo
	ds_store_b8 v4, v11
	; wave barrier
	v_cmpx_lt_i32_e64 v5, v6
	s_cbranch_execz .LBB74_14
; %bb.11:
	v_add_nc_u32_e32 v11, v2, v9
	v_add3_u32 v12, v2, v8, v10
	.p2align	6
.LBB74_12:                              ; =>This Inner Loop Header: Depth=1
	v_sub_nc_u32_e32 v13, v6, v5
	s_delay_alu instid0(VALU_DEP_1) | instskip(NEXT) | instid1(VALU_DEP_1)
	v_lshrrev_b32_e32 v14, 31, v13
	v_add_nc_u32_e32 v13, v13, v14
	s_delay_alu instid0(VALU_DEP_1) | instskip(NEXT) | instid1(VALU_DEP_1)
	v_ashrrev_i32_e32 v13, 1, v13
	v_add_nc_u32_e32 v13, v13, v5
	s_delay_alu instid0(VALU_DEP_1)
	v_add_nc_u32_e32 v14, v11, v13
	v_xad_u32 v15, v13, -1, v12
	v_add_nc_u32_e32 v16, 1, v13
	ds_load_i8 v14, v14
	ds_load_i8 v15, v15
	s_waitcnt lgkmcnt(0)
	v_cmp_lt_i16_e64 s0, v15, v14
	s_delay_alu instid0(VALU_DEP_1) | instskip(SKIP_1) | instid1(VALU_DEP_1)
	v_cndmask_b32_e64 v6, v6, v13, s0
	v_cndmask_b32_e64 v5, v16, v5, s0
	v_cmp_ge_i32_e64 s0, v5, v6
	s_delay_alu instid0(VALU_DEP_1) | instskip(NEXT) | instid1(SALU_CYCLE_1)
	s_or_b32 s1, s0, s1
	s_and_not1_b32 exec_lo, exec_lo, s1
	s_cbranch_execnz .LBB74_12
; %bb.13:
	s_or_b32 exec_lo, exec_lo, s1
.LBB74_14:
	s_delay_alu instid0(SALU_CYCLE_1) | instskip(SKIP_2) | instid1(VALU_DEP_2)
	s_or_b32 exec_lo, exec_lo, s2
	v_add_nc_u32_e32 v6, v8, v10
	v_add_nc_u32_e32 v11, v5, v9
	v_sub_nc_u32_e32 v12, v6, v5
	v_and_b32_e32 v5, 16, v0
	s_delay_alu instid0(VALU_DEP_3) | instskip(SKIP_1) | instid1(VALU_DEP_4)
	v_add_nc_u32_e32 v6, v2, v11
	v_cmp_le_i32_e64 s0, v8, v11
	v_add_nc_u32_e32 v10, v2, v12
	s_delay_alu instid0(VALU_DEP_4)
	v_min_i32_e32 v9, v3, v5
	v_cmp_gt_i32_e64 s2, v7, v12
	ds_load_u8 v13, v6
	ds_load_u8 v14, v10
	v_and_b32_e32 v10, 15, v0
	v_add_nc_u32_e32 v5, 8, v9
	; wave barrier
	s_delay_alu instid0(VALU_DEP_2) | instskip(NEXT) | instid1(VALU_DEP_2)
	v_min_i32_e32 v10, v3, v10
	v_min_i32_e32 v6, v3, v5
	s_delay_alu instid0(VALU_DEP_1) | instskip(SKIP_1) | instid1(VALU_DEP_2)
	v_add_nc_u32_e32 v5, 8, v6
	v_sub_nc_u32_e32 v8, v6, v9
	v_min_i32_e32 v5, v3, v5
	s_delay_alu instid0(VALU_DEP_2)
	v_min_i32_e32 v8, v10, v8
	s_waitcnt lgkmcnt(1)
	v_bfe_i32 v15, v13, 0, 8
	s_waitcnt lgkmcnt(0)
	v_bfe_i32 v16, v14, 0, 8
	v_sub_nc_u32_e32 v17, v5, v6
	s_delay_alu instid0(VALU_DEP_2) | instskip(NEXT) | instid1(VALU_DEP_2)
	v_cmp_lt_i16_e64 s1, v16, v15
	v_sub_nc_u32_e32 v11, v10, v17
	s_delay_alu instid0(VALU_DEP_2) | instskip(SKIP_1) | instid1(VALU_DEP_1)
	s_or_b32 s1, s0, s1
	v_cmp_ge_i32_e64 s0, v10, v17
	v_cndmask_b32_e64 v7, 0, v11, s0
	s_and_b32 s0, s2, s1
	s_mov_b32 s1, 0
	v_cndmask_b32_e64 v11, v13, v14, s0
	s_mov_b32 s2, exec_lo
	ds_store_b8 v4, v11
	; wave barrier
	v_cmpx_lt_i32_e64 v7, v8
	s_cbranch_execz .LBB74_18
; %bb.15:
	v_add_nc_u32_e32 v11, v2, v9
	v_add3_u32 v12, v2, v6, v10
	.p2align	6
.LBB74_16:                              ; =>This Inner Loop Header: Depth=1
	v_sub_nc_u32_e32 v13, v8, v7
	s_delay_alu instid0(VALU_DEP_1) | instskip(NEXT) | instid1(VALU_DEP_1)
	v_lshrrev_b32_e32 v14, 31, v13
	v_add_nc_u32_e32 v13, v13, v14
	s_delay_alu instid0(VALU_DEP_1) | instskip(NEXT) | instid1(VALU_DEP_1)
	v_ashrrev_i32_e32 v13, 1, v13
	v_add_nc_u32_e32 v13, v13, v7
	s_delay_alu instid0(VALU_DEP_1)
	v_add_nc_u32_e32 v14, v11, v13
	v_xad_u32 v15, v13, -1, v12
	v_add_nc_u32_e32 v16, 1, v13
	ds_load_i8 v14, v14
	ds_load_i8 v15, v15
	s_waitcnt lgkmcnt(0)
	v_cmp_lt_i16_e64 s0, v15, v14
	s_delay_alu instid0(VALU_DEP_1) | instskip(SKIP_1) | instid1(VALU_DEP_1)
	v_cndmask_b32_e64 v8, v8, v13, s0
	v_cndmask_b32_e64 v7, v16, v7, s0
	v_cmp_ge_i32_e64 s0, v7, v8
	s_delay_alu instid0(VALU_DEP_1) | instskip(NEXT) | instid1(SALU_CYCLE_1)
	s_or_b32 s1, s0, s1
	s_and_not1_b32 exec_lo, exec_lo, s1
	s_cbranch_execnz .LBB74_16
; %bb.17:
	s_or_b32 exec_lo, exec_lo, s1
.LBB74_18:
	s_delay_alu instid0(SALU_CYCLE_1) | instskip(SKIP_3) | instid1(VALU_DEP_3)
	s_or_b32 exec_lo, exec_lo, s2
	v_add_nc_u32_e32 v8, v6, v10
	v_add_nc_u32_e32 v10, v7, v9
	v_min_i32_e32 v9, 0, v3
	v_sub_nc_u32_e32 v11, v8, v7
	s_delay_alu instid0(VALU_DEP_3) | instskip(SKIP_1) | instid1(VALU_DEP_3)
	v_add_nc_u32_e32 v7, v2, v10
	v_cmp_le_i32_e64 s0, v6, v10
	v_add_nc_u32_e32 v8, v2, v11
	v_cmp_gt_i32_e64 s2, v5, v11
	ds_load_u8 v12, v7
	ds_load_u8 v13, v8
	v_add_nc_u32_e32 v7, 16, v9
	; wave barrier
	s_delay_alu instid0(VALU_DEP_1) | instskip(NEXT) | instid1(VALU_DEP_1)
	v_min_i32_e32 v8, v3, v7
	v_add_nc_u32_e32 v7, 16, v8
	v_sub_nc_u32_e32 v6, v8, v9
	s_delay_alu instid0(VALU_DEP_2)
	v_min_i32_e32 v7, v3, v7
	v_min_i32_e32 v3, v3, v0
	s_waitcnt lgkmcnt(1)
	v_bfe_i32 v14, v12, 0, 8
	s_waitcnt lgkmcnt(0)
	v_bfe_i32 v15, v13, 0, 8
	v_sub_nc_u32_e32 v16, v7, v8
	v_min_i32_e32 v6, v3, v6
	s_delay_alu instid0(VALU_DEP_3) | instskip(NEXT) | instid1(VALU_DEP_3)
	v_cmp_lt_i16_e64 s1, v15, v14
	v_sub_nc_u32_e32 v10, v3, v16
	s_delay_alu instid0(VALU_DEP_2) | instskip(SKIP_1) | instid1(VALU_DEP_1)
	s_or_b32 s1, s0, s1
	v_cmp_ge_i32_e64 s0, v3, v16
	v_cndmask_b32_e64 v5, 0, v10, s0
	s_and_b32 s0, s2, s1
	s_mov_b32 s1, 0
	v_cndmask_b32_e64 v10, v12, v13, s0
	s_mov_b32 s2, exec_lo
	ds_store_b8 v4, v10
	; wave barrier
	v_cmpx_lt_i32_e64 v5, v6
	s_cbranch_execnz .LBB74_21
; %bb.19:
	s_or_b32 exec_lo, exec_lo, s2
	s_and_saveexec_b32 s0, vcc_lo
	s_cbranch_execnz .LBB74_24
.LBB74_20:
	s_endpgm
.LBB74_21:
	v_add_nc_u32_e32 v4, v2, v9
	v_add3_u32 v10, v2, v8, v3
	.p2align	6
.LBB74_22:                              ; =>This Inner Loop Header: Depth=1
	v_sub_nc_u32_e32 v11, v6, v5
	s_delay_alu instid0(VALU_DEP_1) | instskip(NEXT) | instid1(VALU_DEP_1)
	v_lshrrev_b32_e32 v12, 31, v11
	v_add_nc_u32_e32 v11, v11, v12
	s_delay_alu instid0(VALU_DEP_1) | instskip(NEXT) | instid1(VALU_DEP_1)
	v_ashrrev_i32_e32 v11, 1, v11
	v_add_nc_u32_e32 v11, v11, v5
	s_delay_alu instid0(VALU_DEP_1)
	v_add_nc_u32_e32 v12, v4, v11
	v_xad_u32 v13, v11, -1, v10
	v_add_nc_u32_e32 v14, 1, v11
	ds_load_i8 v12, v12
	ds_load_i8 v13, v13
	s_waitcnt lgkmcnt(0)
	v_cmp_lt_i16_e64 s0, v13, v12
	s_delay_alu instid0(VALU_DEP_1) | instskip(SKIP_1) | instid1(VALU_DEP_1)
	v_cndmask_b32_e64 v6, v6, v11, s0
	v_cndmask_b32_e64 v5, v14, v5, s0
	v_cmp_ge_i32_e64 s0, v5, v6
	s_delay_alu instid0(VALU_DEP_1) | instskip(NEXT) | instid1(SALU_CYCLE_1)
	s_or_b32 s1, s0, s1
	s_and_not1_b32 exec_lo, exec_lo, s1
	s_cbranch_execnz .LBB74_22
; %bb.23:
	s_or_b32 exec_lo, exec_lo, s1
	s_delay_alu instid0(SALU_CYCLE_1)
	s_or_b32 exec_lo, exec_lo, s2
	s_and_saveexec_b32 s0, vcc_lo
	s_cbranch_execz .LBB74_20
.LBB74_24:
	v_add_nc_u32_e32 v3, v8, v3
	v_add_nc_u32_e32 v4, v5, v9
	v_add_co_u32 v1, s1, s6, v1
	s_delay_alu instid0(VALU_DEP_3) | instskip(NEXT) | instid1(VALU_DEP_3)
	v_sub_nc_u32_e32 v3, v3, v5
	v_cmp_le_i32_e32 vcc_lo, v8, v4
	s_delay_alu instid0(VALU_DEP_2)
	v_add_nc_u32_e32 v5, v2, v3
	v_add_nc_u32_e32 v2, v2, v4
	v_add_co_ci_u32_e64 v4, null, s7, 0, s1
	v_cmp_gt_i32_e64 s1, v7, v3
	ds_load_u8 v5, v5
	ds_load_u8 v2, v2
	s_waitcnt lgkmcnt(1)
	v_bfe_i32 v6, v5, 0, 8
	s_waitcnt lgkmcnt(0)
	v_bfe_i32 v9, v2, 0, 8
	s_delay_alu instid0(VALU_DEP_1) | instskip(NEXT) | instid1(VALU_DEP_1)
	v_cmp_lt_i16_e64 s0, v6, v9
	s_or_b32 s0, vcc_lo, s0
	v_add_co_u32 v0, vcc_lo, v1, v0
	v_add_co_ci_u32_e32 v1, vcc_lo, 0, v4, vcc_lo
	s_and_b32 vcc_lo, s1, s0
	v_cndmask_b32_e32 v2, v2, v5, vcc_lo
	global_store_b8 v[0:1], v2, off
	s_nop 0
	s_sendmsg sendmsg(MSG_DEALLOC_VGPRS)
	s_endpgm
	.section	.rodata,"a",@progbits
	.p2align	6, 0x0
	.amdhsa_kernel _Z19sort_keys_segmentedILj256ELj32ELj1EaN10test_utils4lessEEvPKT2_PS2_PKjT3_
		.amdhsa_group_segment_fixed_size 264
		.amdhsa_private_segment_fixed_size 0
		.amdhsa_kernarg_size 28
		.amdhsa_user_sgpr_count 15
		.amdhsa_user_sgpr_dispatch_ptr 0
		.amdhsa_user_sgpr_queue_ptr 0
		.amdhsa_user_sgpr_kernarg_segment_ptr 1
		.amdhsa_user_sgpr_dispatch_id 0
		.amdhsa_user_sgpr_private_segment_size 0
		.amdhsa_wavefront_size32 1
		.amdhsa_uses_dynamic_stack 0
		.amdhsa_enable_private_segment 0
		.amdhsa_system_sgpr_workgroup_id_x 1
		.amdhsa_system_sgpr_workgroup_id_y 0
		.amdhsa_system_sgpr_workgroup_id_z 0
		.amdhsa_system_sgpr_workgroup_info 0
		.amdhsa_system_vgpr_workitem_id 0
		.amdhsa_next_free_vgpr 18
		.amdhsa_next_free_sgpr 16
		.amdhsa_reserve_vcc 1
		.amdhsa_float_round_mode_32 0
		.amdhsa_float_round_mode_16_64 0
		.amdhsa_float_denorm_mode_32 3
		.amdhsa_float_denorm_mode_16_64 3
		.amdhsa_dx10_clamp 1
		.amdhsa_ieee_mode 1
		.amdhsa_fp16_overflow 0
		.amdhsa_workgroup_processor_mode 1
		.amdhsa_memory_ordered 1
		.amdhsa_forward_progress 0
		.amdhsa_shared_vgpr_count 0
		.amdhsa_exception_fp_ieee_invalid_op 0
		.amdhsa_exception_fp_denorm_src 0
		.amdhsa_exception_fp_ieee_div_zero 0
		.amdhsa_exception_fp_ieee_overflow 0
		.amdhsa_exception_fp_ieee_underflow 0
		.amdhsa_exception_fp_ieee_inexact 0
		.amdhsa_exception_int_div_zero 0
	.end_amdhsa_kernel
	.section	.text._Z19sort_keys_segmentedILj256ELj32ELj1EaN10test_utils4lessEEvPKT2_PS2_PKjT3_,"axG",@progbits,_Z19sort_keys_segmentedILj256ELj32ELj1EaN10test_utils4lessEEvPKT2_PS2_PKjT3_,comdat
.Lfunc_end74:
	.size	_Z19sort_keys_segmentedILj256ELj32ELj1EaN10test_utils4lessEEvPKT2_PS2_PKjT3_, .Lfunc_end74-_Z19sort_keys_segmentedILj256ELj32ELj1EaN10test_utils4lessEEvPKT2_PS2_PKjT3_
                                        ; -- End function
	.section	.AMDGPU.csdata,"",@progbits
; Kernel info:
; codeLenInByte = 2040
; NumSgprs: 18
; NumVgprs: 18
; ScratchSize: 0
; MemoryBound: 0
; FloatMode: 240
; IeeeMode: 1
; LDSByteSize: 264 bytes/workgroup (compile time only)
; SGPRBlocks: 2
; VGPRBlocks: 2
; NumSGPRsForWavesPerEU: 18
; NumVGPRsForWavesPerEU: 18
; Occupancy: 16
; WaveLimiterHint : 0
; COMPUTE_PGM_RSRC2:SCRATCH_EN: 0
; COMPUTE_PGM_RSRC2:USER_SGPR: 15
; COMPUTE_PGM_RSRC2:TRAP_HANDLER: 0
; COMPUTE_PGM_RSRC2:TGID_X_EN: 1
; COMPUTE_PGM_RSRC2:TGID_Y_EN: 0
; COMPUTE_PGM_RSRC2:TGID_Z_EN: 0
; COMPUTE_PGM_RSRC2:TIDIG_COMP_CNT: 0
	.section	.text._Z20sort_pairs_segmentedILj256ELj32ELj1EaN10test_utils4lessEEvPKT2_PS2_PKjT3_,"axG",@progbits,_Z20sort_pairs_segmentedILj256ELj32ELj1EaN10test_utils4lessEEvPKT2_PS2_PKjT3_,comdat
	.protected	_Z20sort_pairs_segmentedILj256ELj32ELj1EaN10test_utils4lessEEvPKT2_PS2_PKjT3_ ; -- Begin function _Z20sort_pairs_segmentedILj256ELj32ELj1EaN10test_utils4lessEEvPKT2_PS2_PKjT3_
	.globl	_Z20sort_pairs_segmentedILj256ELj32ELj1EaN10test_utils4lessEEvPKT2_PS2_PKjT3_
	.p2align	8
	.type	_Z20sort_pairs_segmentedILj256ELj32ELj1EaN10test_utils4lessEEvPKT2_PS2_PKjT3_,@function
_Z20sort_pairs_segmentedILj256ELj32ELj1EaN10test_utils4lessEEvPKT2_PS2_PKjT3_: ; @_Z20sort_pairs_segmentedILj256ELj32ELj1EaN10test_utils4lessEEvPKT2_PS2_PKjT3_
; %bb.0:
	s_clause 0x1
	s_load_b64 s[2:3], s[0:1], 0x10
	s_load_b128 s[4:7], s[0:1], 0x0
	v_lshrrev_b32_e32 v2, 5, v0
	v_mov_b32_e32 v5, 0
	s_delay_alu instid0(VALU_DEP_2) | instskip(NEXT) | instid1(VALU_DEP_1)
	v_lshl_or_b32 v4, s15, 3, v2
	v_lshlrev_b64 v[0:1], 2, v[4:5]
	s_waitcnt lgkmcnt(0)
	s_delay_alu instid0(VALU_DEP_1) | instskip(NEXT) | instid1(VALU_DEP_2)
	v_add_co_u32 v0, vcc_lo, s2, v0
	v_add_co_ci_u32_e32 v1, vcc_lo, s3, v1, vcc_lo
	global_load_b32 v3, v[0:1], off
	v_mbcnt_lo_u32_b32 v0, -1, 0
	v_lshlrev_b32_e32 v1, 5, v4
                                        ; implicit-def: $vgpr4
	s_waitcnt vmcnt(0)
	s_delay_alu instid0(VALU_DEP_2)
	v_cmp_lt_u32_e32 vcc_lo, v0, v3
	s_and_saveexec_b32 s1, vcc_lo
	s_cbranch_execz .LBB75_2
; %bb.1:
	v_add_co_u32 v4, s0, s4, v1
	s_delay_alu instid0(VALU_DEP_1) | instskip(NEXT) | instid1(VALU_DEP_2)
	v_add_co_ci_u32_e64 v5, null, s5, 0, s0
	v_add_co_u32 v4, s0, v4, v0
	s_delay_alu instid0(VALU_DEP_1)
	v_add_co_ci_u32_e64 v5, s0, 0, v5, s0
	global_load_u8 v4, v[4:5], off
.LBB75_2:
	s_or_b32 exec_lo, exec_lo, s1
	v_and_b32_e32 v5, 30, v0
	v_and_b32_e32 v8, 1, v0
	s_mov_b32 s1, exec_lo
	; wave barrier
	s_delay_alu instid0(VALU_DEP_2) | instskip(NEXT) | instid1(VALU_DEP_2)
	v_min_i32_e32 v7, v3, v5
	v_min_i32_e32 v8, v3, v8
	s_delay_alu instid0(VALU_DEP_2) | instskip(NEXT) | instid1(VALU_DEP_1)
	v_add_nc_u32_e32 v5, 1, v7
	v_min_i32_e32 v5, v3, v5
	s_delay_alu instid0(VALU_DEP_1) | instskip(SKIP_1) | instid1(VALU_DEP_2)
	v_add_nc_u32_e32 v6, 1, v5
	v_sub_nc_u32_e32 v11, v5, v7
	v_min_i32_e32 v6, v3, v6
	s_delay_alu instid0(VALU_DEP_1) | instskip(NEXT) | instid1(VALU_DEP_1)
	v_sub_nc_u32_e32 v9, v6, v5
	v_sub_nc_u32_e32 v10, v8, v9
	v_cmp_ge_i32_e64 s0, v8, v9
	s_delay_alu instid0(VALU_DEP_1)
	v_cndmask_b32_e64 v9, 0, v10, s0
	v_min_i32_e32 v10, v8, v11
	v_mad_u32_u24 v11, v2, 33, v0
	v_mul_u32_u24_e32 v2, 33, v2
	s_waitcnt vmcnt(0)
	ds_store_b8 v11, v4
	; wave barrier
	v_cmpx_lt_i32_e64 v9, v10
	s_cbranch_execz .LBB75_6
; %bb.3:
	v_add_nc_u32_e32 v11, v2, v7
	v_add3_u32 v12, v2, v5, v8
	s_mov_b32 s2, 0
	.p2align	6
.LBB75_4:                               ; =>This Inner Loop Header: Depth=1
	v_sub_nc_u32_e32 v13, v10, v9
	s_delay_alu instid0(VALU_DEP_1) | instskip(NEXT) | instid1(VALU_DEP_1)
	v_lshrrev_b32_e32 v14, 31, v13
	v_add_nc_u32_e32 v13, v13, v14
	s_delay_alu instid0(VALU_DEP_1) | instskip(NEXT) | instid1(VALU_DEP_1)
	v_ashrrev_i32_e32 v13, 1, v13
	v_add_nc_u32_e32 v13, v13, v9
	s_delay_alu instid0(VALU_DEP_1)
	v_add_nc_u32_e32 v14, v11, v13
	v_xad_u32 v15, v13, -1, v12
	v_add_nc_u32_e32 v16, 1, v13
	ds_load_i8 v14, v14
	ds_load_i8 v15, v15
	s_waitcnt lgkmcnt(0)
	v_cmp_lt_i16_e64 s0, v15, v14
	s_delay_alu instid0(VALU_DEP_1) | instskip(SKIP_1) | instid1(VALU_DEP_1)
	v_cndmask_b32_e64 v10, v10, v13, s0
	v_cndmask_b32_e64 v9, v16, v9, s0
	v_cmp_ge_i32_e64 s0, v9, v10
	s_delay_alu instid0(VALU_DEP_1) | instskip(NEXT) | instid1(SALU_CYCLE_1)
	s_or_b32 s2, s0, s2
	s_and_not1_b32 exec_lo, exec_lo, s2
	s_cbranch_execnz .LBB75_4
; %bb.5:
	s_or_b32 exec_lo, exec_lo, s2
.LBB75_6:
	s_delay_alu instid0(SALU_CYCLE_1) | instskip(SKIP_2) | instid1(VALU_DEP_2)
	s_or_b32 exec_lo, exec_lo, s1
	v_add_nc_u32_e32 v8, v5, v8
	v_add_nc_u32_e32 v7, v9, v7
	v_sub_nc_u32_e32 v9, v8, v9
	s_delay_alu instid0(VALU_DEP_2) | instskip(SKIP_1) | instid1(VALU_DEP_3)
	v_add_nc_u32_e32 v8, v2, v7
	v_cmp_le_i32_e64 s0, v5, v7
	v_add_nc_u32_e32 v10, v2, v9
	v_cmp_gt_i32_e64 s2, v6, v9
	v_add_nc_u16 v6, v4, 1
	v_add_nc_u32_e32 v4, v2, v0
	ds_load_u8 v11, v8
	ds_load_u8 v10, v10
	v_and_b32_e32 v8, 28, v0
	; wave barrier
	ds_store_b8 v4, v6
	v_and_b32_e32 v6, 3, v0
	v_min_i32_e32 v8, v3, v8
	; wave barrier
	s_delay_alu instid0(VALU_DEP_1) | instskip(NEXT) | instid1(VALU_DEP_1)
	v_add_nc_u32_e32 v14, 2, v8
	v_min_i32_e32 v5, v3, v14
	s_waitcnt lgkmcnt(2)
	v_bfe_i32 v12, v11, 0, 8
	s_waitcnt lgkmcnt(1)
	v_bfe_i32 v13, v10, 0, 8
	s_delay_alu instid0(VALU_DEP_1) | instskip(SKIP_1) | instid1(VALU_DEP_2)
	v_cmp_lt_i16_e64 s1, v13, v12
	v_add_nc_u32_e32 v12, 2, v5
	s_or_b32 s0, s0, s1
	s_mov_b32 s1, exec_lo
	s_and_b32 s0, s2, s0
	s_mov_b32 s2, 0
	v_cndmask_b32_e64 v9, v7, v9, s0
	v_cndmask_b32_e64 v13, v11, v10, s0
	v_min_i32_e32 v7, v3, v12
	v_sub_nc_u32_e32 v12, v5, v8
	s_delay_alu instid0(VALU_DEP_4) | instskip(SKIP_1) | instid1(VALU_DEP_4)
	v_add_nc_u32_e32 v10, v2, v9
	v_min_i32_e32 v9, v3, v6
	v_sub_nc_u32_e32 v11, v7, v5
	ds_load_u8 v6, v10
	v_sub_nc_u32_e32 v10, v9, v11
	v_cmp_ge_i32_e64 s0, v9, v11
	v_min_i32_e32 v11, v9, v12
	; wave barrier
	ds_store_b8 v4, v13
	v_cndmask_b32_e64 v10, 0, v10, s0
	; wave barrier
	s_delay_alu instid0(VALU_DEP_1)
	v_cmpx_lt_i32_e64 v10, v11
	s_cbranch_execz .LBB75_10
; %bb.7:
	v_add_nc_u32_e32 v12, v2, v8
	v_add3_u32 v13, v2, v5, v9
	.p2align	6
.LBB75_8:                               ; =>This Inner Loop Header: Depth=1
	v_sub_nc_u32_e32 v14, v11, v10
	s_delay_alu instid0(VALU_DEP_1) | instskip(NEXT) | instid1(VALU_DEP_1)
	v_lshrrev_b32_e32 v15, 31, v14
	v_add_nc_u32_e32 v14, v14, v15
	s_delay_alu instid0(VALU_DEP_1) | instskip(NEXT) | instid1(VALU_DEP_1)
	v_ashrrev_i32_e32 v14, 1, v14
	v_add_nc_u32_e32 v14, v14, v10
	s_delay_alu instid0(VALU_DEP_1)
	v_add_nc_u32_e32 v15, v12, v14
	v_xad_u32 v16, v14, -1, v13
	v_add_nc_u32_e32 v17, 1, v14
	ds_load_i8 v15, v15
	ds_load_i8 v16, v16
	s_waitcnt lgkmcnt(0)
	v_cmp_lt_i16_e64 s0, v16, v15
	s_delay_alu instid0(VALU_DEP_1) | instskip(SKIP_1) | instid1(VALU_DEP_1)
	v_cndmask_b32_e64 v11, v11, v14, s0
	v_cndmask_b32_e64 v10, v17, v10, s0
	v_cmp_ge_i32_e64 s0, v10, v11
	s_delay_alu instid0(VALU_DEP_1) | instskip(NEXT) | instid1(SALU_CYCLE_1)
	s_or_b32 s2, s0, s2
	s_and_not1_b32 exec_lo, exec_lo, s2
	s_cbranch_execnz .LBB75_8
; %bb.9:
	s_or_b32 exec_lo, exec_lo, s2
.LBB75_10:
	s_delay_alu instid0(SALU_CYCLE_1) | instskip(SKIP_2) | instid1(VALU_DEP_2)
	s_or_b32 exec_lo, exec_lo, s1
	v_add_nc_u32_e32 v9, v5, v9
	v_add_nc_u32_e32 v11, v10, v8
	v_sub_nc_u32_e32 v9, v9, v10
	s_delay_alu instid0(VALU_DEP_2) | instskip(SKIP_1) | instid1(VALU_DEP_3)
	v_add_nc_u32_e32 v8, v2, v11
	v_cmp_le_i32_e64 s0, v5, v11
	v_add_nc_u32_e32 v10, v2, v9
	v_cmp_gt_i32_e64 s2, v7, v9
	ds_load_u8 v12, v8
	ds_load_u8 v10, v10
	v_and_b32_e32 v8, 24, v0
	; wave barrier
	s_waitcnt lgkmcnt(3)
	ds_store_b8 v4, v6
	v_and_b32_e32 v6, 7, v0
	v_min_i32_e32 v8, v3, v8
	; wave barrier
	s_delay_alu instid0(VALU_DEP_1) | instskip(NEXT) | instid1(VALU_DEP_1)
	v_add_nc_u32_e32 v15, 4, v8
	v_min_i32_e32 v5, v3, v15
	s_waitcnt lgkmcnt(2)
	v_bfe_i32 v13, v12, 0, 8
	s_waitcnt lgkmcnt(1)
	v_bfe_i32 v14, v10, 0, 8
	v_add_nc_u32_e32 v7, 4, v5
	s_delay_alu instid0(VALU_DEP_2) | instskip(NEXT) | instid1(VALU_DEP_2)
	v_cmp_lt_i16_e64 s1, v14, v13
	v_min_i32_e32 v7, v3, v7
	v_sub_nc_u32_e32 v13, v5, v8
	s_delay_alu instid0(VALU_DEP_3)
	s_or_b32 s0, s0, s1
	s_mov_b32 s1, exec_lo
	s_and_b32 s0, s2, s0
	s_mov_b32 s2, 0
	v_cndmask_b32_e64 v9, v11, v9, s0
	v_cndmask_b32_e64 v12, v12, v10, s0
	v_sub_nc_u32_e32 v11, v7, v5
	s_delay_alu instid0(VALU_DEP_3)
	v_add_nc_u32_e32 v10, v2, v9
	v_min_i32_e32 v9, v3, v6
	ds_load_u8 v6, v10
	v_sub_nc_u32_e32 v10, v9, v11
	v_cmp_ge_i32_e64 s0, v9, v11
	v_min_i32_e32 v11, v9, v13
	; wave barrier
	ds_store_b8 v4, v12
	v_cndmask_b32_e64 v10, 0, v10, s0
	; wave barrier
	s_delay_alu instid0(VALU_DEP_1)
	v_cmpx_lt_i32_e64 v10, v11
	s_cbranch_execz .LBB75_14
; %bb.11:
	v_add_nc_u32_e32 v12, v2, v8
	v_add3_u32 v13, v2, v5, v9
	.p2align	6
.LBB75_12:                              ; =>This Inner Loop Header: Depth=1
	v_sub_nc_u32_e32 v14, v11, v10
	s_delay_alu instid0(VALU_DEP_1) | instskip(NEXT) | instid1(VALU_DEP_1)
	v_lshrrev_b32_e32 v15, 31, v14
	v_add_nc_u32_e32 v14, v14, v15
	s_delay_alu instid0(VALU_DEP_1) | instskip(NEXT) | instid1(VALU_DEP_1)
	v_ashrrev_i32_e32 v14, 1, v14
	v_add_nc_u32_e32 v14, v14, v10
	s_delay_alu instid0(VALU_DEP_1)
	v_add_nc_u32_e32 v15, v12, v14
	v_xad_u32 v16, v14, -1, v13
	v_add_nc_u32_e32 v17, 1, v14
	ds_load_i8 v15, v15
	ds_load_i8 v16, v16
	s_waitcnt lgkmcnt(0)
	v_cmp_lt_i16_e64 s0, v16, v15
	s_delay_alu instid0(VALU_DEP_1) | instskip(SKIP_1) | instid1(VALU_DEP_1)
	v_cndmask_b32_e64 v11, v11, v14, s0
	v_cndmask_b32_e64 v10, v17, v10, s0
	v_cmp_ge_i32_e64 s0, v10, v11
	s_delay_alu instid0(VALU_DEP_1) | instskip(NEXT) | instid1(SALU_CYCLE_1)
	s_or_b32 s2, s0, s2
	s_and_not1_b32 exec_lo, exec_lo, s2
	s_cbranch_execnz .LBB75_12
; %bb.13:
	s_or_b32 exec_lo, exec_lo, s2
.LBB75_14:
	s_delay_alu instid0(SALU_CYCLE_1) | instskip(SKIP_2) | instid1(VALU_DEP_2)
	s_or_b32 exec_lo, exec_lo, s1
	v_add_nc_u32_e32 v9, v5, v9
	v_add_nc_u32_e32 v11, v10, v8
	v_sub_nc_u32_e32 v9, v9, v10
	s_delay_alu instid0(VALU_DEP_2) | instskip(SKIP_1) | instid1(VALU_DEP_3)
	v_add_nc_u32_e32 v8, v2, v11
	v_cmp_le_i32_e64 s0, v5, v11
	v_add_nc_u32_e32 v10, v2, v9
	v_cmp_gt_i32_e64 s2, v7, v9
	ds_load_u8 v12, v8
	ds_load_u8 v10, v10
	v_and_b32_e32 v8, 16, v0
	; wave barrier
	s_waitcnt lgkmcnt(3)
	ds_store_b8 v4, v6
	v_and_b32_e32 v6, 15, v0
	v_min_i32_e32 v8, v3, v8
	; wave barrier
	s_delay_alu instid0(VALU_DEP_1) | instskip(NEXT) | instid1(VALU_DEP_1)
	v_add_nc_u32_e32 v15, 8, v8
	v_min_i32_e32 v5, v3, v15
	s_waitcnt lgkmcnt(2)
	v_bfe_i32 v13, v12, 0, 8
	s_waitcnt lgkmcnt(1)
	v_bfe_i32 v14, v10, 0, 8
	v_add_nc_u32_e32 v7, 8, v5
	s_delay_alu instid0(VALU_DEP_2) | instskip(NEXT) | instid1(VALU_DEP_2)
	v_cmp_lt_i16_e64 s1, v14, v13
	v_min_i32_e32 v7, v3, v7
	v_sub_nc_u32_e32 v13, v5, v8
	s_delay_alu instid0(VALU_DEP_3)
	s_or_b32 s0, s0, s1
	s_mov_b32 s1, exec_lo
	s_and_b32 s0, s2, s0
	s_mov_b32 s2, 0
	v_cndmask_b32_e64 v9, v11, v9, s0
	v_cndmask_b32_e64 v12, v12, v10, s0
	v_sub_nc_u32_e32 v11, v7, v5
	s_delay_alu instid0(VALU_DEP_3)
	v_add_nc_u32_e32 v10, v2, v9
	v_min_i32_e32 v9, v3, v6
	ds_load_u8 v6, v10
	v_sub_nc_u32_e32 v10, v9, v11
	v_cmp_ge_i32_e64 s0, v9, v11
	v_min_i32_e32 v11, v9, v13
	; wave barrier
	ds_store_b8 v4, v12
	v_cndmask_b32_e64 v10, 0, v10, s0
	; wave barrier
	s_delay_alu instid0(VALU_DEP_1)
	v_cmpx_lt_i32_e64 v10, v11
	s_cbranch_execz .LBB75_18
; %bb.15:
	v_add_nc_u32_e32 v12, v2, v8
	v_add3_u32 v13, v2, v5, v9
	.p2align	6
.LBB75_16:                              ; =>This Inner Loop Header: Depth=1
	v_sub_nc_u32_e32 v14, v11, v10
	s_delay_alu instid0(VALU_DEP_1) | instskip(NEXT) | instid1(VALU_DEP_1)
	v_lshrrev_b32_e32 v15, 31, v14
	v_add_nc_u32_e32 v14, v14, v15
	s_delay_alu instid0(VALU_DEP_1) | instskip(NEXT) | instid1(VALU_DEP_1)
	v_ashrrev_i32_e32 v14, 1, v14
	v_add_nc_u32_e32 v14, v14, v10
	s_delay_alu instid0(VALU_DEP_1)
	v_add_nc_u32_e32 v15, v12, v14
	v_xad_u32 v16, v14, -1, v13
	v_add_nc_u32_e32 v17, 1, v14
	ds_load_i8 v15, v15
	ds_load_i8 v16, v16
	s_waitcnt lgkmcnt(0)
	v_cmp_lt_i16_e64 s0, v16, v15
	s_delay_alu instid0(VALU_DEP_1) | instskip(SKIP_1) | instid1(VALU_DEP_1)
	v_cndmask_b32_e64 v11, v11, v14, s0
	v_cndmask_b32_e64 v10, v17, v10, s0
	v_cmp_ge_i32_e64 s0, v10, v11
	s_delay_alu instid0(VALU_DEP_1) | instskip(NEXT) | instid1(SALU_CYCLE_1)
	s_or_b32 s2, s0, s2
	s_and_not1_b32 exec_lo, exec_lo, s2
	s_cbranch_execnz .LBB75_16
; %bb.17:
	s_or_b32 exec_lo, exec_lo, s2
.LBB75_18:
	s_delay_alu instid0(SALU_CYCLE_1) | instskip(SKIP_2) | instid1(VALU_DEP_2)
	s_or_b32 exec_lo, exec_lo, s1
	v_add_nc_u32_e32 v9, v5, v9
	v_add_nc_u32_e32 v11, v10, v8
	v_sub_nc_u32_e32 v9, v9, v10
	s_delay_alu instid0(VALU_DEP_2) | instskip(SKIP_1) | instid1(VALU_DEP_3)
	v_add_nc_u32_e32 v8, v2, v11
	v_cmp_le_i32_e64 s0, v5, v11
	v_add_nc_u32_e32 v10, v2, v9
	v_cmp_gt_i32_e64 s2, v7, v9
	ds_load_u8 v12, v8
	ds_load_u8 v10, v10
	v_min_i32_e32 v8, 0, v3
	; wave barrier
	s_waitcnt lgkmcnt(3)
	ds_store_b8 v4, v6
	v_add_nc_u32_e32 v5, 16, v8
	; wave barrier
	s_delay_alu instid0(VALU_DEP_1) | instskip(NEXT) | instid1(VALU_DEP_1)
	v_min_i32_e32 v5, v3, v5
	v_add_nc_u32_e32 v7, 16, v5
	s_waitcnt lgkmcnt(2)
	v_bfe_i32 v13, v12, 0, 8
	s_waitcnt lgkmcnt(1)
	v_bfe_i32 v14, v10, 0, 8
	v_min_i32_e32 v6, v3, v7
	v_min_i32_e32 v7, v3, v0
	s_delay_alu instid0(VALU_DEP_3) | instskip(NEXT) | instid1(VALU_DEP_1)
	v_cmp_lt_i16_e64 s1, v14, v13
	s_or_b32 s0, s0, s1
	s_mov_b32 s1, exec_lo
	s_and_b32 s0, s2, s0
	s_mov_b32 s2, 0
	v_cndmask_b32_e64 v9, v11, v9, s0
	v_cndmask_b32_e64 v12, v12, v10, s0
	v_sub_nc_u32_e32 v10, v6, v5
	v_sub_nc_u32_e32 v11, v5, v8
	s_delay_alu instid0(VALU_DEP_4) | instskip(NEXT) | instid1(VALU_DEP_3)
	v_add_nc_u32_e32 v9, v2, v9
	v_cmp_ge_i32_e64 s0, v7, v10
	ds_load_u8 v3, v9
	v_sub_nc_u32_e32 v9, v7, v10
	v_min_i32_e32 v10, v7, v11
	; wave barrier
	ds_store_b8 v4, v12
	v_cndmask_b32_e64 v9, 0, v9, s0
	; wave barrier
	s_delay_alu instid0(VALU_DEP_1)
	v_cmpx_lt_i32_e64 v9, v10
	s_cbranch_execz .LBB75_22
; %bb.19:
	v_add_nc_u32_e32 v11, v2, v8
	v_add3_u32 v12, v2, v5, v7
	.p2align	6
.LBB75_20:                              ; =>This Inner Loop Header: Depth=1
	v_sub_nc_u32_e32 v13, v10, v9
	s_delay_alu instid0(VALU_DEP_1) | instskip(NEXT) | instid1(VALU_DEP_1)
	v_lshrrev_b32_e32 v14, 31, v13
	v_add_nc_u32_e32 v13, v13, v14
	s_delay_alu instid0(VALU_DEP_1) | instskip(NEXT) | instid1(VALU_DEP_1)
	v_ashrrev_i32_e32 v13, 1, v13
	v_add_nc_u32_e32 v13, v13, v9
	s_delay_alu instid0(VALU_DEP_1)
	v_add_nc_u32_e32 v14, v11, v13
	v_xad_u32 v15, v13, -1, v12
	v_add_nc_u32_e32 v16, 1, v13
	ds_load_i8 v14, v14
	ds_load_i8 v15, v15
	s_waitcnt lgkmcnt(0)
	v_cmp_lt_i16_e64 s0, v15, v14
	s_delay_alu instid0(VALU_DEP_1) | instskip(SKIP_1) | instid1(VALU_DEP_1)
	v_cndmask_b32_e64 v10, v10, v13, s0
	v_cndmask_b32_e64 v9, v16, v9, s0
	v_cmp_ge_i32_e64 s0, v9, v10
	s_delay_alu instid0(VALU_DEP_1) | instskip(NEXT) | instid1(SALU_CYCLE_1)
	s_or_b32 s2, s0, s2
	s_and_not1_b32 exec_lo, exec_lo, s2
	s_cbranch_execnz .LBB75_20
; %bb.21:
	s_or_b32 exec_lo, exec_lo, s2
.LBB75_22:
	s_delay_alu instid0(SALU_CYCLE_1) | instskip(SKIP_2) | instid1(VALU_DEP_2)
	s_or_b32 exec_lo, exec_lo, s1
	v_add_nc_u32_e32 v10, v5, v7
	v_add_nc_u32_e32 v7, v9, v8
	v_sub_nc_u32_e32 v8, v10, v9
	s_delay_alu instid0(VALU_DEP_2) | instskip(NEXT) | instid1(VALU_DEP_2)
	v_add_nc_u32_e32 v9, v2, v7
	v_add_nc_u32_e32 v10, v2, v8
	ds_load_i8 v9, v9
	ds_load_i8 v10, v10
	; wave barrier
	s_waitcnt lgkmcnt(3)
	ds_store_b8 v4, v3
	; wave barrier
	s_and_saveexec_b32 s0, vcc_lo
	s_cbranch_execz .LBB75_24
; %bb.23:
	s_waitcnt lgkmcnt(2)
	v_bfe_i32 v3, v9, 0, 8
	s_waitcnt lgkmcnt(1)
	v_bfe_i32 v4, v10, 0, 8
	v_cmp_le_i32_e32 vcc_lo, v5, v7
	v_cmp_gt_i32_e64 s1, v6, v8
	s_delay_alu instid0(VALU_DEP_3) | instskip(NEXT) | instid1(VALU_DEP_1)
	v_cmp_lt_i16_e64 s0, v4, v3
	s_or_b32 s0, vcc_lo, s0
	s_delay_alu instid0(VALU_DEP_2) | instid1(SALU_CYCLE_1)
	s_and_b32 vcc_lo, s1, s0
	v_add_co_u32 v1, s0, s6, v1
	v_dual_cndmask_b32 v3, v9, v10 :: v_dual_cndmask_b32 v4, v7, v8
	s_delay_alu instid0(VALU_DEP_2) | instskip(NEXT) | instid1(VALU_DEP_2)
	v_add_co_u32 v0, vcc_lo, v1, v0
	v_add_nc_u32_e32 v2, v2, v4
	v_add_co_ci_u32_e64 v4, null, s7, 0, s0
	ds_load_u8 v2, v2
	v_add_co_ci_u32_e32 v1, vcc_lo, 0, v4, vcc_lo
	s_waitcnt lgkmcnt(0)
	v_add_nc_u16 v2, v2, v3
	global_store_b8 v[0:1], v2, off
.LBB75_24:
	s_nop 0
	s_sendmsg sendmsg(MSG_DEALLOC_VGPRS)
	s_endpgm
	.section	.rodata,"a",@progbits
	.p2align	6, 0x0
	.amdhsa_kernel _Z20sort_pairs_segmentedILj256ELj32ELj1EaN10test_utils4lessEEvPKT2_PS2_PKjT3_
		.amdhsa_group_segment_fixed_size 264
		.amdhsa_private_segment_fixed_size 0
		.amdhsa_kernarg_size 28
		.amdhsa_user_sgpr_count 15
		.amdhsa_user_sgpr_dispatch_ptr 0
		.amdhsa_user_sgpr_queue_ptr 0
		.amdhsa_user_sgpr_kernarg_segment_ptr 1
		.amdhsa_user_sgpr_dispatch_id 0
		.amdhsa_user_sgpr_private_segment_size 0
		.amdhsa_wavefront_size32 1
		.amdhsa_uses_dynamic_stack 0
		.amdhsa_enable_private_segment 0
		.amdhsa_system_sgpr_workgroup_id_x 1
		.amdhsa_system_sgpr_workgroup_id_y 0
		.amdhsa_system_sgpr_workgroup_id_z 0
		.amdhsa_system_sgpr_workgroup_info 0
		.amdhsa_system_vgpr_workitem_id 0
		.amdhsa_next_free_vgpr 18
		.amdhsa_next_free_sgpr 16
		.amdhsa_reserve_vcc 1
		.amdhsa_float_round_mode_32 0
		.amdhsa_float_round_mode_16_64 0
		.amdhsa_float_denorm_mode_32 3
		.amdhsa_float_denorm_mode_16_64 3
		.amdhsa_dx10_clamp 1
		.amdhsa_ieee_mode 1
		.amdhsa_fp16_overflow 0
		.amdhsa_workgroup_processor_mode 1
		.amdhsa_memory_ordered 1
		.amdhsa_forward_progress 0
		.amdhsa_shared_vgpr_count 0
		.amdhsa_exception_fp_ieee_invalid_op 0
		.amdhsa_exception_fp_denorm_src 0
		.amdhsa_exception_fp_ieee_div_zero 0
		.amdhsa_exception_fp_ieee_overflow 0
		.amdhsa_exception_fp_ieee_underflow 0
		.amdhsa_exception_fp_ieee_inexact 0
		.amdhsa_exception_int_div_zero 0
	.end_amdhsa_kernel
	.section	.text._Z20sort_pairs_segmentedILj256ELj32ELj1EaN10test_utils4lessEEvPKT2_PS2_PKjT3_,"axG",@progbits,_Z20sort_pairs_segmentedILj256ELj32ELj1EaN10test_utils4lessEEvPKT2_PS2_PKjT3_,comdat
.Lfunc_end75:
	.size	_Z20sort_pairs_segmentedILj256ELj32ELj1EaN10test_utils4lessEEvPKT2_PS2_PKjT3_, .Lfunc_end75-_Z20sort_pairs_segmentedILj256ELj32ELj1EaN10test_utils4lessEEvPKT2_PS2_PKjT3_
                                        ; -- End function
	.section	.AMDGPU.csdata,"",@progbits
; Kernel info:
; codeLenInByte = 2196
; NumSgprs: 18
; NumVgprs: 18
; ScratchSize: 0
; MemoryBound: 0
; FloatMode: 240
; IeeeMode: 1
; LDSByteSize: 264 bytes/workgroup (compile time only)
; SGPRBlocks: 2
; VGPRBlocks: 2
; NumSGPRsForWavesPerEU: 18
; NumVGPRsForWavesPerEU: 18
; Occupancy: 16
; WaveLimiterHint : 0
; COMPUTE_PGM_RSRC2:SCRATCH_EN: 0
; COMPUTE_PGM_RSRC2:USER_SGPR: 15
; COMPUTE_PGM_RSRC2:TRAP_HANDLER: 0
; COMPUTE_PGM_RSRC2:TGID_X_EN: 1
; COMPUTE_PGM_RSRC2:TGID_Y_EN: 0
; COMPUTE_PGM_RSRC2:TGID_Z_EN: 0
; COMPUTE_PGM_RSRC2:TIDIG_COMP_CNT: 0
	.section	.text._Z9sort_keysILj256ELj32ELj4EaN10test_utils4lessEEvPKT2_PS2_T3_,"axG",@progbits,_Z9sort_keysILj256ELj32ELj4EaN10test_utils4lessEEvPKT2_PS2_T3_,comdat
	.protected	_Z9sort_keysILj256ELj32ELj4EaN10test_utils4lessEEvPKT2_PS2_T3_ ; -- Begin function _Z9sort_keysILj256ELj32ELj4EaN10test_utils4lessEEvPKT2_PS2_T3_
	.globl	_Z9sort_keysILj256ELj32ELj4EaN10test_utils4lessEEvPKT2_PS2_T3_
	.p2align	8
	.type	_Z9sort_keysILj256ELj32ELj4EaN10test_utils4lessEEvPKT2_PS2_T3_,@function
_Z9sort_keysILj256ELj32ELj4EaN10test_utils4lessEEvPKT2_PS2_T3_: ; @_Z9sort_keysILj256ELj32ELj4EaN10test_utils4lessEEvPKT2_PS2_T3_
; %bb.0:
	s_load_b128 s[4:7], s[0:1], 0x0
	s_lshl_b32 s8, s15, 10
	v_lshlrev_b32_e32 v1, 2, v0
	v_lshrrev_b32_e32 v0, 5, v0
	s_waitcnt lgkmcnt(0)
	s_add_u32 s0, s4, s8
	s_addc_u32 s1, s5, 0
	global_load_b32 v2, v1, s[0:1]
	s_mov_b32 s1, exec_lo
	; wave barrier
	s_waitcnt vmcnt(0)
	v_lshrrev_b32_e32 v3, 8, v2
	v_bfe_i32 v4, v2, 0, 8
	v_perm_b32 v5, v2, v2, 0x7060405
	s_delay_alu instid0(VALU_DEP_3) | instskip(NEXT) | instid1(VALU_DEP_1)
	v_bfe_i32 v3, v3, 0, 8
	v_cmp_lt_i16_e32 vcc_lo, v3, v4
	s_delay_alu instid0(VALU_DEP_3) | instskip(NEXT) | instid1(VALU_DEP_1)
	v_cndmask_b32_e32 v2, v2, v5, vcc_lo
	v_lshrrev_b32_e32 v5, 16, v2
	v_lshrrev_b32_e32 v7, 24, v2
	s_delay_alu instid0(VALU_DEP_2) | instskip(NEXT) | instid1(VALU_DEP_2)
	v_perm_b32 v6, 0, v5, 0xc0c0001
	v_bfe_i32 v7, v7, 0, 8
	v_bfe_i32 v5, v5, 0, 8
	s_delay_alu instid0(VALU_DEP_3) | instskip(NEXT) | instid1(VALU_DEP_2)
	v_lshlrev_b32_e32 v6, 16, v6
	v_cmp_lt_i16_e32 vcc_lo, v7, v5
	v_min_i16 v8, v7, v5
	v_max_i16 v5, v7, v5
	s_delay_alu instid0(VALU_DEP_4) | instskip(NEXT) | instid1(VALU_DEP_3)
	v_and_or_b32 v6, 0xffff, v2, v6
	v_lshlrev_b16 v11, 8, v8
	s_delay_alu instid0(VALU_DEP_2) | instskip(SKIP_2) | instid1(VALU_DEP_3)
	v_cndmask_b32_e32 v2, v2, v6, vcc_lo
	v_max_i16 v6, v3, v4
	v_min_i16 v3, v3, v4
	v_lshrrev_b32_e32 v9, 16, v2
	s_delay_alu instid0(VALU_DEP_3)
	v_and_b32_e32 v10, 0xff, v6
	v_min_i16 v4, v8, v6
	v_cmp_lt_i16_e32 vcc_lo, v8, v6
	v_max_i16 v7, v8, v6
	v_and_b32_e32 v9, 0xffffff00, v9
	v_and_b32_e32 v12, 0xff, v2
	v_cmp_gt_i16_e64 s0, v6, v5
	s_delay_alu instid0(VALU_DEP_3) | instskip(NEXT) | instid1(VALU_DEP_3)
	v_or_b32_e32 v9, v10, v9
	v_or_b32_e32 v11, v12, v11
	v_lshlrev_b16 v10, 8, v3
	v_and_b32_e32 v12, 0xff, v4
	s_delay_alu instid0(VALU_DEP_4) | instskip(NEXT) | instid1(VALU_DEP_4)
	v_lshlrev_b32_e32 v9, 16, v9
	v_and_b32_e32 v11, 0xffff, v11
	s_delay_alu instid0(VALU_DEP_3) | instskip(SKIP_1) | instid1(VALU_DEP_3)
	v_or_b32_e32 v10, v12, v10
	v_lshlrev_b16 v12, 8, v7
	v_or_b32_e32 v9, v11, v9
	v_and_b32_e32 v11, 0xff, v5
	s_delay_alu instid0(VALU_DEP_4) | instskip(NEXT) | instid1(VALU_DEP_3)
	v_and_b32_e32 v10, 0xffff, v10
	v_cndmask_b32_e32 v2, v2, v9, vcc_lo
	s_delay_alu instid0(VALU_DEP_3) | instskip(SKIP_2) | instid1(VALU_DEP_4)
	v_or_b32_e32 v9, v11, v12
	v_cmp_lt_i16_e32 vcc_lo, v8, v3
	v_cndmask_b32_e64 v11, v7, v5, s0
	v_and_or_b32 v10, 0xffff0000, v2, v10
	s_delay_alu instid0(VALU_DEP_1) | instskip(NEXT) | instid1(VALU_DEP_1)
	v_dual_cndmask_b32 v2, v2, v10 :: v_dual_lshlrev_b32 v9, 16, v9
	v_and_or_b32 v8, 0xffff, v2, v9
	v_mbcnt_lo_u32_b32 v9, -1, 0
	s_delay_alu instid0(VALU_DEP_2) | instskip(NEXT) | instid1(VALU_DEP_2)
	v_cndmask_b32_e64 v10, v2, v8, s0
	v_dual_cndmask_b32 v9, v4, v3 :: v_dual_lshlrev_b32 v2, 2, v9
	v_lshlrev_b16 v8, 8, v11
	s_mov_b32 s0, 0
	s_delay_alu instid0(VALU_DEP_3) | instskip(NEXT) | instid1(VALU_DEP_3)
	v_lshrrev_b32_e32 v3, 16, v10
	v_and_b32_e32 v4, 0x78, v2
	v_and_b32_e32 v6, 0xff, v9
	;; [unrolled: 1-line block ×3, first 2 shown]
	v_mad_u32_u24 v15, 0x81, v0, v2
	v_and_b32_e32 v12, 0xffffff00, v3
	v_or_b32_e32 v5, 4, v4
	v_add_nc_u32_e32 v3, 8, v4
	v_or_b32_e32 v7, v7, v8
	v_mul_u32_u24_e32 v0, 0x81, v0
	v_or_b32_e32 v8, v6, v12
	v_and_b32_e32 v6, 4, v2
	v_sub_nc_u32_e32 v12, v3, v5
	v_and_b32_e32 v7, 0xffff, v7
	v_sub_nc_u32_e32 v13, v5, v4
	v_lshlrev_b32_e32 v8, 16, v8
	s_delay_alu instid0(VALU_DEP_4) | instskip(SKIP_1) | instid1(VALU_DEP_3)
	v_sub_nc_u32_e32 v14, v6, v12
	v_cmp_ge_i32_e32 vcc_lo, v6, v12
	v_or_b32_e32 v16, v7, v8
	v_min_i32_e32 v8, v6, v13
	s_delay_alu instid0(VALU_DEP_4) | instskip(SKIP_1) | instid1(VALU_DEP_4)
	v_cndmask_b32_e32 v7, 0, v14, vcc_lo
	v_cmp_lt_i16_e32 vcc_lo, v11, v9
	v_cndmask_b32_e32 v9, v10, v16, vcc_lo
	ds_store_b32 v15, v9
	; wave barrier
	v_cmpx_lt_i32_e64 v7, v8
	s_cbranch_execz .LBB76_4
; %bb.1:
	v_add_nc_u32_e32 v9, v0, v4
	v_add3_u32 v10, v0, v5, v6
	.p2align	6
.LBB76_2:                               ; =>This Inner Loop Header: Depth=1
	v_sub_nc_u32_e32 v11, v8, v7
	s_delay_alu instid0(VALU_DEP_1) | instskip(NEXT) | instid1(VALU_DEP_1)
	v_lshrrev_b32_e32 v12, 31, v11
	v_add_nc_u32_e32 v11, v11, v12
	s_delay_alu instid0(VALU_DEP_1) | instskip(NEXT) | instid1(VALU_DEP_1)
	v_ashrrev_i32_e32 v11, 1, v11
	v_add_nc_u32_e32 v11, v11, v7
	s_delay_alu instid0(VALU_DEP_1)
	v_add_nc_u32_e32 v12, v9, v11
	v_xad_u32 v13, v11, -1, v10
	v_add_nc_u32_e32 v14, 1, v11
	ds_load_i8 v12, v12
	ds_load_i8 v13, v13
	s_waitcnt lgkmcnt(0)
	v_cmp_lt_i16_e32 vcc_lo, v13, v12
	v_cndmask_b32_e32 v8, v8, v11, vcc_lo
	v_cndmask_b32_e32 v7, v14, v7, vcc_lo
	s_delay_alu instid0(VALU_DEP_1) | instskip(SKIP_1) | instid1(SALU_CYCLE_1)
	v_cmp_ge_i32_e32 vcc_lo, v7, v8
	s_or_b32 s0, vcc_lo, s0
	s_and_not1_b32 exec_lo, exec_lo, s0
	s_cbranch_execnz .LBB76_2
; %bb.3:
	s_or_b32 exec_lo, exec_lo, s0
.LBB76_4:
	s_delay_alu instid0(SALU_CYCLE_1) | instskip(SKIP_2) | instid1(VALU_DEP_2)
	s_or_b32 exec_lo, exec_lo, s1
	v_add_nc_u32_e32 v8, v5, v6
	v_add_nc_u32_e32 v6, v7, v4
                                        ; implicit-def: $vgpr9
	v_sub_nc_u32_e32 v4, v8, v7
	s_delay_alu instid0(VALU_DEP_2) | instskip(SKIP_1) | instid1(VALU_DEP_3)
	v_add_nc_u32_e32 v10, v0, v6
	v_cmp_le_i32_e32 vcc_lo, v5, v6
	v_add_nc_u32_e32 v11, v0, v4
	v_cmp_gt_i32_e64 s1, v3, v4
	ds_load_u8 v7, v10
	ds_load_u8 v8, v11
	s_waitcnt lgkmcnt(1)
	v_bfe_i32 v7, v7, 0, 8
	s_waitcnt lgkmcnt(0)
	v_bfe_i32 v8, v8, 0, 8
	s_delay_alu instid0(VALU_DEP_1) | instskip(NEXT) | instid1(VALU_DEP_1)
	v_cmp_lt_i16_e64 s0, v8, v7
	s_or_b32 s0, vcc_lo, s0
	s_delay_alu instid0(SALU_CYCLE_1) | instskip(NEXT) | instid1(SALU_CYCLE_1)
	s_and_b32 vcc_lo, s1, s0
	s_xor_b32 s0, vcc_lo, -1
	s_delay_alu instid0(SALU_CYCLE_1) | instskip(NEXT) | instid1(SALU_CYCLE_1)
	s_and_saveexec_b32 s1, s0
	s_xor_b32 s0, exec_lo, s1
	s_cbranch_execz .LBB76_6
; %bb.5:
	ds_load_u8 v9, v10 offset:1
                                        ; implicit-def: $vgpr11
.LBB76_6:
	s_or_saveexec_b32 s0, s0
	v_mov_b32_e32 v10, v8
	s_xor_b32 exec_lo, exec_lo, s0
	s_cbranch_execz .LBB76_8
; %bb.7:
	ds_load_u8 v10, v11 offset:1
	s_waitcnt lgkmcnt(1)
	v_mov_b32_e32 v9, v7
.LBB76_8:
	s_or_b32 exec_lo, exec_lo, s0
	v_add_nc_u32_e32 v11, 1, v6
	v_add_nc_u32_e32 v13, 1, v4
	s_waitcnt lgkmcnt(0)
	v_bfe_i32 v14, v9, 0, 8
	s_delay_alu instid0(VALU_DEP_3) | instskip(SKIP_2) | instid1(VALU_DEP_3)
	v_cndmask_b32_e32 v12, v11, v6, vcc_lo
	v_bfe_i32 v6, v10, 0, 8
	v_cndmask_b32_e32 v11, v4, v13, vcc_lo
                                        ; implicit-def: $vgpr4
	v_cmp_ge_i32_e64 s0, v12, v5
	s_delay_alu instid0(VALU_DEP_3) | instskip(NEXT) | instid1(VALU_DEP_3)
	v_cmp_lt_i16_e64 s1, v6, v14
	v_cmp_lt_i32_e64 s2, v11, v3
	s_delay_alu instid0(VALU_DEP_2)
	s_or_b32 s0, s0, s1
	s_delay_alu instid0(VALU_DEP_1) | instid1(SALU_CYCLE_1)
	s_and_b32 s0, s2, s0
	s_delay_alu instid0(SALU_CYCLE_1) | instskip(NEXT) | instid1(SALU_CYCLE_1)
	s_xor_b32 s1, s0, -1
	s_and_saveexec_b32 s2, s1
	s_delay_alu instid0(SALU_CYCLE_1)
	s_xor_b32 s1, exec_lo, s2
	s_cbranch_execz .LBB76_10
; %bb.9:
	v_add_nc_u32_e32 v4, v0, v12
	ds_load_u8 v4, v4 offset:1
.LBB76_10:
	s_or_saveexec_b32 s1, s1
	v_mov_b32_e32 v6, v10
	s_xor_b32 exec_lo, exec_lo, s1
	s_cbranch_execz .LBB76_12
; %bb.11:
	s_waitcnt lgkmcnt(0)
	v_add_nc_u32_e32 v4, v0, v11
	ds_load_u8 v6, v4 offset:1
	v_mov_b32_e32 v4, v9
.LBB76_12:
	s_or_b32 exec_lo, exec_lo, s1
	v_add_nc_u32_e32 v13, 1, v12
	v_add_nc_u32_e32 v14, 1, v11
	s_waitcnt lgkmcnt(0)
	v_bfe_i32 v15, v4, 0, 8
	s_delay_alu instid0(VALU_DEP_3) | instskip(SKIP_2) | instid1(VALU_DEP_3)
	v_cndmask_b32_e64 v13, v13, v12, s0
	v_bfe_i32 v12, v6, 0, 8
	v_cndmask_b32_e64 v14, v11, v14, s0
	v_cmp_ge_i32_e64 s1, v13, v5
	s_delay_alu instid0(VALU_DEP_3) | instskip(NEXT) | instid1(VALU_DEP_3)
	v_cmp_lt_i16_e64 s2, v12, v15
	v_cmp_lt_i32_e64 s3, v14, v3
                                        ; implicit-def: $vgpr12
	s_delay_alu instid0(VALU_DEP_2)
	s_or_b32 s1, s1, s2
	s_delay_alu instid0(VALU_DEP_1) | instid1(SALU_CYCLE_1)
	s_and_b32 s1, s3, s1
	s_delay_alu instid0(SALU_CYCLE_1) | instskip(NEXT) | instid1(SALU_CYCLE_1)
	s_xor_b32 s2, s1, -1
	s_and_saveexec_b32 s3, s2
	s_delay_alu instid0(SALU_CYCLE_1)
	s_xor_b32 s2, exec_lo, s3
	s_cbranch_execz .LBB76_14
; %bb.13:
	v_add_nc_u32_e32 v11, v0, v13
	ds_load_u8 v12, v11 offset:1
.LBB76_14:
	s_or_saveexec_b32 s2, s2
	v_mov_b32_e32 v15, v6
	s_xor_b32 exec_lo, exec_lo, s2
	s_cbranch_execz .LBB76_16
; %bb.15:
	v_add_nc_u32_e32 v11, v0, v14
	s_waitcnt lgkmcnt(0)
	v_mov_b32_e32 v12, v4
	ds_load_u8 v15, v11 offset:1
.LBB76_16:
	s_or_b32 exec_lo, exec_lo, s2
	v_add_nc_u32_e32 v16, 1, v14
	v_dual_cndmask_b32 v8, v7, v8 :: v_dual_add_nc_u32 v17, 1, v13
	v_cndmask_b32_e64 v18, v4, v6, s1
	v_cndmask_b32_e64 v10, v9, v10, s0
	s_delay_alu instid0(VALU_DEP_4) | instskip(NEXT) | instid1(VALU_DEP_4)
	v_cndmask_b32_e64 v14, v14, v16, s1
	v_cndmask_b32_e64 v13, v17, v13, s1
	s_waitcnt lgkmcnt(0)
	v_bfe_i32 v16, v12, 0, 8
	v_bfe_i32 v17, v15, 0, 8
	v_and_b32_e32 v9, 12, v2
	v_cmp_lt_i32_e32 vcc_lo, v14, v3
	v_cmp_ge_i32_e64 s0, v13, v5
	v_add_nc_u32_e32 v3, v0, v2
	v_cmp_lt_i16_e64 s1, v17, v16
	; wave barrier
	s_delay_alu instid0(VALU_DEP_1) | instskip(NEXT) | instid1(SALU_CYCLE_1)
	s_or_b32 s1, s0, s1
	s_and_b32 vcc_lo, vcc_lo, s1
	v_dual_cndmask_b32 v12, v12, v15 :: v_dual_and_b32 v11, 0x70, v2
	s_mov_b32 s1, 0
	ds_store_b8 v3, v8
	ds_store_b8 v3, v10 offset:1
	ds_store_b8 v3, v18 offset:2
	;; [unrolled: 1-line block ×3, first 2 shown]
	v_or_b32_e32 v6, 8, v11
	v_add_nc_u32_e32 v4, 16, v11
	; wave barrier
	s_delay_alu instid0(VALU_DEP_2) | instskip(NEXT) | instid1(VALU_DEP_2)
	v_sub_nc_u32_e32 v7, v6, v11
	v_sub_nc_u32_e32 v19, v4, v6
	s_delay_alu instid0(VALU_DEP_2) | instskip(NEXT) | instid1(VALU_DEP_2)
	v_min_i32_e32 v7, v9, v7
	v_sub_nc_u32_e32 v5, v9, v19
	v_cmp_ge_i32_e64 s0, v9, v19
	s_delay_alu instid0(VALU_DEP_1) | instskip(SKIP_1) | instid1(VALU_DEP_1)
	v_cndmask_b32_e64 v5, 0, v5, s0
	s_mov_b32 s0, exec_lo
	v_cmpx_lt_i32_e64 v5, v7
	s_cbranch_execz .LBB76_20
; %bb.17:
	v_add_nc_u32_e32 v8, v0, v11
	v_add3_u32 v10, v0, v6, v9
	.p2align	6
.LBB76_18:                              ; =>This Inner Loop Header: Depth=1
	v_sub_nc_u32_e32 v12, v7, v5
	s_delay_alu instid0(VALU_DEP_1) | instskip(NEXT) | instid1(VALU_DEP_1)
	v_lshrrev_b32_e32 v13, 31, v12
	v_add_nc_u32_e32 v12, v12, v13
	s_delay_alu instid0(VALU_DEP_1) | instskip(NEXT) | instid1(VALU_DEP_1)
	v_ashrrev_i32_e32 v12, 1, v12
	v_add_nc_u32_e32 v12, v12, v5
	s_delay_alu instid0(VALU_DEP_1)
	v_add_nc_u32_e32 v13, v8, v12
	v_xad_u32 v14, v12, -1, v10
	v_add_nc_u32_e32 v15, 1, v12
	ds_load_i8 v13, v13
	ds_load_i8 v14, v14
	s_waitcnt lgkmcnt(0)
	v_cmp_lt_i16_e32 vcc_lo, v14, v13
	v_cndmask_b32_e32 v7, v7, v12, vcc_lo
	v_cndmask_b32_e32 v5, v15, v5, vcc_lo
	s_delay_alu instid0(VALU_DEP_1) | instskip(SKIP_1) | instid1(SALU_CYCLE_1)
	v_cmp_ge_i32_e32 vcc_lo, v5, v7
	s_or_b32 s1, vcc_lo, s1
	s_and_not1_b32 exec_lo, exec_lo, s1
	s_cbranch_execnz .LBB76_18
; %bb.19:
	s_or_b32 exec_lo, exec_lo, s1
.LBB76_20:
	s_delay_alu instid0(SALU_CYCLE_1) | instskip(SKIP_2) | instid1(VALU_DEP_2)
	s_or_b32 exec_lo, exec_lo, s0
	v_add_nc_u32_e32 v8, v6, v9
	v_add_nc_u32_e32 v7, v5, v11
                                        ; implicit-def: $vgpr10
	v_sub_nc_u32_e32 v5, v8, v5
	s_delay_alu instid0(VALU_DEP_2) | instskip(SKIP_1) | instid1(VALU_DEP_3)
	v_add_nc_u32_e32 v11, v0, v7
	v_cmp_le_i32_e32 vcc_lo, v6, v7
	v_add_nc_u32_e32 v12, v0, v5
	v_cmp_gt_i32_e64 s1, v4, v5
	ds_load_u8 v8, v11
	ds_load_u8 v9, v12
	s_waitcnt lgkmcnt(1)
	v_bfe_i32 v8, v8, 0, 8
	s_waitcnt lgkmcnt(0)
	v_bfe_i32 v9, v9, 0, 8
	s_delay_alu instid0(VALU_DEP_1) | instskip(NEXT) | instid1(VALU_DEP_1)
	v_cmp_lt_i16_e64 s0, v9, v8
	s_or_b32 s0, vcc_lo, s0
	s_delay_alu instid0(SALU_CYCLE_1) | instskip(NEXT) | instid1(SALU_CYCLE_1)
	s_and_b32 vcc_lo, s1, s0
	s_xor_b32 s0, vcc_lo, -1
	s_delay_alu instid0(SALU_CYCLE_1) | instskip(NEXT) | instid1(SALU_CYCLE_1)
	s_and_saveexec_b32 s1, s0
	s_xor_b32 s0, exec_lo, s1
	s_cbranch_execz .LBB76_22
; %bb.21:
	ds_load_u8 v10, v11 offset:1
                                        ; implicit-def: $vgpr12
.LBB76_22:
	s_or_saveexec_b32 s0, s0
	v_mov_b32_e32 v11, v9
	s_xor_b32 exec_lo, exec_lo, s0
	s_cbranch_execz .LBB76_24
; %bb.23:
	ds_load_u8 v11, v12 offset:1
	s_waitcnt lgkmcnt(1)
	v_mov_b32_e32 v10, v8
.LBB76_24:
	s_or_b32 exec_lo, exec_lo, s0
	v_add_nc_u32_e32 v12, 1, v7
	v_add_nc_u32_e32 v14, 1, v5
	s_waitcnt lgkmcnt(0)
	v_bfe_i32 v15, v10, 0, 8
	s_delay_alu instid0(VALU_DEP_3) | instskip(SKIP_2) | instid1(VALU_DEP_3)
	v_cndmask_b32_e32 v13, v12, v7, vcc_lo
	v_bfe_i32 v7, v11, 0, 8
	v_cndmask_b32_e32 v12, v5, v14, vcc_lo
                                        ; implicit-def: $vgpr5
	v_cmp_ge_i32_e64 s0, v13, v6
	s_delay_alu instid0(VALU_DEP_3) | instskip(NEXT) | instid1(VALU_DEP_3)
	v_cmp_lt_i16_e64 s1, v7, v15
	v_cmp_lt_i32_e64 s2, v12, v4
	s_delay_alu instid0(VALU_DEP_2)
	s_or_b32 s0, s0, s1
	s_delay_alu instid0(VALU_DEP_1) | instid1(SALU_CYCLE_1)
	s_and_b32 s0, s2, s0
	s_delay_alu instid0(SALU_CYCLE_1) | instskip(NEXT) | instid1(SALU_CYCLE_1)
	s_xor_b32 s1, s0, -1
	s_and_saveexec_b32 s2, s1
	s_delay_alu instid0(SALU_CYCLE_1)
	s_xor_b32 s1, exec_lo, s2
	s_cbranch_execz .LBB76_26
; %bb.25:
	v_add_nc_u32_e32 v5, v0, v13
	ds_load_u8 v5, v5 offset:1
.LBB76_26:
	s_or_saveexec_b32 s1, s1
	v_mov_b32_e32 v7, v11
	s_xor_b32 exec_lo, exec_lo, s1
	s_cbranch_execz .LBB76_28
; %bb.27:
	s_waitcnt lgkmcnt(0)
	v_add_nc_u32_e32 v5, v0, v12
	ds_load_u8 v7, v5 offset:1
	v_mov_b32_e32 v5, v10
.LBB76_28:
	s_or_b32 exec_lo, exec_lo, s1
	v_add_nc_u32_e32 v14, 1, v13
	v_add_nc_u32_e32 v15, 1, v12
	s_waitcnt lgkmcnt(0)
	v_bfe_i32 v16, v5, 0, 8
	s_delay_alu instid0(VALU_DEP_3) | instskip(SKIP_2) | instid1(VALU_DEP_3)
	v_cndmask_b32_e64 v13, v14, v13, s0
	v_bfe_i32 v14, v7, 0, 8
	v_cndmask_b32_e64 v15, v12, v15, s0
	v_cmp_ge_i32_e64 s1, v13, v6
	s_delay_alu instid0(VALU_DEP_3) | instskip(NEXT) | instid1(VALU_DEP_3)
	v_cmp_lt_i16_e64 s2, v14, v16
	v_cmp_lt_i32_e64 s3, v15, v4
                                        ; implicit-def: $vgpr14
	s_delay_alu instid0(VALU_DEP_2)
	s_or_b32 s1, s1, s2
	s_delay_alu instid0(VALU_DEP_1) | instid1(SALU_CYCLE_1)
	s_and_b32 s1, s3, s1
	s_delay_alu instid0(SALU_CYCLE_1) | instskip(NEXT) | instid1(SALU_CYCLE_1)
	s_xor_b32 s2, s1, -1
	s_and_saveexec_b32 s3, s2
	s_delay_alu instid0(SALU_CYCLE_1)
	s_xor_b32 s2, exec_lo, s3
	s_cbranch_execz .LBB76_30
; %bb.29:
	v_add_nc_u32_e32 v12, v0, v13
	ds_load_u8 v14, v12 offset:1
.LBB76_30:
	s_or_saveexec_b32 s2, s2
	v_mov_b32_e32 v16, v7
	s_xor_b32 exec_lo, exec_lo, s2
	s_cbranch_execz .LBB76_32
; %bb.31:
	v_add_nc_u32_e32 v12, v0, v15
	s_waitcnt lgkmcnt(0)
	v_mov_b32_e32 v14, v5
	ds_load_u8 v16, v12 offset:1
.LBB76_32:
	s_or_b32 exec_lo, exec_lo, s2
	v_dual_cndmask_b32 v8, v8, v9 :: v_dual_add_nc_u32 v17, 1, v15
	v_add_nc_u32_e32 v18, 1, v13
	s_waitcnt lgkmcnt(0)
	v_bfe_i32 v20, v16, 0, 8
	v_cndmask_b32_e64 v19, v5, v7, s1
	v_cndmask_b32_e64 v15, v15, v17, s1
	;; [unrolled: 1-line block ×4, first 2 shown]
	v_bfe_i32 v18, v14, 0, 8
	v_and_b32_e32 v13, 28, v2
	v_cmp_lt_i32_e32 vcc_lo, v15, v4
	s_delay_alu instid0(VALU_DEP_4) | instskip(NEXT) | instid1(VALU_DEP_4)
	v_cmp_ge_i32_e64 s0, v17, v6
	v_cmp_lt_i16_e64 s1, v20, v18
	; wave barrier
	s_delay_alu instid0(VALU_DEP_1) | instskip(NEXT) | instid1(SALU_CYCLE_1)
	s_or_b32 s1, s0, s1
	s_and_b32 vcc_lo, vcc_lo, s1
	v_and_b32_e32 v12, 0x60, v2
	s_mov_b32 s1, 0
	s_delay_alu instid0(VALU_DEP_1) | instskip(SKIP_1) | instid1(VALU_DEP_2)
	v_or_b32_e32 v7, 16, v12
	v_add_nc_u32_e32 v5, 32, v12
	v_sub_nc_u32_e32 v9, v7, v12
	s_delay_alu instid0(VALU_DEP_2) | instskip(NEXT) | instid1(VALU_DEP_1)
	v_sub_nc_u32_e32 v21, v5, v7
	v_sub_nc_u32_e32 v6, v13, v21
	v_cmp_ge_i32_e64 s0, v13, v21
	s_delay_alu instid0(VALU_DEP_1)
	v_cndmask_b32_e64 v4, 0, v6, s0
	v_min_i32_e32 v6, v13, v9
	v_cndmask_b32_e32 v9, v14, v16, vcc_lo
	s_mov_b32 s0, exec_lo
	ds_store_b8 v3, v8
	ds_store_b8 v3, v10 offset:1
	ds_store_b8 v3, v19 offset:2
	ds_store_b8 v3, v9 offset:3
	; wave barrier
	v_cmpx_lt_i32_e64 v4, v6
	s_cbranch_execz .LBB76_36
; %bb.33:
	v_add_nc_u32_e32 v8, v0, v12
	v_add3_u32 v9, v0, v7, v13
	.p2align	6
.LBB76_34:                              ; =>This Inner Loop Header: Depth=1
	v_sub_nc_u32_e32 v10, v6, v4
	s_delay_alu instid0(VALU_DEP_1) | instskip(NEXT) | instid1(VALU_DEP_1)
	v_lshrrev_b32_e32 v11, 31, v10
	v_add_nc_u32_e32 v10, v10, v11
	s_delay_alu instid0(VALU_DEP_1) | instskip(NEXT) | instid1(VALU_DEP_1)
	v_ashrrev_i32_e32 v10, 1, v10
	v_add_nc_u32_e32 v10, v10, v4
	s_delay_alu instid0(VALU_DEP_1)
	v_add_nc_u32_e32 v15, 1, v10
	v_add_nc_u32_e32 v11, v8, v10
	v_xad_u32 v14, v10, -1, v9
	ds_load_i8 v11, v11
	ds_load_i8 v14, v14
	s_waitcnt lgkmcnt(0)
	v_cmp_lt_i16_e32 vcc_lo, v14, v11
	v_cndmask_b32_e32 v4, v15, v4, vcc_lo
	v_cndmask_b32_e32 v6, v6, v10, vcc_lo
	s_delay_alu instid0(VALU_DEP_1) | instskip(SKIP_1) | instid1(SALU_CYCLE_1)
	v_cmp_ge_i32_e32 vcc_lo, v4, v6
	s_or_b32 s1, vcc_lo, s1
	s_and_not1_b32 exec_lo, exec_lo, s1
	s_cbranch_execnz .LBB76_34
; %bb.35:
	s_or_b32 exec_lo, exec_lo, s1
.LBB76_36:
	s_delay_alu instid0(SALU_CYCLE_1) | instskip(SKIP_2) | instid1(VALU_DEP_2)
	s_or_b32 exec_lo, exec_lo, s0
	v_add_nc_u32_e32 v8, v7, v13
	v_add_nc_u32_e32 v6, v4, v12
                                        ; implicit-def: $vgpr10
	v_sub_nc_u32_e32 v4, v8, v4
	s_delay_alu instid0(VALU_DEP_2) | instskip(SKIP_1) | instid1(VALU_DEP_3)
	v_add_nc_u32_e32 v11, v0, v6
	v_cmp_le_i32_e32 vcc_lo, v7, v6
	v_add_nc_u32_e32 v12, v0, v4
	v_cmp_gt_i32_e64 s1, v5, v4
	ds_load_u8 v8, v11
	ds_load_u8 v9, v12
	s_waitcnt lgkmcnt(1)
	v_bfe_i32 v8, v8, 0, 8
	s_waitcnt lgkmcnt(0)
	v_bfe_i32 v9, v9, 0, 8
	s_delay_alu instid0(VALU_DEP_1) | instskip(NEXT) | instid1(VALU_DEP_1)
	v_cmp_lt_i16_e64 s0, v9, v8
	s_or_b32 s0, vcc_lo, s0
	s_delay_alu instid0(SALU_CYCLE_1) | instskip(NEXT) | instid1(SALU_CYCLE_1)
	s_and_b32 vcc_lo, s1, s0
	s_xor_b32 s0, vcc_lo, -1
	s_delay_alu instid0(SALU_CYCLE_1) | instskip(NEXT) | instid1(SALU_CYCLE_1)
	s_and_saveexec_b32 s1, s0
	s_xor_b32 s0, exec_lo, s1
	s_cbranch_execz .LBB76_38
; %bb.37:
	ds_load_u8 v10, v11 offset:1
                                        ; implicit-def: $vgpr12
.LBB76_38:
	s_or_saveexec_b32 s0, s0
	v_mov_b32_e32 v11, v9
	s_xor_b32 exec_lo, exec_lo, s0
	s_cbranch_execz .LBB76_40
; %bb.39:
	ds_load_u8 v11, v12 offset:1
	s_waitcnt lgkmcnt(1)
	v_mov_b32_e32 v10, v8
.LBB76_40:
	s_or_b32 exec_lo, exec_lo, s0
	v_add_nc_u32_e32 v12, 1, v6
	v_add_nc_u32_e32 v14, 1, v4
	s_waitcnt lgkmcnt(0)
	v_bfe_i32 v15, v10, 0, 8
	s_delay_alu instid0(VALU_DEP_3) | instskip(SKIP_2) | instid1(VALU_DEP_3)
	v_cndmask_b32_e32 v13, v12, v6, vcc_lo
	v_bfe_i32 v6, v11, 0, 8
	v_cndmask_b32_e32 v12, v4, v14, vcc_lo
                                        ; implicit-def: $vgpr4
	v_cmp_ge_i32_e64 s0, v13, v7
	s_delay_alu instid0(VALU_DEP_3) | instskip(NEXT) | instid1(VALU_DEP_3)
	v_cmp_lt_i16_e64 s1, v6, v15
	v_cmp_lt_i32_e64 s2, v12, v5
	s_delay_alu instid0(VALU_DEP_2)
	s_or_b32 s0, s0, s1
	s_delay_alu instid0(VALU_DEP_1) | instid1(SALU_CYCLE_1)
	s_and_b32 s0, s2, s0
	s_delay_alu instid0(SALU_CYCLE_1) | instskip(NEXT) | instid1(SALU_CYCLE_1)
	s_xor_b32 s1, s0, -1
	s_and_saveexec_b32 s2, s1
	s_delay_alu instid0(SALU_CYCLE_1)
	s_xor_b32 s1, exec_lo, s2
	s_cbranch_execz .LBB76_42
; %bb.41:
	v_add_nc_u32_e32 v4, v0, v13
	ds_load_u8 v4, v4 offset:1
.LBB76_42:
	s_or_saveexec_b32 s1, s1
	v_mov_b32_e32 v6, v11
	s_xor_b32 exec_lo, exec_lo, s1
	s_cbranch_execz .LBB76_44
; %bb.43:
	s_waitcnt lgkmcnt(0)
	v_add_nc_u32_e32 v4, v0, v12
	ds_load_u8 v6, v4 offset:1
	v_mov_b32_e32 v4, v10
.LBB76_44:
	s_or_b32 exec_lo, exec_lo, s1
	v_add_nc_u32_e32 v14, 1, v13
	v_add_nc_u32_e32 v15, 1, v12
	s_waitcnt lgkmcnt(0)
	v_bfe_i32 v16, v4, 0, 8
	s_delay_alu instid0(VALU_DEP_3) | instskip(SKIP_2) | instid1(VALU_DEP_3)
	v_cndmask_b32_e64 v13, v14, v13, s0
	v_bfe_i32 v14, v6, 0, 8
	v_cndmask_b32_e64 v15, v12, v15, s0
	v_cmp_ge_i32_e64 s1, v13, v7
	s_delay_alu instid0(VALU_DEP_3) | instskip(NEXT) | instid1(VALU_DEP_3)
	v_cmp_lt_i16_e64 s2, v14, v16
	v_cmp_lt_i32_e64 s3, v15, v5
                                        ; implicit-def: $vgpr14
	s_delay_alu instid0(VALU_DEP_2)
	s_or_b32 s1, s1, s2
	s_delay_alu instid0(VALU_DEP_1) | instid1(SALU_CYCLE_1)
	s_and_b32 s1, s3, s1
	s_delay_alu instid0(SALU_CYCLE_1) | instskip(NEXT) | instid1(SALU_CYCLE_1)
	s_xor_b32 s2, s1, -1
	s_and_saveexec_b32 s3, s2
	s_delay_alu instid0(SALU_CYCLE_1)
	s_xor_b32 s2, exec_lo, s3
	s_cbranch_execz .LBB76_46
; %bb.45:
	v_add_nc_u32_e32 v12, v0, v13
	ds_load_u8 v14, v12 offset:1
.LBB76_46:
	s_or_saveexec_b32 s2, s2
	v_mov_b32_e32 v16, v6
	s_xor_b32 exec_lo, exec_lo, s2
	s_cbranch_execz .LBB76_48
; %bb.47:
	v_add_nc_u32_e32 v12, v0, v15
	s_waitcnt lgkmcnt(0)
	v_mov_b32_e32 v14, v4
	ds_load_u8 v16, v12 offset:1
.LBB76_48:
	s_or_b32 exec_lo, exec_lo, s2
	v_dual_cndmask_b32 v8, v8, v9 :: v_dual_add_nc_u32 v17, 1, v15
	v_add_nc_u32_e32 v18, 1, v13
	s_waitcnt lgkmcnt(0)
	v_bfe_i32 v20, v16, 0, 8
	v_cndmask_b32_e64 v19, v4, v6, s1
	v_cndmask_b32_e64 v15, v15, v17, s1
	;; [unrolled: 1-line block ×4, first 2 shown]
	v_bfe_i32 v18, v14, 0, 8
	v_and_b32_e32 v13, 60, v2
	v_cmp_lt_i32_e32 vcc_lo, v15, v5
	s_delay_alu instid0(VALU_DEP_4) | instskip(NEXT) | instid1(VALU_DEP_4)
	v_cmp_ge_i32_e64 s0, v17, v7
	v_cmp_lt_i16_e64 s1, v20, v18
	; wave barrier
	s_delay_alu instid0(VALU_DEP_1) | instskip(NEXT) | instid1(SALU_CYCLE_1)
	s_or_b32 s1, s0, s1
	s_and_b32 vcc_lo, vcc_lo, s1
	v_and_b32_e32 v12, 64, v2
	s_mov_b32 s1, 0
	s_delay_alu instid0(VALU_DEP_1) | instskip(SKIP_1) | instid1(VALU_DEP_2)
	v_or_b32_e32 v6, 32, v12
	v_add_nc_u32_e32 v4, 64, v12
	v_sub_nc_u32_e32 v9, v6, v12
	s_delay_alu instid0(VALU_DEP_2) | instskip(NEXT) | instid1(VALU_DEP_1)
	v_sub_nc_u32_e32 v21, v4, v6
	v_sub_nc_u32_e32 v7, v13, v21
	v_cmp_ge_i32_e64 s0, v13, v21
	s_delay_alu instid0(VALU_DEP_1)
	v_cndmask_b32_e64 v5, 0, v7, s0
	v_min_i32_e32 v7, v13, v9
	v_cndmask_b32_e32 v9, v14, v16, vcc_lo
	s_mov_b32 s0, exec_lo
	ds_store_b8 v3, v8
	ds_store_b8 v3, v10 offset:1
	ds_store_b8 v3, v19 offset:2
	;; [unrolled: 1-line block ×3, first 2 shown]
	; wave barrier
	v_cmpx_lt_i32_e64 v5, v7
	s_cbranch_execz .LBB76_52
; %bb.49:
	v_add_nc_u32_e32 v8, v0, v12
	v_add3_u32 v9, v0, v6, v13
	.p2align	6
.LBB76_50:                              ; =>This Inner Loop Header: Depth=1
	v_sub_nc_u32_e32 v10, v7, v5
	s_delay_alu instid0(VALU_DEP_1) | instskip(NEXT) | instid1(VALU_DEP_1)
	v_lshrrev_b32_e32 v11, 31, v10
	v_add_nc_u32_e32 v10, v10, v11
	s_delay_alu instid0(VALU_DEP_1) | instskip(NEXT) | instid1(VALU_DEP_1)
	v_ashrrev_i32_e32 v10, 1, v10
	v_add_nc_u32_e32 v10, v10, v5
	s_delay_alu instid0(VALU_DEP_1)
	v_add_nc_u32_e32 v11, v8, v10
	v_xad_u32 v14, v10, -1, v9
	v_add_nc_u32_e32 v15, 1, v10
	ds_load_i8 v11, v11
	ds_load_i8 v14, v14
	s_waitcnt lgkmcnt(0)
	v_cmp_lt_i16_e32 vcc_lo, v14, v11
	v_cndmask_b32_e32 v5, v15, v5, vcc_lo
	v_cndmask_b32_e32 v7, v7, v10, vcc_lo
	s_delay_alu instid0(VALU_DEP_1) | instskip(SKIP_1) | instid1(SALU_CYCLE_1)
	v_cmp_ge_i32_e32 vcc_lo, v5, v7
	s_or_b32 s1, vcc_lo, s1
	s_and_not1_b32 exec_lo, exec_lo, s1
	s_cbranch_execnz .LBB76_50
; %bb.51:
	s_or_b32 exec_lo, exec_lo, s1
.LBB76_52:
	s_delay_alu instid0(SALU_CYCLE_1) | instskip(SKIP_2) | instid1(VALU_DEP_2)
	s_or_b32 exec_lo, exec_lo, s0
	v_add_nc_u32_e32 v7, v6, v13
	v_add_nc_u32_e32 v11, v5, v12
                                        ; implicit-def: $vgpr8
	v_sub_nc_u32_e32 v10, v7, v5
	s_delay_alu instid0(VALU_DEP_2) | instskip(SKIP_1) | instid1(VALU_DEP_3)
	v_add_nc_u32_e32 v9, v0, v11
	v_cmp_le_i32_e32 vcc_lo, v6, v11
	v_add_nc_u32_e32 v12, v0, v10
	v_cmp_gt_i32_e64 s1, v4, v10
	ds_load_u8 v5, v9
	ds_load_u8 v7, v12
	s_waitcnt lgkmcnt(1)
	v_bfe_i32 v5, v5, 0, 8
	s_waitcnt lgkmcnt(0)
	v_bfe_i32 v7, v7, 0, 8
	s_delay_alu instid0(VALU_DEP_1) | instskip(NEXT) | instid1(VALU_DEP_1)
	v_cmp_lt_i16_e64 s0, v7, v5
	s_or_b32 s0, vcc_lo, s0
	s_delay_alu instid0(SALU_CYCLE_1) | instskip(NEXT) | instid1(SALU_CYCLE_1)
	s_and_b32 vcc_lo, s1, s0
	s_xor_b32 s0, vcc_lo, -1
	s_delay_alu instid0(SALU_CYCLE_1) | instskip(NEXT) | instid1(SALU_CYCLE_1)
	s_and_saveexec_b32 s1, s0
	s_xor_b32 s0, exec_lo, s1
	s_cbranch_execz .LBB76_54
; %bb.53:
	ds_load_u8 v8, v9 offset:1
                                        ; implicit-def: $vgpr12
.LBB76_54:
	s_or_saveexec_b32 s0, s0
	v_mov_b32_e32 v9, v7
	s_xor_b32 exec_lo, exec_lo, s0
	s_cbranch_execz .LBB76_56
; %bb.55:
	ds_load_u8 v9, v12 offset:1
	s_waitcnt lgkmcnt(1)
	v_mov_b32_e32 v8, v5
.LBB76_56:
	s_or_b32 exec_lo, exec_lo, s0
	v_add_nc_u32_e32 v12, 1, v11
	v_add_nc_u32_e32 v14, 1, v10
	s_waitcnt lgkmcnt(0)
	v_bfe_i32 v15, v8, 0, 8
	s_delay_alu instid0(VALU_DEP_3) | instskip(SKIP_2) | instid1(VALU_DEP_3)
	v_cndmask_b32_e32 v13, v12, v11, vcc_lo
	v_bfe_i32 v11, v9, 0, 8
	v_cndmask_b32_e32 v12, v10, v14, vcc_lo
                                        ; implicit-def: $vgpr10
	v_cmp_ge_i32_e64 s0, v13, v6
	s_delay_alu instid0(VALU_DEP_3) | instskip(NEXT) | instid1(VALU_DEP_3)
	v_cmp_lt_i16_e64 s1, v11, v15
	v_cmp_lt_i32_e64 s2, v12, v4
	s_delay_alu instid0(VALU_DEP_2)
	s_or_b32 s0, s0, s1
	s_delay_alu instid0(VALU_DEP_1) | instid1(SALU_CYCLE_1)
	s_and_b32 s0, s2, s0
	s_delay_alu instid0(SALU_CYCLE_1) | instskip(NEXT) | instid1(SALU_CYCLE_1)
	s_xor_b32 s1, s0, -1
	s_and_saveexec_b32 s2, s1
	s_delay_alu instid0(SALU_CYCLE_1)
	s_xor_b32 s1, exec_lo, s2
	s_cbranch_execz .LBB76_58
; %bb.57:
	v_add_nc_u32_e32 v10, v0, v13
	ds_load_u8 v10, v10 offset:1
.LBB76_58:
	s_or_saveexec_b32 s1, s1
	v_mov_b32_e32 v11, v9
	s_xor_b32 exec_lo, exec_lo, s1
	s_cbranch_execz .LBB76_60
; %bb.59:
	s_waitcnt lgkmcnt(0)
	v_add_nc_u32_e32 v10, v0, v12
	ds_load_u8 v11, v10 offset:1
	v_mov_b32_e32 v10, v8
.LBB76_60:
	s_or_b32 exec_lo, exec_lo, s1
	v_add_nc_u32_e32 v14, 1, v13
	v_add_nc_u32_e32 v15, 1, v12
	s_waitcnt lgkmcnt(0)
	v_bfe_i32 v16, v10, 0, 8
	s_delay_alu instid0(VALU_DEP_3) | instskip(SKIP_2) | instid1(VALU_DEP_3)
	v_cndmask_b32_e64 v14, v14, v13, s0
	v_bfe_i32 v13, v11, 0, 8
	v_cndmask_b32_e64 v12, v12, v15, s0
	v_cmp_ge_i32_e64 s1, v14, v6
	s_delay_alu instid0(VALU_DEP_3) | instskip(NEXT) | instid1(VALU_DEP_3)
	v_cmp_lt_i16_e64 s2, v13, v16
	v_cmp_lt_i32_e64 s3, v12, v4
                                        ; implicit-def: $vgpr13
	s_delay_alu instid0(VALU_DEP_2)
	s_or_b32 s1, s1, s2
	s_delay_alu instid0(VALU_DEP_1) | instid1(SALU_CYCLE_1)
	s_and_b32 s1, s3, s1
	s_delay_alu instid0(SALU_CYCLE_1) | instskip(NEXT) | instid1(SALU_CYCLE_1)
	s_xor_b32 s2, s1, -1
	s_and_saveexec_b32 s3, s2
	s_delay_alu instid0(SALU_CYCLE_1)
	s_xor_b32 s2, exec_lo, s3
	s_cbranch_execz .LBB76_62
; %bb.61:
	v_add_nc_u32_e32 v13, v0, v14
	ds_load_u8 v13, v13 offset:1
.LBB76_62:
	s_or_saveexec_b32 s2, s2
	v_mov_b32_e32 v15, v11
	s_xor_b32 exec_lo, exec_lo, s2
	s_cbranch_execz .LBB76_64
; %bb.63:
	s_waitcnt lgkmcnt(0)
	v_add_nc_u32_e32 v13, v0, v12
	ds_load_u8 v15, v13 offset:1
	v_mov_b32_e32 v13, v10
.LBB76_64:
	s_or_b32 exec_lo, exec_lo, s2
	v_dual_cndmask_b32 v5, v5, v7 :: v_dual_add_nc_u32 v16, 1, v14
	v_add_nc_u32_e32 v17, 1, v12
	s_waitcnt lgkmcnt(0)
	v_bfe_i32 v18, v13, 0, 8
	v_bfe_i32 v19, v15, 0, 8
	v_cndmask_b32_e64 v14, v16, v14, s1
	v_cndmask_b32_e64 v10, v10, v11, s1
	;; [unrolled: 1-line block ×4, first 2 shown]
	v_cmp_lt_i16_e64 s1, v19, v18
	v_cmp_ge_i32_e64 s2, v14, v6
	s_delay_alu instid0(VALU_DEP_4) | instskip(NEXT) | instid1(VALU_DEP_2)
	v_cmp_lt_i32_e32 vcc_lo, v11, v4
	; wave barrier
	s_or_b32 s1, s2, s1
	s_delay_alu instid0(SALU_CYCLE_1)
	s_and_b32 vcc_lo, vcc_lo, s1
	v_dual_cndmask_b32 v7, v13, v15 :: v_dual_and_b32 v2, 0x7c, v2
	ds_store_b8 v3, v5
	ds_store_b8 v3, v8 offset:1
	ds_store_b8 v3, v10 offset:2
	;; [unrolled: 1-line block ×3, first 2 shown]
	v_subrev_nc_u32_e32 v6, 64, v2
	v_cmp_lt_i32_e64 s0, 63, v2
	v_min_i32_e32 v4, 64, v2
	; wave barrier
	s_delay_alu instid0(VALU_DEP_2) | instskip(SKIP_1) | instid1(VALU_DEP_1)
	v_cndmask_b32_e64 v6, 0, v6, s0
	s_mov_b32 s0, exec_lo
	v_cmpx_lt_i32_e64 v6, v4
	s_cbranch_execz .LBB76_68
; %bb.65:
	v_add3_u32 v3, v0, 64, v2
	s_mov_b32 s1, 0
	.p2align	6
.LBB76_66:                              ; =>This Inner Loop Header: Depth=1
	v_sub_nc_u32_e32 v5, v4, v6
	s_delay_alu instid0(VALU_DEP_1) | instskip(NEXT) | instid1(VALU_DEP_1)
	v_lshrrev_b32_e32 v7, 31, v5
	v_add_nc_u32_e32 v5, v5, v7
	s_delay_alu instid0(VALU_DEP_1) | instskip(NEXT) | instid1(VALU_DEP_1)
	v_ashrrev_i32_e32 v5, 1, v5
	v_add_nc_u32_e32 v5, v5, v6
	s_delay_alu instid0(VALU_DEP_1)
	v_add_nc_u32_e32 v9, 1, v5
	v_add_nc_u32_e32 v7, v0, v5
	v_xad_u32 v8, v5, -1, v3
	ds_load_i8 v7, v7
	ds_load_i8 v8, v8
	s_waitcnt lgkmcnt(0)
	v_cmp_lt_i16_e32 vcc_lo, v8, v7
	v_cndmask_b32_e32 v6, v9, v6, vcc_lo
	v_cndmask_b32_e32 v4, v4, v5, vcc_lo
	s_delay_alu instid0(VALU_DEP_1) | instskip(SKIP_1) | instid1(SALU_CYCLE_1)
	v_cmp_ge_i32_e32 vcc_lo, v6, v4
	s_or_b32 s1, vcc_lo, s1
	s_and_not1_b32 exec_lo, exec_lo, s1
	s_cbranch_execnz .LBB76_66
; %bb.67:
	s_or_b32 exec_lo, exec_lo, s1
.LBB76_68:
	s_delay_alu instid0(SALU_CYCLE_1) | instskip(SKIP_3) | instid1(VALU_DEP_3)
	s_or_b32 exec_lo, exec_lo, s0
	v_add_nc_u32_e32 v2, 64, v2
	v_add_nc_u32_e32 v5, v0, v6
	v_cmp_le_i32_e32 vcc_lo, 64, v6
                                        ; implicit-def: $vgpr4
	v_sub_nc_u32_e32 v7, v2, v6
	s_delay_alu instid0(VALU_DEP_1)
	v_add_nc_u32_e32 v8, v0, v7
	v_cmp_gt_i32_e64 s1, 0x80, v7
	ds_load_u8 v2, v5
	ds_load_u8 v3, v8
	s_waitcnt lgkmcnt(1)
	v_bfe_i32 v2, v2, 0, 8
	s_waitcnt lgkmcnt(0)
	v_bfe_i32 v3, v3, 0, 8
	s_delay_alu instid0(VALU_DEP_1) | instskip(NEXT) | instid1(VALU_DEP_1)
	v_cmp_lt_i16_e64 s0, v3, v2
	s_or_b32 s0, vcc_lo, s0
	s_delay_alu instid0(SALU_CYCLE_1) | instskip(NEXT) | instid1(SALU_CYCLE_1)
	s_and_b32 vcc_lo, s1, s0
	s_xor_b32 s0, vcc_lo, -1
	s_delay_alu instid0(SALU_CYCLE_1) | instskip(NEXT) | instid1(SALU_CYCLE_1)
	s_and_saveexec_b32 s1, s0
	s_xor_b32 s0, exec_lo, s1
	s_cbranch_execz .LBB76_70
; %bb.69:
	ds_load_u8 v4, v5 offset:1
                                        ; implicit-def: $vgpr8
.LBB76_70:
	s_or_saveexec_b32 s0, s0
	v_mov_b32_e32 v5, v3
	s_xor_b32 exec_lo, exec_lo, s0
	s_cbranch_execz .LBB76_72
; %bb.71:
	ds_load_u8 v5, v8 offset:1
	s_waitcnt lgkmcnt(1)
	v_mov_b32_e32 v4, v2
.LBB76_72:
	s_or_b32 exec_lo, exec_lo, s0
	v_add_nc_u32_e32 v8, 1, v6
	v_add_nc_u32_e32 v10, 1, v7
	s_waitcnt lgkmcnt(0)
	v_bfe_i32 v11, v4, 0, 8
	s_delay_alu instid0(VALU_DEP_3) | instskip(SKIP_2) | instid1(VALU_DEP_3)
	v_cndmask_b32_e32 v9, v8, v6, vcc_lo
	v_bfe_i32 v6, v5, 0, 8
	v_cndmask_b32_e32 v8, v7, v10, vcc_lo
                                        ; implicit-def: $vgpr7
	v_cmp_le_i32_e64 s0, 64, v9
	s_delay_alu instid0(VALU_DEP_3) | instskip(NEXT) | instid1(VALU_DEP_3)
	v_cmp_lt_i16_e64 s1, v6, v11
	v_cmp_gt_i32_e64 s2, 0x80, v8
	s_delay_alu instid0(VALU_DEP_2)
	s_or_b32 s0, s0, s1
	s_delay_alu instid0(VALU_DEP_1) | instid1(SALU_CYCLE_1)
	s_and_b32 s0, s2, s0
	s_delay_alu instid0(SALU_CYCLE_1) | instskip(NEXT) | instid1(SALU_CYCLE_1)
	s_xor_b32 s1, s0, -1
	s_and_saveexec_b32 s2, s1
	s_delay_alu instid0(SALU_CYCLE_1)
	s_xor_b32 s1, exec_lo, s2
	s_cbranch_execz .LBB76_74
; %bb.73:
	v_add_nc_u32_e32 v6, v0, v9
	ds_load_u8 v7, v6 offset:1
.LBB76_74:
	s_or_saveexec_b32 s1, s1
	v_mov_b32_e32 v6, v5
	s_xor_b32 exec_lo, exec_lo, s1
	s_cbranch_execz .LBB76_76
; %bb.75:
	v_add_nc_u32_e32 v6, v0, v8
	s_waitcnt lgkmcnt(0)
	v_mov_b32_e32 v7, v4
	ds_load_u8 v6, v6 offset:1
.LBB76_76:
	s_or_b32 exec_lo, exec_lo, s1
	v_add_nc_u32_e32 v10, 1, v9
	v_add_nc_u32_e32 v12, 1, v8
	s_waitcnt lgkmcnt(0)
	v_bfe_i32 v13, v7, 0, 8
	s_delay_alu instid0(VALU_DEP_3) | instskip(SKIP_2) | instid1(VALU_DEP_3)
	v_cndmask_b32_e64 v11, v10, v9, s0
	v_bfe_i32 v9, v6, 0, 8
	v_cndmask_b32_e64 v8, v8, v12, s0
                                        ; implicit-def: $vgpr10
	v_cmp_gt_i32_e64 s1, 64, v11
	s_delay_alu instid0(VALU_DEP_3) | instskip(NEXT) | instid1(VALU_DEP_3)
	v_cmp_ge_i16_e64 s2, v9, v13
	v_cmp_le_i32_e64 s3, 0x80, v8
                                        ; implicit-def: $vgpr9
	s_delay_alu instid0(VALU_DEP_2)
	s_and_b32 s1, s1, s2
	s_delay_alu instid0(VALU_DEP_1) | instid1(SALU_CYCLE_1)
	s_or_b32 s1, s3, s1
	s_delay_alu instid0(SALU_CYCLE_1) | instskip(NEXT) | instid1(SALU_CYCLE_1)
	s_and_saveexec_b32 s2, s1
	s_xor_b32 s1, exec_lo, s2
	s_cbranch_execz .LBB76_78
; %bb.77:
	v_add_nc_u32_e32 v0, v0, v11
	v_add_nc_u32_e32 v10, 1, v11
                                        ; implicit-def: $vgpr11
	ds_load_u8 v9, v0 offset:1
                                        ; implicit-def: $vgpr0
.LBB76_78:
	s_or_saveexec_b32 s1, s1
	v_mov_b32_e32 v12, v7
	s_xor_b32 exec_lo, exec_lo, s1
	s_cbranch_execz .LBB76_80
; %bb.79:
	s_waitcnt lgkmcnt(0)
	v_dual_mov_b32 v9, v7 :: v_dual_add_nc_u32 v0, v0, v8
	v_add_nc_u32_e32 v8, 1, v8
	v_mov_b32_e32 v12, v6
	v_mov_b32_e32 v10, v11
	ds_load_u8 v0, v0 offset:1
	s_waitcnt lgkmcnt(0)
	v_mov_b32_e32 v6, v0
.LBB76_80:
	s_or_b32 exec_lo, exec_lo, s1
	s_waitcnt lgkmcnt(0)
	v_bfe_i32 v0, v9, 0, 8
	s_delay_alu instid0(VALU_DEP_2) | instskip(SKIP_3) | instid1(VALU_DEP_4)
	v_bfe_i32 v7, v6, 0, 8
	v_cmp_le_i32_e64 s1, 64, v10
	v_cmp_gt_i32_e64 s3, 0x80, v8
	v_cndmask_b32_e32 v2, v2, v3, vcc_lo
	v_cmp_lt_i16_e64 s2, v7, v0
	v_cndmask_b32_e64 v0, v4, v5, s0
	v_and_b32_e32 v4, 0xff, v12
	s_delay_alu instid0(VALU_DEP_3) | instskip(NEXT) | instid1(VALU_DEP_2)
	s_or_b32 s0, s1, s2
	v_lshlrev_b16 v0, 8, v0
	s_and_b32 vcc_lo, s3, s0
	s_add_u32 s0, s6, s8
	v_cndmask_b32_e32 v3, v9, v6, vcc_lo
	v_and_b32_e32 v2, 0xff, v2
	s_addc_u32 s1, s7, 0
	s_delay_alu instid0(VALU_DEP_2) | instskip(NEXT) | instid1(VALU_DEP_2)
	v_lshlrev_b16 v3, 8, v3
	v_or_b32_e32 v0, v2, v0
	s_delay_alu instid0(VALU_DEP_2) | instskip(NEXT) | instid1(VALU_DEP_2)
	v_or_b32_e32 v2, v4, v3
	v_and_b32_e32 v3, 0xffff, v0
	v_add_co_u32 v0, s0, s0, v1
	s_delay_alu instid0(VALU_DEP_1) | instskip(NEXT) | instid1(VALU_DEP_4)
	v_add_co_ci_u32_e64 v1, null, s1, 0, s0
	v_lshlrev_b32_e32 v2, 16, v2
	s_delay_alu instid0(VALU_DEP_1)
	v_or_b32_e32 v2, v3, v2
	global_store_b32 v[0:1], v2, off
	s_nop 0
	s_sendmsg sendmsg(MSG_DEALLOC_VGPRS)
	s_endpgm
	.section	.rodata,"a",@progbits
	.p2align	6, 0x0
	.amdhsa_kernel _Z9sort_keysILj256ELj32ELj4EaN10test_utils4lessEEvPKT2_PS2_T3_
		.amdhsa_group_segment_fixed_size 1032
		.amdhsa_private_segment_fixed_size 0
		.amdhsa_kernarg_size 20
		.amdhsa_user_sgpr_count 15
		.amdhsa_user_sgpr_dispatch_ptr 0
		.amdhsa_user_sgpr_queue_ptr 0
		.amdhsa_user_sgpr_kernarg_segment_ptr 1
		.amdhsa_user_sgpr_dispatch_id 0
		.amdhsa_user_sgpr_private_segment_size 0
		.amdhsa_wavefront_size32 1
		.amdhsa_uses_dynamic_stack 0
		.amdhsa_enable_private_segment 0
		.amdhsa_system_sgpr_workgroup_id_x 1
		.amdhsa_system_sgpr_workgroup_id_y 0
		.amdhsa_system_sgpr_workgroup_id_z 0
		.amdhsa_system_sgpr_workgroup_info 0
		.amdhsa_system_vgpr_workitem_id 0
		.amdhsa_next_free_vgpr 22
		.amdhsa_next_free_sgpr 16
		.amdhsa_reserve_vcc 1
		.amdhsa_float_round_mode_32 0
		.amdhsa_float_round_mode_16_64 0
		.amdhsa_float_denorm_mode_32 3
		.amdhsa_float_denorm_mode_16_64 3
		.amdhsa_dx10_clamp 1
		.amdhsa_ieee_mode 1
		.amdhsa_fp16_overflow 0
		.amdhsa_workgroup_processor_mode 1
		.amdhsa_memory_ordered 1
		.amdhsa_forward_progress 0
		.amdhsa_shared_vgpr_count 0
		.amdhsa_exception_fp_ieee_invalid_op 0
		.amdhsa_exception_fp_denorm_src 0
		.amdhsa_exception_fp_ieee_div_zero 0
		.amdhsa_exception_fp_ieee_overflow 0
		.amdhsa_exception_fp_ieee_underflow 0
		.amdhsa_exception_fp_ieee_inexact 0
		.amdhsa_exception_int_div_zero 0
	.end_amdhsa_kernel
	.section	.text._Z9sort_keysILj256ELj32ELj4EaN10test_utils4lessEEvPKT2_PS2_T3_,"axG",@progbits,_Z9sort_keysILj256ELj32ELj4EaN10test_utils4lessEEvPKT2_PS2_T3_,comdat
.Lfunc_end76:
	.size	_Z9sort_keysILj256ELj32ELj4EaN10test_utils4lessEEvPKT2_PS2_T3_, .Lfunc_end76-_Z9sort_keysILj256ELj32ELj4EaN10test_utils4lessEEvPKT2_PS2_T3_
                                        ; -- End function
	.section	.AMDGPU.csdata,"",@progbits
; Kernel info:
; codeLenInByte = 4760
; NumSgprs: 18
; NumVgprs: 22
; ScratchSize: 0
; MemoryBound: 0
; FloatMode: 240
; IeeeMode: 1
; LDSByteSize: 1032 bytes/workgroup (compile time only)
; SGPRBlocks: 2
; VGPRBlocks: 2
; NumSGPRsForWavesPerEU: 18
; NumVGPRsForWavesPerEU: 22
; Occupancy: 16
; WaveLimiterHint : 0
; COMPUTE_PGM_RSRC2:SCRATCH_EN: 0
; COMPUTE_PGM_RSRC2:USER_SGPR: 15
; COMPUTE_PGM_RSRC2:TRAP_HANDLER: 0
; COMPUTE_PGM_RSRC2:TGID_X_EN: 1
; COMPUTE_PGM_RSRC2:TGID_Y_EN: 0
; COMPUTE_PGM_RSRC2:TGID_Z_EN: 0
; COMPUTE_PGM_RSRC2:TIDIG_COMP_CNT: 0
	.section	.text._Z10sort_pairsILj256ELj32ELj4EaN10test_utils4lessEEvPKT2_PS2_T3_,"axG",@progbits,_Z10sort_pairsILj256ELj32ELj4EaN10test_utils4lessEEvPKT2_PS2_T3_,comdat
	.protected	_Z10sort_pairsILj256ELj32ELj4EaN10test_utils4lessEEvPKT2_PS2_T3_ ; -- Begin function _Z10sort_pairsILj256ELj32ELj4EaN10test_utils4lessEEvPKT2_PS2_T3_
	.globl	_Z10sort_pairsILj256ELj32ELj4EaN10test_utils4lessEEvPKT2_PS2_T3_
	.p2align	8
	.type	_Z10sort_pairsILj256ELj32ELj4EaN10test_utils4lessEEvPKT2_PS2_T3_,@function
_Z10sort_pairsILj256ELj32ELj4EaN10test_utils4lessEEvPKT2_PS2_T3_: ; @_Z10sort_pairsILj256ELj32ELj4EaN10test_utils4lessEEvPKT2_PS2_T3_
; %bb.0:
	s_load_b128 s[8:11], s[0:1], 0x0
	s_lshl_b32 s12, s15, 10
	v_lshlrev_b32_e32 v1, 2, v0
	v_lshrrev_b32_e32 v0, 5, v0
	s_mov_b32 s6, 0
	s_mov_b32 s7, exec_lo
	s_waitcnt lgkmcnt(0)
	s_add_u32 s0, s8, s12
	s_addc_u32 s1, s9, 0
	global_load_b32 v7, v1, s[0:1]
	; wave barrier
	s_waitcnt vmcnt(0)
	v_lshrrev_b32_e32 v2, 8, v7
	v_bfe_i32 v3, v7, 0, 8
	s_delay_alu instid0(VALU_DEP_2) | instskip(SKIP_1) | instid1(VALU_DEP_2)
	v_bfe_i32 v4, v2, 0, 8
	v_perm_b32 v2, v7, v7, 0x7060405
	v_cmp_lt_i16_e64 s0, v4, v3
	s_delay_alu instid0(VALU_DEP_1) | instskip(NEXT) | instid1(VALU_DEP_1)
	v_cndmask_b32_e64 v2, v7, v2, s0
	v_lshrrev_b32_e32 v5, 16, v2
	v_lshrrev_b32_e32 v8, 24, v2
	s_delay_alu instid0(VALU_DEP_2) | instskip(NEXT) | instid1(VALU_DEP_2)
	v_perm_b32 v6, 0, v5, 0xc0c0001
	v_bfe_i32 v8, v8, 0, 8
	v_bfe_i32 v5, v5, 0, 8
	s_delay_alu instid0(VALU_DEP_3) | instskip(NEXT) | instid1(VALU_DEP_2)
	v_lshlrev_b32_e32 v6, 16, v6
	v_cmp_lt_i16_e64 s1, v8, v5
	v_min_i16 v5, v8, v5
	s_delay_alu instid0(VALU_DEP_3) | instskip(NEXT) | instid1(VALU_DEP_2)
	v_and_or_b32 v6, 0xffff, v2, v6
	v_lshlrev_b16 v8, 8, v5
	s_delay_alu instid0(VALU_DEP_2) | instskip(NEXT) | instid1(VALU_DEP_1)
	v_cndmask_b32_e64 v2, v2, v6, s1
	v_lshrrev_b32_e32 v6, 16, v2
	v_lshrrev_b16 v9, 8, v2
	v_and_b32_e32 v10, 0xff, v2
	s_delay_alu instid0(VALU_DEP_3) | instskip(NEXT) | instid1(VALU_DEP_2)
	v_and_b32_e32 v6, 0xffffff00, v6
	v_or_b32_e32 v8, v10, v8
	s_delay_alu instid0(VALU_DEP_2) | instskip(SKIP_1) | instid1(VALU_DEP_3)
	v_or_b32_e32 v6, v9, v6
	v_lshrrev_b32_e32 v9, 8, v2
	v_and_b32_e32 v8, 0xffff, v8
	s_delay_alu instid0(VALU_DEP_3) | instskip(NEXT) | instid1(VALU_DEP_3)
	v_lshlrev_b32_e32 v6, 16, v6
	v_bfe_i32 v9, v9, 0, 8
	s_delay_alu instid0(VALU_DEP_2) | instskip(NEXT) | instid1(VALU_DEP_2)
	v_or_b32_e32 v6, v8, v6
	v_cmp_lt_i16_e64 s2, v5, v9
	v_min_i16 v8, v5, v9
	v_mbcnt_lo_u32_b32 v9, -1, 0
	s_delay_alu instid0(VALU_DEP_3) | instskip(NEXT) | instid1(VALU_DEP_3)
	v_cndmask_b32_e64 v2, v2, v6, s2
	v_and_b32_e32 v5, 0xff, v8
	s_delay_alu instid0(VALU_DEP_2) | instskip(NEXT) | instid1(VALU_DEP_1)
	v_lshlrev_b16 v6, 8, v2
	v_or_b32_e32 v5, v5, v6
	v_bfe_i32 v6, v2, 0, 8
	s_delay_alu instid0(VALU_DEP_2) | instskip(NEXT) | instid1(VALU_DEP_2)
	v_and_b32_e32 v5, 0xffff, v5
	v_cmp_lt_i16_e64 s3, v8, v6
	s_delay_alu instid0(VALU_DEP_2) | instskip(NEXT) | instid1(VALU_DEP_1)
	v_and_or_b32 v5, 0xffff0000, v2, v5
	v_cndmask_b32_e64 v2, v2, v5, s3
	s_delay_alu instid0(VALU_DEP_1) | instskip(SKIP_1) | instid1(VALU_DEP_2)
	v_lshrrev_b32_e32 v5, 16, v2
	v_lshrrev_b32_e32 v8, 24, v2
	v_perm_b32 v6, 0, v5, 0xc0c0001
	s_delay_alu instid0(VALU_DEP_2) | instskip(SKIP_1) | instid1(VALU_DEP_3)
	v_bfe_i32 v8, v8, 0, 8
	v_bfe_i32 v5, v5, 0, 8
	v_lshlrev_b32_e32 v6, 16, v6
	s_delay_alu instid0(VALU_DEP_2) | instskip(SKIP_1) | instid1(VALU_DEP_3)
	v_cmp_lt_i16_e32 vcc_lo, v8, v5
	v_min_i16 v13, v8, v5
	v_and_or_b32 v6, 0xffff, v2, v6
	s_delay_alu instid0(VALU_DEP_1) | instskip(SKIP_1) | instid1(VALU_DEP_4)
	v_cndmask_b32_e32 v12, v2, v6, vcc_lo
	v_lshlrev_b32_e32 v2, 2, v9
	v_lshlrev_b16 v9, 8, v13
	s_delay_alu instid0(VALU_DEP_3) | instskip(NEXT) | instid1(VALU_DEP_3)
	v_lshrrev_b32_e32 v5, 16, v12
	v_and_b32_e32 v8, 0x78, v2
	v_lshrrev_b16 v10, 8, v12
	v_and_b32_e32 v11, 0xff, v12
	v_lshrrev_b32_e32 v15, 8, v12
	v_and_b32_e32 v14, 0xffffff00, v5
	v_or_b32_e32 v6, 4, v8
	v_add_nc_u32_e32 v5, 8, v8
	v_or_b32_e32 v11, v11, v9
	v_and_b32_e32 v9, 4, v2
	v_or_b32_e32 v10, v10, v14
	v_bfe_i32 v15, v15, 0, 8
	v_sub_nc_u32_e32 v14, v5, v6
	v_and_b32_e32 v11, 0xffff, v11
	v_sub_nc_u32_e32 v16, v6, v8
	v_lshlrev_b32_e32 v10, 16, v10
	v_mad_u32_u24 v17, 0x81, v0, v2
	v_sub_nc_u32_e32 v18, v9, v14
	v_cmp_ge_i32_e64 s4, v9, v14
	v_mul_u32_u24_e32 v0, 0x81, v0
	v_or_b32_e32 v19, v11, v10
	v_min_i32_e32 v11, v9, v16
	s_delay_alu instid0(VALU_DEP_4) | instskip(SKIP_1) | instid1(VALU_DEP_1)
	v_cndmask_b32_e64 v10, 0, v18, s4
	v_cmp_lt_i16_e64 s4, v13, v15
	v_cndmask_b32_e64 v12, v12, v19, s4
	ds_store_b32 v17, v12
	; wave barrier
	v_cmpx_lt_i32_e64 v10, v11
	s_cbranch_execz .LBB77_4
; %bb.1:
	v_add_nc_u32_e32 v12, v0, v8
	v_add3_u32 v13, v0, v6, v9
	.p2align	6
.LBB77_2:                               ; =>This Inner Loop Header: Depth=1
	v_sub_nc_u32_e32 v14, v11, v10
	s_delay_alu instid0(VALU_DEP_1) | instskip(NEXT) | instid1(VALU_DEP_1)
	v_lshrrev_b32_e32 v15, 31, v14
	v_add_nc_u32_e32 v14, v14, v15
	s_delay_alu instid0(VALU_DEP_1) | instskip(NEXT) | instid1(VALU_DEP_1)
	v_ashrrev_i32_e32 v14, 1, v14
	v_add_nc_u32_e32 v14, v14, v10
	s_delay_alu instid0(VALU_DEP_1)
	v_add_nc_u32_e32 v15, v12, v14
	v_xad_u32 v16, v14, -1, v13
	v_add_nc_u32_e32 v17, 1, v14
	ds_load_i8 v15, v15
	ds_load_i8 v16, v16
	s_waitcnt lgkmcnt(0)
	v_cmp_lt_i16_e64 s5, v16, v15
	s_delay_alu instid0(VALU_DEP_1) | instskip(SKIP_1) | instid1(VALU_DEP_1)
	v_cndmask_b32_e64 v11, v11, v14, s5
	v_cndmask_b32_e64 v10, v17, v10, s5
	v_cmp_ge_i32_e64 s5, v10, v11
	s_delay_alu instid0(VALU_DEP_1) | instskip(NEXT) | instid1(SALU_CYCLE_1)
	s_or_b32 s6, s5, s6
	s_and_not1_b32 exec_lo, exec_lo, s6
	s_cbranch_execnz .LBB77_2
; %bb.3:
	s_or_b32 exec_lo, exec_lo, s6
.LBB77_4:
	s_delay_alu instid0(SALU_CYCLE_1) | instskip(SKIP_4) | instid1(VALU_DEP_4)
	s_or_b32 exec_lo, exec_lo, s7
	v_add_nc_u32_e32 v9, v6, v9
	v_lshrrev_b32_e32 v16, 16, v7
	v_lshrrev_b32_e32 v12, 24, v7
	v_add_nc_u32_e32 v7, v10, v8
                                        ; implicit-def: $vgpr11
	v_sub_nc_u32_e32 v10, v9, v10
	s_delay_alu instid0(VALU_DEP_2) | instskip(SKIP_1) | instid1(VALU_DEP_3)
	v_add_nc_u32_e32 v13, v0, v7
	v_cmp_le_i32_e64 s5, v6, v7
	v_add_nc_u32_e32 v14, v0, v10
	v_cmp_gt_i32_e64 s7, v5, v10
	ds_load_u8 v8, v13
	ds_load_u8 v9, v14
	s_waitcnt lgkmcnt(1)
	v_bfe_i32 v8, v8, 0, 8
	s_waitcnt lgkmcnt(0)
	v_bfe_i32 v9, v9, 0, 8
	s_delay_alu instid0(VALU_DEP_1) | instskip(NEXT) | instid1(VALU_DEP_1)
	v_cmp_lt_i16_e64 s6, v9, v8
	s_or_b32 s5, s5, s6
	s_delay_alu instid0(SALU_CYCLE_1) | instskip(NEXT) | instid1(SALU_CYCLE_1)
	s_and_b32 s5, s7, s5
	s_xor_b32 s6, s5, -1
	s_delay_alu instid0(SALU_CYCLE_1) | instskip(NEXT) | instid1(SALU_CYCLE_1)
	s_and_saveexec_b32 s7, s6
	s_xor_b32 s6, exec_lo, s7
	s_cbranch_execz .LBB77_6
; %bb.5:
	ds_load_u8 v11, v13 offset:1
                                        ; implicit-def: $vgpr14
.LBB77_6:
	s_or_saveexec_b32 s6, s6
	v_mov_b32_e32 v13, v9
	s_xor_b32 exec_lo, exec_lo, s6
	s_cbranch_execz .LBB77_8
; %bb.7:
	ds_load_u8 v13, v14 offset:1
	s_waitcnt lgkmcnt(1)
	v_mov_b32_e32 v11, v8
.LBB77_8:
	s_or_b32 exec_lo, exec_lo, s6
	v_add_nc_u32_e32 v14, 1, v7
	v_add_nc_u32_e32 v15, 1, v10
	s_waitcnt lgkmcnt(0)
	v_bfe_i32 v19, v11, 0, 8
	s_delay_alu instid0(VALU_DEP_3) | instskip(SKIP_2) | instid1(VALU_DEP_3)
	v_cndmask_b32_e64 v17, v14, v7, s5
	v_bfe_i32 v14, v13, 0, 8
	v_cndmask_b32_e64 v18, v10, v15, s5
	v_cmp_ge_i32_e64 s6, v17, v6
	s_delay_alu instid0(VALU_DEP_3) | instskip(NEXT) | instid1(VALU_DEP_3)
	v_cmp_lt_i16_e64 s7, v14, v19
	v_cmp_lt_i32_e64 s8, v18, v5
                                        ; implicit-def: $vgpr14
	s_delay_alu instid0(VALU_DEP_2)
	s_or_b32 s6, s6, s7
	s_delay_alu instid0(VALU_DEP_1) | instid1(SALU_CYCLE_1)
	s_and_b32 s6, s8, s6
	s_delay_alu instid0(SALU_CYCLE_1) | instskip(NEXT) | instid1(SALU_CYCLE_1)
	s_xor_b32 s7, s6, -1
	s_and_saveexec_b32 s8, s7
	s_delay_alu instid0(SALU_CYCLE_1)
	s_xor_b32 s7, exec_lo, s8
	s_cbranch_execz .LBB77_10
; %bb.9:
	v_add_nc_u32_e32 v14, v0, v17
	ds_load_u8 v14, v14 offset:1
.LBB77_10:
	s_or_saveexec_b32 s7, s7
	v_mov_b32_e32 v15, v13
	s_xor_b32 exec_lo, exec_lo, s7
	s_cbranch_execz .LBB77_12
; %bb.11:
	s_waitcnt lgkmcnt(0)
	v_add_nc_u32_e32 v14, v0, v18
	ds_load_u8 v15, v14 offset:1
	v_mov_b32_e32 v14, v11
.LBB77_12:
	s_or_b32 exec_lo, exec_lo, s7
	v_add_nc_u32_e32 v19, 1, v17
	v_add_nc_u32_e32 v21, 1, v18
	s_waitcnt lgkmcnt(0)
	v_bfe_i32 v22, v14, 0, 8
	v_bfe_i32 v23, v15, 0, 8
	v_cndmask_b32_e64 v20, v19, v17, s6
	v_cndmask_b32_e64 v19, v18, v21, s6
                                        ; implicit-def: $vgpr21
	s_delay_alu instid0(VALU_DEP_3) | instskip(NEXT) | instid1(VALU_DEP_3)
	v_cmp_lt_i16_e64 s8, v23, v22
	v_cmp_ge_i32_e64 s7, v20, v6
	s_delay_alu instid0(VALU_DEP_3) | instskip(NEXT) | instid1(VALU_DEP_2)
	v_cmp_lt_i32_e64 s9, v19, v5
	s_or_b32 s7, s7, s8
	s_delay_alu instid0(VALU_DEP_1) | instid1(SALU_CYCLE_1)
	s_and_b32 s7, s9, s7
	s_delay_alu instid0(SALU_CYCLE_1) | instskip(NEXT) | instid1(SALU_CYCLE_1)
	s_xor_b32 s8, s7, -1
	s_and_saveexec_b32 s9, s8
	s_delay_alu instid0(SALU_CYCLE_1)
	s_xor_b32 s8, exec_lo, s9
	s_cbranch_execz .LBB77_14
; %bb.13:
	v_add_nc_u32_e32 v21, v0, v20
	ds_load_u8 v21, v21 offset:1
.LBB77_14:
	s_or_saveexec_b32 s8, s8
	v_mov_b32_e32 v22, v15
	s_xor_b32 exec_lo, exec_lo, s8
	s_cbranch_execz .LBB77_16
; %bb.15:
	s_waitcnt lgkmcnt(0)
	v_add_nc_u32_e32 v21, v0, v19
	ds_load_u8 v22, v21 offset:1
	v_mov_b32_e32 v21, v14
.LBB77_16:
	s_or_b32 exec_lo, exec_lo, s8
	v_add_nc_u16 v16, v16, 1
	v_add_nc_u16 v4, v4, 1
	;; [unrolled: 1-line block ×3, first 2 shown]
	v_lshlrev_b16 v12, 8, v12
	v_cndmask_b32_e64 v18, v17, v18, s6
	v_and_b32_e32 v16, 0xff, v16
	v_lshlrev_b16 v23, 8, v4
	v_and_b32_e32 v24, 0xff, v3
	v_lshlrev_b16 v3, 8, v3
	v_cndmask_b32_e64 v7, v7, v10, s5
	v_or_b32_e32 v12, v12, v16
	s_waitcnt lgkmcnt(0)
	v_bfe_i32 v10, v21, 0, 8
	v_or_b32_e32 v16, v24, v23
	v_add_nc_u32_e32 v23, 1, v20
	v_cndmask_b32_e64 v24, v20, v19, s7
	v_bfe_i32 v25, v22, 0, 8
	; wave barrier
	s_delay_alu instid0(VALU_DEP_3) | instskip(SKIP_3) | instid1(VALU_DEP_3)
	v_cndmask_b32_e64 v20, v23, v20, s7
	v_and_b32_e32 v4, 0xff, v4
	v_cndmask_b32_e64 v8, v8, v9, s5
	v_cndmask_b32_e64 v9, v11, v13, s6
	v_or_b32_e32 v3, v4, v3
	v_add_nc_u16 v4, v12, 0x100
	v_and_b32_e32 v12, 0xffff, v16
	s_delay_alu instid0(VALU_DEP_3) | instskip(NEXT) | instid1(VALU_DEP_3)
	v_and_b32_e32 v3, 0xffff, v3
	v_lshlrev_b32_e32 v16, 16, v4
	v_perm_b32 v4, 0, v4, 0xc0c0001
	s_delay_alu instid0(VALU_DEP_3) | instskip(SKIP_1) | instid1(VALU_DEP_3)
	v_cndmask_b32_e64 v3, v12, v3, s0
	v_add_nc_u32_e32 v12, 1, v19
	v_lshlrev_b32_e32 v4, 16, v4
	v_cmp_lt_i16_e64 s0, v25, v10
	s_delay_alu instid0(VALU_DEP_4) | instskip(NEXT) | instid1(VALU_DEP_4)
	v_or_b32_e32 v3, v3, v16
	v_cndmask_b32_e64 v19, v19, v12, s7
	v_and_b32_e32 v16, 0x70, v2
	s_delay_alu instid0(VALU_DEP_3) | instskip(NEXT) | instid1(VALU_DEP_2)
	v_and_or_b32 v4, 0xffff, v3, v4
	v_or_b32_e32 v10, 8, v16
	v_add_nc_u32_e32 v12, 16, v16
	s_delay_alu instid0(VALU_DEP_3) | instskip(SKIP_2) | instid1(VALU_DEP_3)
	v_cndmask_b32_e64 v3, v3, v4, s1
	v_cmp_ge_i32_e64 s1, v20, v6
	v_add_nc_u32_e32 v6, v0, v7
	v_perm_b32 v4, v3, v3, 0x7050604
	s_delay_alu instid0(VALU_DEP_3) | instskip(SKIP_1) | instid1(VALU_DEP_1)
	s_or_b32 s0, s1, s0
	s_mov_b32 s1, 0
	v_cndmask_b32_e64 v3, v3, v4, s2
	s_delay_alu instid0(VALU_DEP_1) | instskip(NEXT) | instid1(VALU_DEP_1)
	v_perm_b32 v4, 0, v3, 0xc0c0001
	v_and_or_b32 v4, 0xffff0000, v3, v4
	s_delay_alu instid0(VALU_DEP_1) | instskip(NEXT) | instid1(VALU_DEP_1)
	v_cndmask_b32_e64 v4, v3, v4, s3
	v_lshrrev_b32_e32 v3, 16, v4
	s_delay_alu instid0(VALU_DEP_1) | instskip(NEXT) | instid1(VALU_DEP_1)
	v_perm_b32 v3, 0, v3, 0xc0c0001
	v_lshlrev_b32_e32 v17, 16, v3
	v_add_nc_u32_e32 v3, v0, v2
	s_delay_alu instid0(VALU_DEP_2) | instskip(NEXT) | instid1(VALU_DEP_1)
	v_and_or_b32 v23, 0xffff, v4, v17
	v_dual_cndmask_b32 v4, v4, v23 :: v_dual_and_b32 v17, 12, v2
	v_cmp_lt_i32_e32 vcc_lo, v19, v5
	s_delay_alu instid0(VALU_DEP_2)
	v_perm_b32 v5, v4, v4, 0x7050604
	s_and_b32 vcc_lo, vcc_lo, s0
	s_mov_b32 s0, exec_lo
	v_cndmask_b32_e32 v7, v20, v19, vcc_lo
	v_sub_nc_u32_e32 v19, v12, v10
	v_cndmask_b32_e64 v4, v4, v5, s4
	v_add_nc_u32_e32 v5, v0, v18
	v_add_nc_u32_e32 v18, v0, v24
	;; [unrolled: 1-line block ×3, first 2 shown]
	v_cndmask_b32_e32 v21, v21, v22, vcc_lo
	ds_store_b32 v3, v4
	; wave barrier
	ds_load_u8 v4, v6
	ds_load_u8 v5, v5
	;; [unrolled: 1-line block ×4, first 2 shown]
	v_sub_nc_u32_e32 v18, v17, v19
	v_sub_nc_u32_e32 v20, v10, v16
	v_cmp_ge_i32_e32 vcc_lo, v17, v19
	v_cndmask_b32_e64 v22, v14, v15, s7
	; wave barrier
	s_delay_alu instid0(VALU_DEP_3)
	v_min_i32_e32 v15, v17, v20
	v_cndmask_b32_e32 v14, 0, v18, vcc_lo
	ds_store_b8 v3, v8
	ds_store_b8 v3, v9 offset:1
	ds_store_b8 v3, v22 offset:2
	;; [unrolled: 1-line block ×3, first 2 shown]
	; wave barrier
	v_cmpx_lt_i32_e64 v14, v15
	s_cbranch_execz .LBB77_20
; %bb.17:
	v_add_nc_u32_e32 v8, v0, v16
	v_add3_u32 v9, v0, v10, v17
	.p2align	6
.LBB77_18:                              ; =>This Inner Loop Header: Depth=1
	v_sub_nc_u32_e32 v11, v15, v14
	s_delay_alu instid0(VALU_DEP_1) | instskip(NEXT) | instid1(VALU_DEP_1)
	v_lshrrev_b32_e32 v13, 31, v11
	v_add_nc_u32_e32 v11, v11, v13
	s_delay_alu instid0(VALU_DEP_1) | instskip(NEXT) | instid1(VALU_DEP_1)
	v_ashrrev_i32_e32 v11, 1, v11
	v_add_nc_u32_e32 v11, v11, v14
	s_delay_alu instid0(VALU_DEP_1)
	v_add_nc_u32_e32 v19, 1, v11
	v_add_nc_u32_e32 v13, v8, v11
	v_xad_u32 v18, v11, -1, v9
	ds_load_i8 v13, v13
	ds_load_i8 v18, v18
	s_waitcnt lgkmcnt(0)
	v_cmp_lt_i16_e32 vcc_lo, v18, v13
	v_cndmask_b32_e32 v14, v19, v14, vcc_lo
	v_cndmask_b32_e32 v15, v15, v11, vcc_lo
	s_delay_alu instid0(VALU_DEP_1) | instskip(SKIP_1) | instid1(SALU_CYCLE_1)
	v_cmp_ge_i32_e32 vcc_lo, v14, v15
	s_or_b32 s1, vcc_lo, s1
	s_and_not1_b32 exec_lo, exec_lo, s1
	s_cbranch_execnz .LBB77_18
; %bb.19:
	s_or_b32 exec_lo, exec_lo, s1
.LBB77_20:
	s_delay_alu instid0(SALU_CYCLE_1) | instskip(SKIP_2) | instid1(VALU_DEP_2)
	s_or_b32 exec_lo, exec_lo, s0
	v_add_nc_u32_e32 v9, v10, v17
	v_add_nc_u32_e32 v8, v14, v16
	v_sub_nc_u32_e32 v9, v9, v14
	s_delay_alu instid0(VALU_DEP_2) | instskip(SKIP_1) | instid1(VALU_DEP_3)
	v_add_nc_u32_e32 v15, v0, v8
	v_cmp_le_i32_e32 vcc_lo, v10, v8
                                        ; implicit-def: $vgpr14
	v_add_nc_u32_e32 v16, v0, v9
	v_cmp_gt_i32_e64 s1, v12, v9
	ds_load_u8 v11, v15
	ds_load_u8 v13, v16
	s_waitcnt lgkmcnt(1)
	v_bfe_i32 v11, v11, 0, 8
	s_waitcnt lgkmcnt(0)
	v_bfe_i32 v13, v13, 0, 8
	s_delay_alu instid0(VALU_DEP_1) | instskip(NEXT) | instid1(VALU_DEP_1)
	v_cmp_lt_i16_e64 s0, v13, v11
	s_or_b32 s0, vcc_lo, s0
	s_delay_alu instid0(SALU_CYCLE_1) | instskip(NEXT) | instid1(SALU_CYCLE_1)
	s_and_b32 vcc_lo, s1, s0
	s_xor_b32 s0, vcc_lo, -1
	s_delay_alu instid0(SALU_CYCLE_1) | instskip(NEXT) | instid1(SALU_CYCLE_1)
	s_and_saveexec_b32 s1, s0
	s_xor_b32 s0, exec_lo, s1
	s_cbranch_execz .LBB77_22
; %bb.21:
	ds_load_u8 v14, v15 offset:1
                                        ; implicit-def: $vgpr16
.LBB77_22:
	s_or_saveexec_b32 s0, s0
	v_mov_b32_e32 v15, v13
	s_xor_b32 exec_lo, exec_lo, s0
	s_cbranch_execz .LBB77_24
; %bb.23:
	ds_load_u8 v15, v16 offset:1
	s_waitcnt lgkmcnt(1)
	v_mov_b32_e32 v14, v11
.LBB77_24:
	s_or_b32 exec_lo, exec_lo, s0
	v_add_nc_u32_e32 v17, 1, v9
	v_add_nc_u32_e32 v16, 1, v8
	s_waitcnt lgkmcnt(0)
	v_bfe_i32 v20, v14, 0, 8
	s_delay_alu instid0(VALU_DEP_2) | instskip(SKIP_1) | instid1(VALU_DEP_2)
	v_dual_cndmask_b32 v19, v9, v17 :: v_dual_cndmask_b32 v18, v16, v8
	v_bfe_i32 v16, v15, 0, 8
	v_cmp_lt_i32_e64 s2, v19, v12
	s_delay_alu instid0(VALU_DEP_3) | instskip(NEXT) | instid1(VALU_DEP_3)
	v_cmp_ge_i32_e64 s0, v18, v10
	v_cmp_lt_i16_e64 s1, v16, v20
                                        ; implicit-def: $vgpr16
	s_delay_alu instid0(VALU_DEP_1)
	s_or_b32 s0, s0, s1
	s_delay_alu instid0(VALU_DEP_3) | instid1(SALU_CYCLE_1)
	s_and_b32 s0, s2, s0
	s_delay_alu instid0(SALU_CYCLE_1) | instskip(NEXT) | instid1(SALU_CYCLE_1)
	s_xor_b32 s1, s0, -1
	s_and_saveexec_b32 s2, s1
	s_delay_alu instid0(SALU_CYCLE_1)
	s_xor_b32 s1, exec_lo, s2
	s_cbranch_execz .LBB77_26
; %bb.25:
	v_add_nc_u32_e32 v16, v0, v18
	ds_load_u8 v16, v16 offset:1
.LBB77_26:
	s_or_saveexec_b32 s1, s1
	v_mov_b32_e32 v17, v15
	s_xor_b32 exec_lo, exec_lo, s1
	s_cbranch_execz .LBB77_28
; %bb.27:
	s_waitcnt lgkmcnt(0)
	v_add_nc_u32_e32 v16, v0, v19
	ds_load_u8 v17, v16 offset:1
	v_mov_b32_e32 v16, v14
.LBB77_28:
	s_or_b32 exec_lo, exec_lo, s1
	v_add_nc_u32_e32 v20, 1, v18
	v_add_nc_u32_e32 v21, 1, v19
	s_waitcnt lgkmcnt(0)
	v_bfe_i32 v24, v16, 0, 8
	s_delay_alu instid0(VALU_DEP_3) | instskip(SKIP_2) | instid1(VALU_DEP_3)
	v_cndmask_b32_e64 v22, v20, v18, s0
	v_bfe_i32 v20, v17, 0, 8
	v_cndmask_b32_e64 v23, v19, v21, s0
	v_cmp_ge_i32_e64 s1, v22, v10
	s_delay_alu instid0(VALU_DEP_3) | instskip(NEXT) | instid1(VALU_DEP_3)
	v_cmp_lt_i16_e64 s2, v20, v24
	v_cmp_lt_i32_e64 s3, v23, v12
                                        ; implicit-def: $vgpr20
	s_delay_alu instid0(VALU_DEP_2)
	s_or_b32 s1, s1, s2
	s_delay_alu instid0(VALU_DEP_1) | instid1(SALU_CYCLE_1)
	s_and_b32 s1, s3, s1
	s_delay_alu instid0(SALU_CYCLE_1) | instskip(NEXT) | instid1(SALU_CYCLE_1)
	s_xor_b32 s2, s1, -1
	s_and_saveexec_b32 s3, s2
	s_delay_alu instid0(SALU_CYCLE_1)
	s_xor_b32 s2, exec_lo, s3
	s_cbranch_execz .LBB77_30
; %bb.29:
	v_add_nc_u32_e32 v20, v0, v22
	ds_load_u8 v20, v20 offset:1
.LBB77_30:
	s_or_saveexec_b32 s2, s2
	v_mov_b32_e32 v21, v17
	s_xor_b32 exec_lo, exec_lo, s2
	s_cbranch_execz .LBB77_32
; %bb.31:
	s_waitcnt lgkmcnt(0)
	v_add_nc_u32_e32 v20, v0, v23
	ds_load_u8 v21, v20 offset:1
	v_mov_b32_e32 v20, v16
.LBB77_32:
	s_or_b32 exec_lo, exec_lo, s2
	v_dual_cndmask_b32 v11, v11, v13 :: v_dual_add_nc_u32 v24, 1, v22
	v_dual_cndmask_b32 v8, v8, v9 :: v_dual_add_nc_u32 v25, 1, v23
	s_waitcnt lgkmcnt(0)
	v_bfe_i32 v26, v20, 0, 8
	v_bfe_i32 v27, v21, 0, 8
	v_cndmask_b32_e64 v24, v24, v22, s1
	v_cndmask_b32_e64 v22, v22, v23, s1
	;; [unrolled: 1-line block ×4, first 2 shown]
	v_cmp_lt_i16_e64 s2, v27, v26
	v_cmp_ge_i32_e64 s3, v24, v10
	s_delay_alu instid0(VALU_DEP_4)
	v_cmp_lt_i32_e64 s4, v23, v12
	; wave barrier
	ds_store_b8 v3, v4
	ds_store_b8 v3, v5 offset:1
	ds_store_b8 v3, v6 offset:2
	ds_store_b8 v3, v7 offset:3
	s_or_b32 s2, s3, s2
	v_add_nc_u32_e32 v4, v0, v8
	s_and_b32 s2, s4, s2
	v_add_nc_u32_e32 v5, v0, v18
	v_cndmask_b32_e64 v12, v24, v23, s2
	v_and_b32_e32 v10, 0x60, v2
	v_add_nc_u32_e32 v6, v0, v22
	; wave barrier
	s_delay_alu instid0(VALU_DEP_3)
	v_add_nc_u32_e32 v7, v0, v12
	ds_load_u8 v4, v4
	ds_load_u8 v5, v5
	;; [unrolled: 1-line block ×4, first 2 shown]
	v_or_b32_e32 v9, 16, v10
	v_add_nc_u32_e32 v8, 32, v10
	v_and_b32_e32 v12, 28, v2
	v_cndmask_b32_e64 v19, v20, v21, s2
	v_cndmask_b32_e64 v22, v16, v17, s1
	v_sub_nc_u32_e32 v21, v9, v10
	v_sub_nc_u32_e32 v18, v8, v9
	v_cndmask_b32_e64 v13, v14, v15, s0
	s_mov_b32 s0, exec_lo
	s_delay_alu instid0(VALU_DEP_3) | instskip(NEXT) | instid1(VALU_DEP_3)
	v_min_i32_e32 v17, v12, v21
	v_sub_nc_u32_e32 v20, v12, v18
	v_cmp_ge_i32_e64 s1, v12, v18
	; wave barrier
	ds_store_b8 v3, v11
	ds_store_b8 v3, v13 offset:1
	ds_store_b8 v3, v22 offset:2
	;; [unrolled: 1-line block ×3, first 2 shown]
	; wave barrier
	v_cndmask_b32_e64 v16, 0, v20, s1
	s_mov_b32 s1, 0
	s_delay_alu instid0(VALU_DEP_1)
	v_cmpx_lt_i32_e64 v16, v17
	s_cbranch_execz .LBB77_36
; %bb.33:
	v_add_nc_u32_e32 v11, v0, v10
	v_add3_u32 v13, v0, v9, v12
	.p2align	6
.LBB77_34:                              ; =>This Inner Loop Header: Depth=1
	v_sub_nc_u32_e32 v14, v17, v16
	s_delay_alu instid0(VALU_DEP_1) | instskip(NEXT) | instid1(VALU_DEP_1)
	v_lshrrev_b32_e32 v15, 31, v14
	v_add_nc_u32_e32 v14, v14, v15
	s_delay_alu instid0(VALU_DEP_1) | instskip(NEXT) | instid1(VALU_DEP_1)
	v_ashrrev_i32_e32 v14, 1, v14
	v_add_nc_u32_e32 v14, v14, v16
	s_delay_alu instid0(VALU_DEP_1)
	v_add_nc_u32_e32 v15, v11, v14
	v_xad_u32 v18, v14, -1, v13
	v_add_nc_u32_e32 v19, 1, v14
	ds_load_i8 v15, v15
	ds_load_i8 v18, v18
	s_waitcnt lgkmcnt(0)
	v_cmp_lt_i16_e32 vcc_lo, v18, v15
	v_dual_cndmask_b32 v17, v17, v14 :: v_dual_cndmask_b32 v16, v19, v16
	s_delay_alu instid0(VALU_DEP_1) | instskip(SKIP_1) | instid1(SALU_CYCLE_1)
	v_cmp_ge_i32_e32 vcc_lo, v16, v17
	s_or_b32 s1, vcc_lo, s1
	s_and_not1_b32 exec_lo, exec_lo, s1
	s_cbranch_execnz .LBB77_34
; %bb.35:
	s_or_b32 exec_lo, exec_lo, s1
.LBB77_36:
	s_delay_alu instid0(SALU_CYCLE_1) | instskip(SKIP_2) | instid1(VALU_DEP_2)
	s_or_b32 exec_lo, exec_lo, s0
	v_add_nc_u32_e32 v11, v9, v12
	v_add_nc_u32_e32 v14, v16, v10
                                        ; implicit-def: $vgpr12
	v_sub_nc_u32_e32 v15, v11, v16
	s_delay_alu instid0(VALU_DEP_2) | instskip(SKIP_1) | instid1(VALU_DEP_3)
	v_add_nc_u32_e32 v13, v0, v14
	v_cmp_le_i32_e32 vcc_lo, v9, v14
	v_add_nc_u32_e32 v16, v0, v15
	v_cmp_gt_i32_e64 s1, v8, v15
	ds_load_u8 v10, v13
	ds_load_u8 v11, v16
	s_waitcnt lgkmcnt(1)
	v_bfe_i32 v10, v10, 0, 8
	s_waitcnt lgkmcnt(0)
	v_bfe_i32 v11, v11, 0, 8
	s_delay_alu instid0(VALU_DEP_1) | instskip(NEXT) | instid1(VALU_DEP_1)
	v_cmp_lt_i16_e64 s0, v11, v10
	s_or_b32 s0, vcc_lo, s0
	s_delay_alu instid0(SALU_CYCLE_1) | instskip(NEXT) | instid1(SALU_CYCLE_1)
	s_and_b32 vcc_lo, s1, s0
	s_xor_b32 s0, vcc_lo, -1
	s_delay_alu instid0(SALU_CYCLE_1) | instskip(NEXT) | instid1(SALU_CYCLE_1)
	s_and_saveexec_b32 s1, s0
	s_xor_b32 s0, exec_lo, s1
	s_cbranch_execz .LBB77_38
; %bb.37:
	ds_load_u8 v12, v13 offset:1
                                        ; implicit-def: $vgpr16
.LBB77_38:
	s_or_saveexec_b32 s0, s0
	v_mov_b32_e32 v13, v11
	s_xor_b32 exec_lo, exec_lo, s0
	s_cbranch_execz .LBB77_40
; %bb.39:
	ds_load_u8 v13, v16 offset:1
	s_waitcnt lgkmcnt(1)
	v_mov_b32_e32 v12, v10
.LBB77_40:
	s_or_b32 exec_lo, exec_lo, s0
	v_add_nc_u32_e32 v17, 1, v15
	v_add_nc_u32_e32 v16, 1, v14
	s_waitcnt lgkmcnt(0)
	v_bfe_i32 v20, v12, 0, 8
	s_delay_alu instid0(VALU_DEP_2) | instskip(SKIP_1) | instid1(VALU_DEP_2)
	v_dual_cndmask_b32 v19, v15, v17 :: v_dual_cndmask_b32 v18, v16, v14
	v_bfe_i32 v16, v13, 0, 8
	v_cmp_lt_i32_e64 s2, v19, v8
	s_delay_alu instid0(VALU_DEP_3) | instskip(NEXT) | instid1(VALU_DEP_3)
	v_cmp_ge_i32_e64 s0, v18, v9
	v_cmp_lt_i16_e64 s1, v16, v20
                                        ; implicit-def: $vgpr16
	s_delay_alu instid0(VALU_DEP_1)
	s_or_b32 s0, s0, s1
	s_delay_alu instid0(VALU_DEP_3) | instid1(SALU_CYCLE_1)
	s_and_b32 s0, s2, s0
	s_delay_alu instid0(SALU_CYCLE_1) | instskip(NEXT) | instid1(SALU_CYCLE_1)
	s_xor_b32 s1, s0, -1
	s_and_saveexec_b32 s2, s1
	s_delay_alu instid0(SALU_CYCLE_1)
	s_xor_b32 s1, exec_lo, s2
	s_cbranch_execz .LBB77_42
; %bb.41:
	v_add_nc_u32_e32 v16, v0, v18
	ds_load_u8 v16, v16 offset:1
.LBB77_42:
	s_or_saveexec_b32 s1, s1
	v_mov_b32_e32 v17, v13
	s_xor_b32 exec_lo, exec_lo, s1
	s_cbranch_execz .LBB77_44
; %bb.43:
	s_waitcnt lgkmcnt(0)
	v_add_nc_u32_e32 v16, v0, v19
	ds_load_u8 v17, v16 offset:1
	v_mov_b32_e32 v16, v12
.LBB77_44:
	s_or_b32 exec_lo, exec_lo, s1
	v_add_nc_u32_e32 v20, 1, v18
	v_add_nc_u32_e32 v21, 1, v19
	s_waitcnt lgkmcnt(0)
	v_bfe_i32 v24, v16, 0, 8
	s_delay_alu instid0(VALU_DEP_3) | instskip(SKIP_2) | instid1(VALU_DEP_3)
	v_cndmask_b32_e64 v22, v20, v18, s0
	v_bfe_i32 v20, v17, 0, 8
	v_cndmask_b32_e64 v23, v19, v21, s0
	v_cmp_ge_i32_e64 s1, v22, v9
	s_delay_alu instid0(VALU_DEP_3) | instskip(NEXT) | instid1(VALU_DEP_3)
	v_cmp_lt_i16_e64 s2, v20, v24
	v_cmp_lt_i32_e64 s3, v23, v8
                                        ; implicit-def: $vgpr20
	s_delay_alu instid0(VALU_DEP_2)
	s_or_b32 s1, s1, s2
	s_delay_alu instid0(VALU_DEP_1) | instid1(SALU_CYCLE_1)
	s_and_b32 s1, s3, s1
	s_delay_alu instid0(SALU_CYCLE_1) | instskip(NEXT) | instid1(SALU_CYCLE_1)
	s_xor_b32 s2, s1, -1
	s_and_saveexec_b32 s3, s2
	s_delay_alu instid0(SALU_CYCLE_1)
	s_xor_b32 s2, exec_lo, s3
	s_cbranch_execz .LBB77_46
; %bb.45:
	v_add_nc_u32_e32 v20, v0, v22
	ds_load_u8 v20, v20 offset:1
.LBB77_46:
	s_or_saveexec_b32 s2, s2
	v_mov_b32_e32 v21, v17
	s_xor_b32 exec_lo, exec_lo, s2
	s_cbranch_execz .LBB77_48
; %bb.47:
	s_waitcnt lgkmcnt(0)
	v_add_nc_u32_e32 v20, v0, v23
	ds_load_u8 v21, v20 offset:1
	v_mov_b32_e32 v20, v16
.LBB77_48:
	s_or_b32 exec_lo, exec_lo, s2
	v_add_nc_u32_e32 v24, 1, v22
	v_add_nc_u32_e32 v25, 1, v23
	s_waitcnt lgkmcnt(0)
	v_bfe_i32 v26, v20, 0, 8
	v_bfe_i32 v27, v21, 0, 8
	v_cndmask_b32_e64 v18, v18, v19, s0
	v_cndmask_b32_e64 v24, v24, v22, s1
	;; [unrolled: 1-line block ×4, first 2 shown]
	v_cmp_lt_i16_e64 s2, v27, v26
	s_delay_alu instid0(VALU_DEP_4) | instskip(SKIP_1) | instid1(VALU_DEP_4)
	v_cmp_ge_i32_e64 s3, v24, v9
	v_cndmask_b32_e32 v9, v14, v15, vcc_lo
	v_cmp_lt_i32_e64 s4, v23, v8
	; wave barrier
	ds_store_b8 v3, v4
	ds_store_b8 v3, v5 offset:1
	ds_store_b8 v3, v6 offset:2
	;; [unrolled: 1-line block ×3, first 2 shown]
	s_or_b32 s2, s3, s2
	v_add_nc_u32_e32 v4, v0, v9
	s_and_b32 s2, s4, s2
	v_dual_cndmask_b32 v10, v10, v11 :: v_dual_add_nc_u32 v5, v0, v18
	v_cndmask_b32_e64 v15, v24, v23, s2
	v_and_b32_e32 v14, 64, v2
	v_add_nc_u32_e32 v6, v0, v22
	; wave barrier
	s_delay_alu instid0(VALU_DEP_3)
	v_add_nc_u32_e32 v7, v0, v15
	ds_load_u8 v4, v4
	ds_load_u8 v5, v5
	ds_load_u8 v6, v6
	ds_load_u8 v7, v7
	v_or_b32_e32 v9, 32, v14
	v_add_nc_u32_e32 v8, 64, v14
	v_and_b32_e32 v15, 60, v2
	v_cndmask_b32_e64 v19, v20, v21, s2
	v_cndmask_b32_e64 v22, v16, v17, s1
	v_sub_nc_u32_e32 v21, v9, v14
	v_sub_nc_u32_e32 v18, v8, v9
	v_cndmask_b32_e64 v11, v12, v13, s0
	s_mov_b32 s0, exec_lo
	s_delay_alu instid0(VALU_DEP_3) | instskip(NEXT) | instid1(VALU_DEP_3)
	v_min_i32_e32 v17, v15, v21
	v_sub_nc_u32_e32 v20, v15, v18
	v_cmp_ge_i32_e64 s1, v15, v18
	; wave barrier
	ds_store_b8 v3, v10
	ds_store_b8 v3, v11 offset:1
	ds_store_b8 v3, v22 offset:2
	;; [unrolled: 1-line block ×3, first 2 shown]
	; wave barrier
	v_cndmask_b32_e64 v16, 0, v20, s1
	s_mov_b32 s1, 0
	s_delay_alu instid0(VALU_DEP_1)
	v_cmpx_lt_i32_e64 v16, v17
	s_cbranch_execz .LBB77_52
; %bb.49:
	v_add_nc_u32_e32 v10, v0, v14
	v_add3_u32 v11, v0, v9, v15
	.p2align	6
.LBB77_50:                              ; =>This Inner Loop Header: Depth=1
	v_sub_nc_u32_e32 v12, v17, v16
	s_delay_alu instid0(VALU_DEP_1) | instskip(NEXT) | instid1(VALU_DEP_1)
	v_lshrrev_b32_e32 v13, 31, v12
	v_add_nc_u32_e32 v12, v12, v13
	s_delay_alu instid0(VALU_DEP_1) | instskip(NEXT) | instid1(VALU_DEP_1)
	v_ashrrev_i32_e32 v12, 1, v12
	v_add_nc_u32_e32 v12, v12, v16
	s_delay_alu instid0(VALU_DEP_1)
	v_add_nc_u32_e32 v13, v10, v12
	v_xad_u32 v18, v12, -1, v11
	v_add_nc_u32_e32 v19, 1, v12
	ds_load_i8 v13, v13
	ds_load_i8 v18, v18
	s_waitcnt lgkmcnt(0)
	v_cmp_lt_i16_e32 vcc_lo, v18, v13
	v_cndmask_b32_e32 v17, v17, v12, vcc_lo
	v_cndmask_b32_e32 v16, v19, v16, vcc_lo
	s_delay_alu instid0(VALU_DEP_1) | instskip(SKIP_1) | instid1(SALU_CYCLE_1)
	v_cmp_ge_i32_e32 vcc_lo, v16, v17
	s_or_b32 s1, vcc_lo, s1
	s_and_not1_b32 exec_lo, exec_lo, s1
	s_cbranch_execnz .LBB77_50
; %bb.51:
	s_or_b32 exec_lo, exec_lo, s1
.LBB77_52:
	s_delay_alu instid0(SALU_CYCLE_1) | instskip(SKIP_2) | instid1(VALU_DEP_2)
	s_or_b32 exec_lo, exec_lo, s0
	v_add_nc_u32_e32 v10, v9, v15
	v_add_nc_u32_e32 v14, v16, v14
                                        ; implicit-def: $vgpr12
	v_sub_nc_u32_e32 v15, v10, v16
	s_delay_alu instid0(VALU_DEP_2) | instskip(SKIP_1) | instid1(VALU_DEP_3)
	v_add_nc_u32_e32 v13, v0, v14
	v_cmp_le_i32_e32 vcc_lo, v9, v14
	v_add_nc_u32_e32 v16, v0, v15
	v_cmp_gt_i32_e64 s1, v8, v15
	ds_load_u8 v10, v13
	ds_load_u8 v11, v16
	s_waitcnt lgkmcnt(1)
	v_bfe_i32 v10, v10, 0, 8
	s_waitcnt lgkmcnt(0)
	v_bfe_i32 v11, v11, 0, 8
	s_delay_alu instid0(VALU_DEP_1) | instskip(NEXT) | instid1(VALU_DEP_1)
	v_cmp_lt_i16_e64 s0, v11, v10
	s_or_b32 s0, vcc_lo, s0
	s_delay_alu instid0(SALU_CYCLE_1) | instskip(NEXT) | instid1(SALU_CYCLE_1)
	s_and_b32 vcc_lo, s1, s0
	s_xor_b32 s0, vcc_lo, -1
	s_delay_alu instid0(SALU_CYCLE_1) | instskip(NEXT) | instid1(SALU_CYCLE_1)
	s_and_saveexec_b32 s1, s0
	s_xor_b32 s0, exec_lo, s1
	s_cbranch_execz .LBB77_54
; %bb.53:
	ds_load_u8 v12, v13 offset:1
                                        ; implicit-def: $vgpr16
.LBB77_54:
	s_or_saveexec_b32 s0, s0
	v_mov_b32_e32 v13, v11
	s_xor_b32 exec_lo, exec_lo, s0
	s_cbranch_execz .LBB77_56
; %bb.55:
	ds_load_u8 v13, v16 offset:1
	s_waitcnt lgkmcnt(1)
	v_mov_b32_e32 v12, v10
.LBB77_56:
	s_or_b32 exec_lo, exec_lo, s0
	v_add_nc_u32_e32 v17, 1, v15
	v_add_nc_u32_e32 v16, 1, v14
	s_waitcnt lgkmcnt(0)
	v_bfe_i32 v20, v12, 0, 8
	s_delay_alu instid0(VALU_DEP_2) | instskip(SKIP_1) | instid1(VALU_DEP_2)
	v_dual_cndmask_b32 v19, v15, v17 :: v_dual_cndmask_b32 v18, v16, v14
	v_bfe_i32 v16, v13, 0, 8
	v_cmp_lt_i32_e64 s2, v19, v8
	s_delay_alu instid0(VALU_DEP_3) | instskip(NEXT) | instid1(VALU_DEP_3)
	v_cmp_ge_i32_e64 s0, v18, v9
	v_cmp_lt_i16_e64 s1, v16, v20
                                        ; implicit-def: $vgpr16
	s_delay_alu instid0(VALU_DEP_1)
	s_or_b32 s0, s0, s1
	s_delay_alu instid0(VALU_DEP_3) | instid1(SALU_CYCLE_1)
	s_and_b32 s0, s2, s0
	s_delay_alu instid0(SALU_CYCLE_1) | instskip(NEXT) | instid1(SALU_CYCLE_1)
	s_xor_b32 s1, s0, -1
	s_and_saveexec_b32 s2, s1
	s_delay_alu instid0(SALU_CYCLE_1)
	s_xor_b32 s1, exec_lo, s2
	s_cbranch_execz .LBB77_58
; %bb.57:
	v_add_nc_u32_e32 v16, v0, v18
	ds_load_u8 v16, v16 offset:1
.LBB77_58:
	s_or_saveexec_b32 s1, s1
	v_mov_b32_e32 v17, v13
	s_xor_b32 exec_lo, exec_lo, s1
	s_cbranch_execz .LBB77_60
; %bb.59:
	s_waitcnt lgkmcnt(0)
	v_add_nc_u32_e32 v16, v0, v19
	ds_load_u8 v17, v16 offset:1
	v_mov_b32_e32 v16, v12
.LBB77_60:
	s_or_b32 exec_lo, exec_lo, s1
	v_add_nc_u32_e32 v20, 1, v18
	v_add_nc_u32_e32 v21, 1, v19
	s_waitcnt lgkmcnt(0)
	v_bfe_i32 v23, v16, 0, 8
	v_bfe_i32 v24, v17, 0, 8
	v_cndmask_b32_e64 v20, v20, v18, s0
	v_cndmask_b32_e64 v22, v19, v21, s0
                                        ; implicit-def: $vgpr21
	s_delay_alu instid0(VALU_DEP_3) | instskip(NEXT) | instid1(VALU_DEP_3)
	v_cmp_lt_i16_e64 s2, v24, v23
	v_cmp_ge_i32_e64 s1, v20, v9
	s_delay_alu instid0(VALU_DEP_3) | instskip(NEXT) | instid1(VALU_DEP_2)
	v_cmp_lt_i32_e64 s3, v22, v8
	s_or_b32 s1, s1, s2
	s_delay_alu instid0(VALU_DEP_1) | instid1(SALU_CYCLE_1)
	s_and_b32 s1, s3, s1
	s_delay_alu instid0(SALU_CYCLE_1) | instskip(NEXT) | instid1(SALU_CYCLE_1)
	s_xor_b32 s2, s1, -1
	s_and_saveexec_b32 s3, s2
	s_delay_alu instid0(SALU_CYCLE_1)
	s_xor_b32 s2, exec_lo, s3
	s_cbranch_execz .LBB77_62
; %bb.61:
	v_add_nc_u32_e32 v21, v0, v20
	ds_load_u8 v21, v21 offset:1
.LBB77_62:
	s_or_saveexec_b32 s2, s2
	v_mov_b32_e32 v23, v17
	s_xor_b32 exec_lo, exec_lo, s2
	s_cbranch_execz .LBB77_64
; %bb.63:
	s_waitcnt lgkmcnt(0)
	v_add_nc_u32_e32 v21, v0, v22
	ds_load_u8 v23, v21 offset:1
	v_mov_b32_e32 v21, v16
.LBB77_64:
	s_or_b32 exec_lo, exec_lo, s2
	v_add_nc_u32_e32 v24, 1, v20
	v_add_nc_u32_e32 v25, 1, v22
	s_waitcnt lgkmcnt(0)
	v_bfe_i32 v26, v21, 0, 8
	v_bfe_i32 v27, v23, 0, 8
	v_cndmask_b32_e64 v24, v24, v20, s1
	v_cndmask_b32_e64 v25, v22, v25, s1
	;; [unrolled: 1-line block ×3, first 2 shown]
	s_delay_alu instid0(VALU_DEP_4) | instskip(NEXT) | instid1(VALU_DEP_4)
	v_cmp_lt_i16_e64 s2, v27, v26
	; wave barrier
	v_cmp_ge_i32_e64 s3, v24, v9
	s_delay_alu instid0(VALU_DEP_4)
	v_cmp_lt_i32_e64 s4, v25, v8
	v_cndmask_b32_e32 v8, v14, v15, vcc_lo
	v_cndmask_b32_e64 v9, v18, v19, s0
	ds_store_b8 v3, v4
	ds_store_b8 v3, v5 offset:1
	ds_store_b8 v3, v6 offset:2
	;; [unrolled: 1-line block ×3, first 2 shown]
	s_or_b32 s2, s3, s2
	v_add_nc_u32_e32 v6, v0, v20
	s_and_b32 s2, s4, s2
	v_add_nc_u32_e32 v4, v0, v8
	v_cndmask_b32_e64 v15, v24, v25, s2
	v_dual_cndmask_b32 v10, v10, v11 :: v_dual_add_nc_u32 v5, v0, v9
	; wave barrier
	s_delay_alu instid0(VALU_DEP_2)
	v_add_nc_u32_e32 v7, v0, v15
	v_and_b32_e32 v8, 0x7c, v2
	ds_load_u8 v2, v4
	ds_load_u8 v4, v5
	;; [unrolled: 1-line block ×4, first 2 shown]
	v_cndmask_b32_e64 v15, v16, v17, s1
	v_cndmask_b32_e64 v11, v12, v13, s0
	v_cndmask_b32_e64 v14, v21, v23, s2
	v_subrev_nc_u32_e32 v7, 64, v8
	v_cmp_lt_i32_e64 s1, 63, v8
	v_min_i32_e32 v9, 64, v8
	s_mov_b32 s0, exec_lo
	; wave barrier
	s_delay_alu instid0(VALU_DEP_2)
	v_cndmask_b32_e64 v7, 0, v7, s1
	ds_store_b8 v3, v10
	ds_store_b8 v3, v11 offset:1
	ds_store_b8 v3, v15 offset:2
	;; [unrolled: 1-line block ×3, first 2 shown]
	; wave barrier
	v_cmpx_lt_i32_e64 v7, v9
	s_cbranch_execz .LBB77_68
; %bb.65:
	v_add3_u32 v10, v0, 64, v8
	s_mov_b32 s1, 0
	.p2align	6
.LBB77_66:                              ; =>This Inner Loop Header: Depth=1
	v_sub_nc_u32_e32 v11, v9, v7
	s_delay_alu instid0(VALU_DEP_1) | instskip(NEXT) | instid1(VALU_DEP_1)
	v_lshrrev_b32_e32 v12, 31, v11
	v_add_nc_u32_e32 v11, v11, v12
	s_delay_alu instid0(VALU_DEP_1) | instskip(NEXT) | instid1(VALU_DEP_1)
	v_ashrrev_i32_e32 v11, 1, v11
	v_add_nc_u32_e32 v11, v11, v7
	s_delay_alu instid0(VALU_DEP_1)
	v_add_nc_u32_e32 v12, v0, v11
	v_xad_u32 v13, v11, -1, v10
	v_add_nc_u32_e32 v14, 1, v11
	ds_load_i8 v12, v12
	ds_load_i8 v13, v13
	s_waitcnt lgkmcnt(0)
	v_cmp_lt_i16_e32 vcc_lo, v13, v12
	v_cndmask_b32_e32 v9, v9, v11, vcc_lo
	v_cndmask_b32_e32 v7, v14, v7, vcc_lo
	s_delay_alu instid0(VALU_DEP_1) | instskip(SKIP_1) | instid1(SALU_CYCLE_1)
	v_cmp_ge_i32_e32 vcc_lo, v7, v9
	s_or_b32 s1, vcc_lo, s1
	s_and_not1_b32 exec_lo, exec_lo, s1
	s_cbranch_execnz .LBB77_66
; %bb.67:
	s_or_b32 exec_lo, exec_lo, s1
.LBB77_68:
	s_delay_alu instid0(SALU_CYCLE_1) | instskip(SKIP_3) | instid1(VALU_DEP_3)
	s_or_b32 exec_lo, exec_lo, s0
	v_add_nc_u32_e32 v8, 64, v8
	v_add_nc_u32_e32 v12, v0, v7
	v_cmp_le_i32_e32 vcc_lo, 64, v7
                                        ; implicit-def: $vgpr10
	v_sub_nc_u32_e32 v11, v8, v7
	s_delay_alu instid0(VALU_DEP_1)
	v_add_nc_u32_e32 v13, v0, v11
	v_cmp_gt_i32_e64 s1, 0x80, v11
	ds_load_u8 v8, v12
	ds_load_u8 v9, v13
	s_waitcnt lgkmcnt(1)
	v_bfe_i32 v8, v8, 0, 8
	s_waitcnt lgkmcnt(0)
	v_bfe_i32 v9, v9, 0, 8
	s_delay_alu instid0(VALU_DEP_1) | instskip(NEXT) | instid1(VALU_DEP_1)
	v_cmp_lt_i16_e64 s0, v9, v8
	s_or_b32 s0, vcc_lo, s0
	s_delay_alu instid0(SALU_CYCLE_1) | instskip(NEXT) | instid1(SALU_CYCLE_1)
	s_and_b32 vcc_lo, s1, s0
	s_xor_b32 s0, vcc_lo, -1
	s_delay_alu instid0(SALU_CYCLE_1) | instskip(NEXT) | instid1(SALU_CYCLE_1)
	s_and_saveexec_b32 s1, s0
	s_xor_b32 s0, exec_lo, s1
	s_cbranch_execz .LBB77_70
; %bb.69:
	ds_load_u8 v10, v12 offset:1
                                        ; implicit-def: $vgpr13
.LBB77_70:
	s_or_saveexec_b32 s0, s0
	v_mov_b32_e32 v12, v9
	s_xor_b32 exec_lo, exec_lo, s0
	s_cbranch_execz .LBB77_72
; %bb.71:
	ds_load_u8 v12, v13 offset:1
	s_waitcnt lgkmcnt(1)
	v_mov_b32_e32 v10, v8
.LBB77_72:
	s_or_b32 exec_lo, exec_lo, s0
	v_add_nc_u32_e32 v14, 1, v11
	v_add_nc_u32_e32 v13, 1, v7
	s_waitcnt lgkmcnt(0)
	v_bfe_i32 v15, v10, 0, 8
	v_bfe_i32 v16, v12, 0, 8
	s_delay_alu instid0(VALU_DEP_3) | instskip(NEXT) | instid1(VALU_DEP_2)
	v_dual_cndmask_b32 v14, v11, v14 :: v_dual_cndmask_b32 v13, v13, v7
	v_cmp_lt_i16_e64 s1, v16, v15
                                        ; implicit-def: $vgpr16
	s_delay_alu instid0(VALU_DEP_2) | instskip(NEXT) | instid1(VALU_DEP_3)
	v_cmp_gt_i32_e64 s2, 0x80, v14
	v_cmp_le_i32_e64 s0, 64, v13
	s_delay_alu instid0(VALU_DEP_1)
	s_or_b32 s0, s0, s1
	s_delay_alu instid0(VALU_DEP_2) | instid1(SALU_CYCLE_1)
	s_and_b32 s0, s2, s0
	s_delay_alu instid0(SALU_CYCLE_1) | instskip(NEXT) | instid1(SALU_CYCLE_1)
	s_xor_b32 s1, s0, -1
	s_and_saveexec_b32 s2, s1
	s_delay_alu instid0(SALU_CYCLE_1)
	s_xor_b32 s1, exec_lo, s2
	s_cbranch_execz .LBB77_74
; %bb.73:
	v_add_nc_u32_e32 v15, v0, v13
	ds_load_u8 v16, v15 offset:1
.LBB77_74:
	s_or_saveexec_b32 s1, s1
	v_mov_b32_e32 v15, v12
	s_xor_b32 exec_lo, exec_lo, s1
	s_cbranch_execz .LBB77_76
; %bb.75:
	s_waitcnt lgkmcnt(0)
	v_dual_mov_b32 v16, v10 :: v_dual_add_nc_u32 v15, v0, v14
	ds_load_u8 v15, v15 offset:1
.LBB77_76:
	s_or_b32 exec_lo, exec_lo, s1
	v_add_nc_u32_e32 v17, 1, v13
	v_add_nc_u32_e32 v18, 1, v14
	s_waitcnt lgkmcnt(0)
	v_bfe_i32 v19, v16, 0, 8
	v_bfe_i32 v20, v15, 0, 8
	v_cndmask_b32_e64 v22, v17, v13, s0
	v_cndmask_b32_e64 v17, v14, v18, s0
	s_delay_alu instid0(VALU_DEP_3) | instskip(NEXT) | instid1(VALU_DEP_3)
	v_cmp_ge_i16_e64 s2, v20, v19
                                        ; implicit-def: $vgpr20
                                        ; implicit-def: $vgpr19
	v_cmp_gt_i32_e64 s1, 64, v22
	s_delay_alu instid0(VALU_DEP_3) | instskip(NEXT) | instid1(VALU_DEP_2)
	v_cmp_le_i32_e64 s3, 0x80, v17
	s_and_b32 s1, s1, s2
	s_delay_alu instid0(VALU_DEP_1) | instid1(SALU_CYCLE_1)
	s_or_b32 s1, s3, s1
	s_delay_alu instid0(SALU_CYCLE_1) | instskip(NEXT) | instid1(SALU_CYCLE_1)
	s_and_saveexec_b32 s2, s1
	s_xor_b32 s1, exec_lo, s2
	s_cbranch_execz .LBB77_78
; %bb.77:
	v_add_nc_u32_e32 v18, v0, v22
	v_add_nc_u32_e32 v19, 1, v22
	ds_load_u8 v20, v18 offset:1
.LBB77_78:
	s_or_saveexec_b32 s1, s1
	v_dual_mov_b32 v18, v16 :: v_dual_mov_b32 v21, v22
	s_xor_b32 exec_lo, exec_lo, s1
	s_cbranch_execz .LBB77_80
; %bb.79:
	v_dual_mov_b32 v21, v17 :: v_dual_add_nc_u32 v18, v0, v17
	s_waitcnt lgkmcnt(0)
	v_dual_mov_b32 v19, v22 :: v_dual_add_nc_u32 v20, 1, v17
	ds_load_u8 v23, v18 offset:1
	v_dual_mov_b32 v18, v15 :: v_dual_mov_b32 v17, v20
	s_waitcnt lgkmcnt(0)
	v_dual_mov_b32 v20, v16 :: v_dual_mov_b32 v15, v23
.LBB77_80:
	s_or_b32 exec_lo, exec_lo, s1
	s_waitcnt lgkmcnt(0)
	s_delay_alu instid0(VALU_DEP_1) | instskip(NEXT) | instid1(VALU_DEP_2)
	v_bfe_i32 v16, v20, 0, 8
	v_bfe_i32 v22, v15, 0, 8
	v_cmp_le_i32_e64 s1, 64, v19
	v_cmp_gt_i32_e64 s3, 0x80, v17
	v_cndmask_b32_e64 v13, v13, v14, s0
	v_cndmask_b32_e32 v7, v7, v11, vcc_lo
	v_cmp_lt_i16_e64 s2, v22, v16
	; wave barrier
	ds_store_b8 v3, v2
	ds_store_b8 v3, v4 offset:1
	ds_store_b8 v3, v5 offset:2
	;; [unrolled: 1-line block ×3, first 2 shown]
	v_add_nc_u32_e32 v2, v0, v13
	s_or_b32 s1, s1, s2
	v_add_nc_u32_e32 v3, v0, v7
	s_and_b32 s1, s3, s1
	s_delay_alu instid0(SALU_CYCLE_1) | instskip(SKIP_3) | instid1(VALU_DEP_4)
	v_cndmask_b32_e64 v14, v19, v17, s1
	; wave barrier
	v_cndmask_b32_e64 v11, v20, v15, s1
	v_cndmask_b32_e64 v5, v10, v12, s0
	v_cndmask_b32_e32 v6, v8, v9, vcc_lo
	v_add_nc_u32_e32 v4, v0, v14
	v_add_nc_u32_e32 v0, v0, v21
	ds_load_u8 v2, v2
	ds_load_u8 v3, v3
	;; [unrolled: 1-line block ×4, first 2 shown]
	s_add_u32 s0, s10, s12
	s_addc_u32 s1, s11, 0
	s_waitcnt lgkmcnt(3)
	v_add_nc_u16 v2, v2, v5
	s_waitcnt lgkmcnt(2)
	v_add_nc_u16 v3, v3, v6
	;; [unrolled: 2-line block ×4, first 2 shown]
	v_lshlrev_b16 v2, 8, v2
	v_and_b32_e32 v3, 0xff, v3
	v_lshlrev_b16 v4, 8, v4
	s_delay_alu instid0(VALU_DEP_4) | instskip(NEXT) | instid1(VALU_DEP_3)
	v_and_b32_e32 v0, 0xff, v0
	v_or_b32_e32 v2, v3, v2
	s_delay_alu instid0(VALU_DEP_2) | instskip(NEXT) | instid1(VALU_DEP_2)
	v_or_b32_e32 v0, v0, v4
	v_and_b32_e32 v2, 0xffff, v2
	s_delay_alu instid0(VALU_DEP_2) | instskip(SKIP_1) | instid1(VALU_DEP_1)
	v_lshlrev_b32_e32 v3, 16, v0
	v_add_co_u32 v0, s0, s0, v1
	v_add_co_ci_u32_e64 v1, null, s1, 0, s0
	s_delay_alu instid0(VALU_DEP_3)
	v_or_b32_e32 v2, v2, v3
	global_store_b32 v[0:1], v2, off
	s_nop 0
	s_sendmsg sendmsg(MSG_DEALLOC_VGPRS)
	s_endpgm
	.section	.rodata,"a",@progbits
	.p2align	6, 0x0
	.amdhsa_kernel _Z10sort_pairsILj256ELj32ELj4EaN10test_utils4lessEEvPKT2_PS2_T3_
		.amdhsa_group_segment_fixed_size 1032
		.amdhsa_private_segment_fixed_size 0
		.amdhsa_kernarg_size 20
		.amdhsa_user_sgpr_count 15
		.amdhsa_user_sgpr_dispatch_ptr 0
		.amdhsa_user_sgpr_queue_ptr 0
		.amdhsa_user_sgpr_kernarg_segment_ptr 1
		.amdhsa_user_sgpr_dispatch_id 0
		.amdhsa_user_sgpr_private_segment_size 0
		.amdhsa_wavefront_size32 1
		.amdhsa_uses_dynamic_stack 0
		.amdhsa_enable_private_segment 0
		.amdhsa_system_sgpr_workgroup_id_x 1
		.amdhsa_system_sgpr_workgroup_id_y 0
		.amdhsa_system_sgpr_workgroup_id_z 0
		.amdhsa_system_sgpr_workgroup_info 0
		.amdhsa_system_vgpr_workitem_id 0
		.amdhsa_next_free_vgpr 28
		.amdhsa_next_free_sgpr 16
		.amdhsa_reserve_vcc 1
		.amdhsa_float_round_mode_32 0
		.amdhsa_float_round_mode_16_64 0
		.amdhsa_float_denorm_mode_32 3
		.amdhsa_float_denorm_mode_16_64 3
		.amdhsa_dx10_clamp 1
		.amdhsa_ieee_mode 1
		.amdhsa_fp16_overflow 0
		.amdhsa_workgroup_processor_mode 1
		.amdhsa_memory_ordered 1
		.amdhsa_forward_progress 0
		.amdhsa_shared_vgpr_count 0
		.amdhsa_exception_fp_ieee_invalid_op 0
		.amdhsa_exception_fp_denorm_src 0
		.amdhsa_exception_fp_ieee_div_zero 0
		.amdhsa_exception_fp_ieee_overflow 0
		.amdhsa_exception_fp_ieee_underflow 0
		.amdhsa_exception_fp_ieee_inexact 0
		.amdhsa_exception_int_div_zero 0
	.end_amdhsa_kernel
	.section	.text._Z10sort_pairsILj256ELj32ELj4EaN10test_utils4lessEEvPKT2_PS2_T3_,"axG",@progbits,_Z10sort_pairsILj256ELj32ELj4EaN10test_utils4lessEEvPKT2_PS2_T3_,comdat
.Lfunc_end77:
	.size	_Z10sort_pairsILj256ELj32ELj4EaN10test_utils4lessEEvPKT2_PS2_T3_, .Lfunc_end77-_Z10sort_pairsILj256ELj32ELj4EaN10test_utils4lessEEvPKT2_PS2_T3_
                                        ; -- End function
	.section	.AMDGPU.csdata,"",@progbits
; Kernel info:
; codeLenInByte = 5744
; NumSgprs: 18
; NumVgprs: 28
; ScratchSize: 0
; MemoryBound: 0
; FloatMode: 240
; IeeeMode: 1
; LDSByteSize: 1032 bytes/workgroup (compile time only)
; SGPRBlocks: 2
; VGPRBlocks: 3
; NumSGPRsForWavesPerEU: 18
; NumVGPRsForWavesPerEU: 28
; Occupancy: 16
; WaveLimiterHint : 0
; COMPUTE_PGM_RSRC2:SCRATCH_EN: 0
; COMPUTE_PGM_RSRC2:USER_SGPR: 15
; COMPUTE_PGM_RSRC2:TRAP_HANDLER: 0
; COMPUTE_PGM_RSRC2:TGID_X_EN: 1
; COMPUTE_PGM_RSRC2:TGID_Y_EN: 0
; COMPUTE_PGM_RSRC2:TGID_Z_EN: 0
; COMPUTE_PGM_RSRC2:TIDIG_COMP_CNT: 0
	.section	.text._Z19sort_keys_segmentedILj256ELj32ELj4EaN10test_utils4lessEEvPKT2_PS2_PKjT3_,"axG",@progbits,_Z19sort_keys_segmentedILj256ELj32ELj4EaN10test_utils4lessEEvPKT2_PS2_PKjT3_,comdat
	.protected	_Z19sort_keys_segmentedILj256ELj32ELj4EaN10test_utils4lessEEvPKT2_PS2_PKjT3_ ; -- Begin function _Z19sort_keys_segmentedILj256ELj32ELj4EaN10test_utils4lessEEvPKT2_PS2_PKjT3_
	.globl	_Z19sort_keys_segmentedILj256ELj32ELj4EaN10test_utils4lessEEvPKT2_PS2_PKjT3_
	.p2align	8
	.type	_Z19sort_keys_segmentedILj256ELj32ELj4EaN10test_utils4lessEEvPKT2_PS2_PKjT3_,@function
_Z19sort_keys_segmentedILj256ELj32ELj4EaN10test_utils4lessEEvPKT2_PS2_PKjT3_: ; @_Z19sort_keys_segmentedILj256ELj32ELj4EaN10test_utils4lessEEvPKT2_PS2_PKjT3_
; %bb.0:
	s_clause 0x1
	s_load_b64 s[2:3], s[0:1], 0x10
	s_load_b128 s[8:11], s[0:1], 0x0
	v_lshrrev_b32_e32 v5, 5, v0
                                        ; implicit-def: $vgpr7
	s_delay_alu instid0(VALU_DEP_1) | instskip(SKIP_1) | instid1(VALU_DEP_1)
	v_lshl_or_b32 v0, s15, 3, v5
	v_mov_b32_e32 v1, 0
	v_lshlrev_b64 v[1:2], 2, v[0:1]
	s_waitcnt lgkmcnt(0)
	s_delay_alu instid0(VALU_DEP_1) | instskip(NEXT) | instid1(VALU_DEP_2)
	v_add_co_u32 v1, vcc_lo, s2, v1
	v_add_co_ci_u32_e32 v2, vcc_lo, s3, v2, vcc_lo
	global_load_b32 v4, v[1:2], off
	v_lshlrev_b32_e32 v2, 7, v0
	v_mbcnt_lo_u32_b32 v1, -1, 0
	s_delay_alu instid0(VALU_DEP_2) | instskip(NEXT) | instid1(VALU_DEP_2)
	v_add_co_u32 v0, s0, s8, v2
	v_lshlrev_b32_e32 v3, 2, v1
	v_add_co_ci_u32_e64 v1, null, s9, 0, s0
	s_delay_alu instid0(VALU_DEP_2) | instskip(NEXT) | instid1(VALU_DEP_2)
	v_add_co_u32 v0, vcc_lo, v0, v3
	v_add_co_ci_u32_e32 v1, vcc_lo, 0, v1, vcc_lo
	s_waitcnt vmcnt(0)
	v_cmp_lt_u32_e32 vcc_lo, v3, v4
	s_and_saveexec_b32 s0, vcc_lo
	s_cbranch_execz .LBB78_2
; %bb.1:
	global_load_u8 v7, v[0:1], off
.LBB78_2:
	s_or_b32 exec_lo, exec_lo, s0
	v_or_b32_e32 v6, 1, v3
                                        ; implicit-def: $vgpr9
	s_delay_alu instid0(VALU_DEP_1) | instskip(NEXT) | instid1(VALU_DEP_1)
	v_cmp_lt_u32_e64 s0, v6, v4
	s_and_saveexec_b32 s1, s0
	s_cbranch_execz .LBB78_4
; %bb.3:
	global_load_u8 v9, v[0:1], off offset:1
.LBB78_4:
	s_or_b32 exec_lo, exec_lo, s1
	v_or_b32_e32 v8, 2, v3
                                        ; implicit-def: $vgpr11
	s_delay_alu instid0(VALU_DEP_1) | instskip(NEXT) | instid1(VALU_DEP_1)
	v_cmp_lt_u32_e64 s1, v8, v4
	s_and_saveexec_b32 s2, s1
	s_cbranch_execz .LBB78_6
; %bb.5:
	global_load_u8 v11, v[0:1], off offset:2
.LBB78_6:
	s_or_b32 exec_lo, exec_lo, s2
	v_or_b32_e32 v10, 3, v3
                                        ; implicit-def: $vgpr12
	s_delay_alu instid0(VALU_DEP_1) | instskip(NEXT) | instid1(VALU_DEP_1)
	v_cmp_lt_u32_e64 s2, v10, v4
	s_and_saveexec_b32 s3, s2
	s_cbranch_execz .LBB78_8
; %bb.7:
	global_load_u8 v12, v[0:1], off offset:3
.LBB78_8:
	s_or_b32 exec_lo, exec_lo, s3
	s_waitcnt vmcnt(0)
	v_and_b32_e32 v0, 0xff, v7
	v_lshlrev_b16 v1, 8, v9
	v_and_b32_e32 v7, 0xff, v11
	v_lshlrev_b16 v9, 8, v12
	v_cmp_lt_i32_e64 s3, v6, v4
	s_mov_b32 s5, exec_lo
	v_or_b32_e32 v1, v0, v1
	v_or_b32_e32 v0, 0x7f00, v0
	v_or_b32_e32 v7, v7, v9
	s_delay_alu instid0(VALU_DEP_3) | instskip(NEXT) | instid1(VALU_DEP_3)
	v_and_b32_e32 v1, 0xffff, v1
	v_and_b32_e32 v0, 0xffff, v0
	s_delay_alu instid0(VALU_DEP_3) | instskip(NEXT) | instid1(VALU_DEP_1)
	v_lshlrev_b32_e32 v7, 16, v7
	v_or_b32_e32 v1, v1, v7
	s_delay_alu instid0(VALU_DEP_3) | instskip(NEXT) | instid1(VALU_DEP_1)
	v_or_b32_e32 v0, v0, v7
	v_cndmask_b32_e64 v0, v0, v1, s3
	v_cmp_lt_i32_e64 s3, v8, v4
	s_delay_alu instid0(VALU_DEP_2) | instskip(NEXT) | instid1(VALU_DEP_1)
	v_lshrrev_b32_e32 v6, 16, v0
	v_and_b32_e32 v6, 0xffffff00, v6
	s_delay_alu instid0(VALU_DEP_1) | instskip(NEXT) | instid1(VALU_DEP_1)
	v_or_b32_e32 v6, 0x7f, v6
	v_lshlrev_b32_e32 v6, 16, v6
	s_delay_alu instid0(VALU_DEP_1) | instskip(NEXT) | instid1(VALU_DEP_1)
	v_and_or_b32 v0, 0xffff, v0, v6
	v_cndmask_b32_e64 v0, v0, v1, s3
	v_cmp_lt_i32_e64 s3, v10, v4
	s_delay_alu instid0(VALU_DEP_2) | instskip(NEXT) | instid1(VALU_DEP_1)
	v_lshrrev_b32_e32 v6, 16, v0
	v_and_b32_e32 v6, 0xff, v6
	s_delay_alu instid0(VALU_DEP_1) | instskip(NEXT) | instid1(VALU_DEP_1)
	v_or_b32_e32 v6, 0x7f00, v6
	v_lshlrev_b32_e32 v6, 16, v6
	s_delay_alu instid0(VALU_DEP_1) | instskip(NEXT) | instid1(VALU_DEP_1)
	v_and_or_b32 v0, 0xffff, v0, v6
	v_cndmask_b32_e64 v10, v0, v1, s3
	v_cmpx_lt_i32_e64 v3, v4
	s_cbranch_execz .LBB78_10
; %bb.9:
	s_delay_alu instid0(VALU_DEP_2) | instskip(SKIP_2) | instid1(VALU_DEP_3)
	v_lshrrev_b32_e32 v0, 8, v10
	v_bfe_i32 v1, v10, 0, 8
	v_perm_b32 v6, v10, v10, 0x7060405
	v_bfe_i32 v0, v0, 0, 8
	s_delay_alu instid0(VALU_DEP_1) | instskip(NEXT) | instid1(VALU_DEP_1)
	v_cmp_lt_i16_e64 s3, v0, v1
	v_cndmask_b32_e64 v6, v10, v6, s3
	s_delay_alu instid0(VALU_DEP_1) | instskip(SKIP_1) | instid1(VALU_DEP_2)
	v_lshrrev_b32_e32 v7, 16, v6
	v_lshrrev_b32_e32 v9, 24, v6
	v_perm_b32 v8, 0, v7, 0xc0c0001
	s_delay_alu instid0(VALU_DEP_2) | instskip(SKIP_1) | instid1(VALU_DEP_3)
	v_bfe_i32 v9, v9, 0, 8
	v_bfe_i32 v7, v7, 0, 8
	v_lshlrev_b32_e32 v8, 16, v8
	s_delay_alu instid0(VALU_DEP_2) | instskip(SKIP_2) | instid1(VALU_DEP_4)
	v_cmp_lt_i16_e64 s3, v9, v7
	v_min_i16 v10, v9, v7
	v_max_i16 v7, v9, v7
	v_and_or_b32 v8, 0xffff, v6, v8
	s_delay_alu instid0(VALU_DEP_3) | instskip(NEXT) | instid1(VALU_DEP_2)
	v_lshlrev_b16 v13, 8, v10
	v_cndmask_b32_e64 v6, v6, v8, s3
	v_max_i16 v8, v0, v1
	v_min_i16 v0, v0, v1
	s_delay_alu instid0(VALU_DEP_3) | instskip(NEXT) | instid1(VALU_DEP_3)
	v_lshrrev_b32_e32 v11, 16, v6
	v_and_b32_e32 v12, 0xff, v8
	v_and_b32_e32 v14, 0xff, v6
	v_min_i16 v1, v10, v8
	v_max_i16 v9, v10, v8
	v_and_b32_e32 v11, 0xffffff00, v11
	v_cmp_lt_i16_e64 s3, v10, v8
	v_or_b32_e32 v13, v14, v13
	v_and_b32_e32 v14, 0xff, v1
	v_cmp_gt_i16_e64 s4, v8, v7
	v_or_b32_e32 v11, v12, v11
	v_lshlrev_b16 v12, 8, v0
	v_and_b32_e32 v13, 0xffff, v13
	s_delay_alu instid0(VALU_DEP_3) | instskip(NEXT) | instid1(VALU_DEP_3)
	v_lshlrev_b32_e32 v11, 16, v11
	v_or_b32_e32 v12, v14, v12
	v_lshlrev_b16 v14, 8, v9
	s_delay_alu instid0(VALU_DEP_3) | instskip(SKIP_1) | instid1(VALU_DEP_4)
	v_or_b32_e32 v11, v13, v11
	v_and_b32_e32 v13, 0xff, v7
	v_and_b32_e32 v12, 0xffff, v12
	v_cndmask_b32_e64 v7, v9, v7, s4
	s_delay_alu instid0(VALU_DEP_4) | instskip(NEXT) | instid1(VALU_DEP_4)
	v_cndmask_b32_e64 v6, v6, v11, s3
	v_or_b32_e32 v11, v13, v14
	v_cmp_lt_i16_e64 s3, v10, v0
	s_delay_alu instid0(VALU_DEP_4) | instskip(NEXT) | instid1(VALU_DEP_4)
	v_lshlrev_b16 v9, 8, v7
	v_and_or_b32 v12, 0xffff0000, v6, v12
	s_delay_alu instid0(VALU_DEP_4) | instskip(NEXT) | instid1(VALU_DEP_4)
	v_lshlrev_b32_e32 v11, 16, v11
	v_cndmask_b32_e64 v0, v1, v0, s3
	s_delay_alu instid0(VALU_DEP_3) | instskip(NEXT) | instid1(VALU_DEP_2)
	v_cndmask_b32_e64 v6, v6, v12, s3
	v_cmp_lt_i16_e64 s3, v7, v0
	s_delay_alu instid0(VALU_DEP_2) | instskip(NEXT) | instid1(VALU_DEP_1)
	v_and_or_b32 v10, 0xffff, v6, v11
	v_cndmask_b32_e64 v6, v6, v10, s4
	v_and_b32_e32 v10, 0xff, v0
	s_delay_alu instid0(VALU_DEP_2) | instskip(SKIP_1) | instid1(VALU_DEP_2)
	v_lshrrev_b32_e32 v8, 16, v6
	v_and_b32_e32 v1, 0xff, v6
	v_and_b32_e32 v8, 0xffffff00, v8
	s_delay_alu instid0(VALU_DEP_2) | instskip(NEXT) | instid1(VALU_DEP_2)
	v_or_b32_e32 v1, v1, v9
	v_or_b32_e32 v8, v10, v8
	s_delay_alu instid0(VALU_DEP_2) | instskip(NEXT) | instid1(VALU_DEP_2)
	v_and_b32_e32 v1, 0xffff, v1
	v_lshlrev_b32_e32 v8, 16, v8
	s_delay_alu instid0(VALU_DEP_1) | instskip(NEXT) | instid1(VALU_DEP_1)
	v_or_b32_e32 v1, v1, v8
	v_cndmask_b32_e64 v10, v6, v1, s3
.LBB78_10:
	s_or_b32 exec_lo, exec_lo, s5
	v_and_b32_e32 v0, 0x78, v3
	v_and_b32_e32 v7, 4, v3
	v_mad_u32_u24 v12, 0x81, v5, v3
	s_mov_b32 s5, 0
	s_mov_b32 s4, exec_lo
	v_min_i32_e32 v1, v4, v0
	v_min_i32_e32 v7, v4, v7
	; wave barrier
	ds_store_b32 v12, v10
	v_add_nc_u32_e32 v0, 4, v1
	; wave barrier
	s_delay_alu instid0(VALU_DEP_1) | instskip(NEXT) | instid1(VALU_DEP_1)
	v_min_i32_e32 v6, v4, v0
	v_add_nc_u32_e32 v0, 4, v6
	v_sub_nc_u32_e32 v11, v6, v1
	s_delay_alu instid0(VALU_DEP_2) | instskip(NEXT) | instid1(VALU_DEP_2)
	v_min_i32_e32 v8, v4, v0
	v_min_i32_e32 v11, v7, v11
	s_delay_alu instid0(VALU_DEP_2) | instskip(NEXT) | instid1(VALU_DEP_1)
	v_sub_nc_u32_e32 v0, v8, v6
	v_sub_nc_u32_e32 v9, v7, v0
	v_cmp_ge_i32_e64 s3, v7, v0
	v_mul_u32_u24_e32 v0, 0x81, v5
	s_delay_alu instid0(VALU_DEP_2) | instskip(NEXT) | instid1(VALU_DEP_1)
	v_cndmask_b32_e64 v9, 0, v9, s3
	v_cmpx_lt_i32_e64 v9, v11
	s_cbranch_execz .LBB78_14
; %bb.11:
	s_delay_alu instid0(VALU_DEP_3)
	v_add_nc_u32_e32 v5, v0, v1
	v_add3_u32 v10, v0, v6, v7
	.p2align	6
.LBB78_12:                              ; =>This Inner Loop Header: Depth=1
	v_sub_nc_u32_e32 v12, v11, v9
	s_delay_alu instid0(VALU_DEP_1) | instskip(NEXT) | instid1(VALU_DEP_1)
	v_lshrrev_b32_e32 v13, 31, v12
	v_add_nc_u32_e32 v12, v12, v13
	s_delay_alu instid0(VALU_DEP_1) | instskip(NEXT) | instid1(VALU_DEP_1)
	v_ashrrev_i32_e32 v12, 1, v12
	v_add_nc_u32_e32 v12, v12, v9
	s_delay_alu instid0(VALU_DEP_1)
	v_add_nc_u32_e32 v13, v5, v12
	v_xad_u32 v14, v12, -1, v10
	v_add_nc_u32_e32 v15, 1, v12
	ds_load_i8 v13, v13
	ds_load_i8 v14, v14
	s_waitcnt lgkmcnt(0)
	v_cmp_lt_i16_e64 s3, v14, v13
	s_delay_alu instid0(VALU_DEP_1) | instskip(SKIP_1) | instid1(VALU_DEP_1)
	v_cndmask_b32_e64 v11, v11, v12, s3
	v_cndmask_b32_e64 v9, v15, v9, s3
	v_cmp_ge_i32_e64 s3, v9, v11
	s_delay_alu instid0(VALU_DEP_1) | instskip(NEXT) | instid1(SALU_CYCLE_1)
	s_or_b32 s5, s3, s5
	s_and_not1_b32 exec_lo, exec_lo, s5
	s_cbranch_execnz .LBB78_12
; %bb.13:
	s_or_b32 exec_lo, exec_lo, s5
.LBB78_14:
	s_delay_alu instid0(SALU_CYCLE_1) | instskip(SKIP_2) | instid1(VALU_DEP_2)
	s_or_b32 exec_lo, exec_lo, s4
	v_add_nc_u32_e32 v5, v6, v7
	v_add_nc_u32_e32 v11, v9, v1
	v_sub_nc_u32_e32 v5, v5, v9
	s_delay_alu instid0(VALU_DEP_2) | instskip(SKIP_1) | instid1(VALU_DEP_3)
	v_add_nc_u32_e32 v10, v0, v11
	v_cmp_le_i32_e64 s3, v6, v11
                                        ; implicit-def: $vgpr9
	v_add_nc_u32_e32 v12, v0, v5
	v_cmp_gt_i32_e64 s5, v8, v5
	ds_load_u8 v1, v10
	ds_load_u8 v7, v12
	s_waitcnt lgkmcnt(1)
	v_bfe_i32 v1, v1, 0, 8
	s_waitcnt lgkmcnt(0)
	v_bfe_i32 v7, v7, 0, 8
	s_delay_alu instid0(VALU_DEP_1) | instskip(NEXT) | instid1(VALU_DEP_1)
	v_cmp_lt_i16_e64 s4, v7, v1
	s_or_b32 s3, s3, s4
	s_delay_alu instid0(SALU_CYCLE_1) | instskip(NEXT) | instid1(SALU_CYCLE_1)
	s_and_b32 s3, s5, s3
	s_xor_b32 s4, s3, -1
	s_delay_alu instid0(SALU_CYCLE_1) | instskip(NEXT) | instid1(SALU_CYCLE_1)
	s_and_saveexec_b32 s5, s4
	s_xor_b32 s4, exec_lo, s5
	s_cbranch_execz .LBB78_16
; %bb.15:
	ds_load_u8 v9, v10 offset:1
                                        ; implicit-def: $vgpr12
.LBB78_16:
	s_or_saveexec_b32 s4, s4
	v_mov_b32_e32 v10, v7
	s_xor_b32 exec_lo, exec_lo, s4
	s_cbranch_execz .LBB78_18
; %bb.17:
	ds_load_u8 v10, v12 offset:1
	s_waitcnt lgkmcnt(1)
	v_mov_b32_e32 v9, v1
.LBB78_18:
	s_or_b32 exec_lo, exec_lo, s4
	v_add_nc_u32_e32 v12, 1, v11
	v_add_nc_u32_e32 v13, 1, v5
	s_waitcnt lgkmcnt(0)
	v_bfe_i32 v14, v9, 0, 8
	s_delay_alu instid0(VALU_DEP_3) | instskip(SKIP_2) | instid1(VALU_DEP_3)
	v_cndmask_b32_e64 v12, v12, v11, s3
	v_bfe_i32 v11, v10, 0, 8
	v_cndmask_b32_e64 v5, v5, v13, s3
	v_cmp_ge_i32_e64 s4, v12, v6
	s_delay_alu instid0(VALU_DEP_3) | instskip(NEXT) | instid1(VALU_DEP_3)
	v_cmp_lt_i16_e64 s5, v11, v14
	v_cmp_lt_i32_e64 s6, v5, v8
                                        ; implicit-def: $vgpr11
	s_delay_alu instid0(VALU_DEP_2)
	s_or_b32 s4, s4, s5
	s_delay_alu instid0(VALU_DEP_1) | instid1(SALU_CYCLE_1)
	s_and_b32 s4, s6, s4
	s_delay_alu instid0(SALU_CYCLE_1) | instskip(NEXT) | instid1(SALU_CYCLE_1)
	s_xor_b32 s5, s4, -1
	s_and_saveexec_b32 s6, s5
	s_delay_alu instid0(SALU_CYCLE_1)
	s_xor_b32 s5, exec_lo, s6
	s_cbranch_execz .LBB78_20
; %bb.19:
	v_add_nc_u32_e32 v11, v0, v12
	ds_load_u8 v11, v11 offset:1
.LBB78_20:
	s_or_saveexec_b32 s5, s5
	v_mov_b32_e32 v13, v10
	s_xor_b32 exec_lo, exec_lo, s5
	s_cbranch_execz .LBB78_22
; %bb.21:
	s_waitcnt lgkmcnt(0)
	v_add_nc_u32_e32 v11, v0, v5
	ds_load_u8 v13, v11 offset:1
	v_mov_b32_e32 v11, v9
.LBB78_22:
	s_or_b32 exec_lo, exec_lo, s5
	v_add_nc_u32_e32 v14, 1, v12
	v_add_nc_u32_e32 v16, 1, v5
	s_waitcnt lgkmcnt(0)
	v_bfe_i32 v17, v11, 0, 8
	s_delay_alu instid0(VALU_DEP_3) | instskip(SKIP_2) | instid1(VALU_DEP_3)
	v_cndmask_b32_e64 v15, v14, v12, s4
	v_bfe_i32 v12, v13, 0, 8
	v_cndmask_b32_e64 v16, v5, v16, s4
                                        ; implicit-def: $vgpr14
	v_cmp_ge_i32_e64 s5, v15, v6
	s_delay_alu instid0(VALU_DEP_3) | instskip(NEXT) | instid1(VALU_DEP_3)
	v_cmp_lt_i16_e64 s6, v12, v17
	v_cmp_lt_i32_e64 s7, v16, v8
	s_delay_alu instid0(VALU_DEP_2)
	s_or_b32 s5, s5, s6
	s_delay_alu instid0(VALU_DEP_1) | instid1(SALU_CYCLE_1)
	s_and_b32 s5, s7, s5
	s_delay_alu instid0(SALU_CYCLE_1) | instskip(NEXT) | instid1(SALU_CYCLE_1)
	s_xor_b32 s6, s5, -1
	s_and_saveexec_b32 s7, s6
	s_delay_alu instid0(SALU_CYCLE_1)
	s_xor_b32 s6, exec_lo, s7
	s_cbranch_execz .LBB78_24
; %bb.23:
	v_add_nc_u32_e32 v5, v0, v15
	ds_load_u8 v14, v5 offset:1
.LBB78_24:
	s_or_saveexec_b32 s6, s6
	v_mov_b32_e32 v17, v13
	s_xor_b32 exec_lo, exec_lo, s6
	s_cbranch_execz .LBB78_26
; %bb.25:
	s_waitcnt lgkmcnt(0)
	v_dual_mov_b32 v14, v11 :: v_dual_add_nc_u32 v5, v0, v16
	ds_load_u8 v17, v5 offset:1
.LBB78_26:
	s_or_b32 exec_lo, exec_lo, s6
	v_and_b32_e32 v5, 0x70, v3
	v_add_nc_u32_e32 v18, 1, v15
	v_cndmask_b32_e64 v10, v9, v10, s4
	v_cndmask_b32_e64 v20, v1, v7, s3
	v_and_b32_e32 v9, 12, v3
	v_min_i32_e32 v12, v4, v5
	v_cndmask_b32_e64 v11, v11, v13, s5
	v_add_nc_u32_e32 v13, 1, v16
	s_waitcnt lgkmcnt(0)
	v_bfe_i32 v21, v14, 0, 8
	v_cndmask_b32_e64 v15, v18, v15, s5
	v_add_nc_u32_e32 v5, 8, v12
	v_min_i32_e32 v9, v4, v9
	v_cndmask_b32_e64 v13, v16, v13, s5
	v_add_nc_u32_e32 v1, v0, v3
	v_cmp_ge_i32_e64 s4, v15, v6
	v_min_i32_e32 v5, v4, v5
	s_delay_alu instid0(VALU_DEP_4) | instskip(NEXT) | instid1(VALU_DEP_2)
	v_cmp_lt_i32_e64 s5, v13, v8
	; wave barrier
	v_add_nc_u32_e32 v19, 8, v5
	v_sub_nc_u32_e32 v16, v5, v12
	s_delay_alu instid0(VALU_DEP_2) | instskip(SKIP_1) | instid1(VALU_DEP_3)
	v_min_i32_e32 v7, v4, v19
	v_bfe_i32 v19, v17, 0, 8
	v_min_i32_e32 v8, v9, v16
	s_delay_alu instid0(VALU_DEP_3) | instskip(NEXT) | instid1(VALU_DEP_3)
	v_sub_nc_u32_e32 v22, v7, v5
	v_cmp_lt_i16_e64 s3, v19, v21
	s_delay_alu instid0(VALU_DEP_2) | instskip(SKIP_1) | instid1(VALU_DEP_3)
	v_sub_nc_u32_e32 v18, v9, v22
	v_cmp_ge_i32_e64 s6, v9, v22
	s_or_b32 s3, s4, s3
	s_mov_b32 s4, exec_lo
	s_and_b32 s3, s5, s3
	s_mov_b32 s5, 0
	v_cndmask_b32_e64 v6, 0, v18, s6
	v_cndmask_b32_e64 v13, v14, v17, s3
	ds_store_b8 v1, v20
	ds_store_b8 v1, v10 offset:1
	ds_store_b8 v1, v11 offset:2
	;; [unrolled: 1-line block ×3, first 2 shown]
	; wave barrier
	v_cmpx_lt_i32_e64 v6, v8
	s_cbranch_execz .LBB78_30
; %bb.27:
	v_add_nc_u32_e32 v10, v0, v12
	v_add3_u32 v11, v0, v5, v9
	.p2align	6
.LBB78_28:                              ; =>This Inner Loop Header: Depth=1
	v_sub_nc_u32_e32 v13, v8, v6
	s_delay_alu instid0(VALU_DEP_1) | instskip(NEXT) | instid1(VALU_DEP_1)
	v_lshrrev_b32_e32 v14, 31, v13
	v_add_nc_u32_e32 v13, v13, v14
	s_delay_alu instid0(VALU_DEP_1) | instskip(NEXT) | instid1(VALU_DEP_1)
	v_ashrrev_i32_e32 v13, 1, v13
	v_add_nc_u32_e32 v13, v13, v6
	s_delay_alu instid0(VALU_DEP_1)
	v_add_nc_u32_e32 v14, v10, v13
	v_xad_u32 v15, v13, -1, v11
	v_add_nc_u32_e32 v16, 1, v13
	ds_load_i8 v14, v14
	ds_load_i8 v15, v15
	s_waitcnt lgkmcnt(0)
	v_cmp_lt_i16_e64 s3, v15, v14
	s_delay_alu instid0(VALU_DEP_1) | instskip(SKIP_1) | instid1(VALU_DEP_1)
	v_cndmask_b32_e64 v8, v8, v13, s3
	v_cndmask_b32_e64 v6, v16, v6, s3
	v_cmp_ge_i32_e64 s3, v6, v8
	s_delay_alu instid0(VALU_DEP_1) | instskip(NEXT) | instid1(SALU_CYCLE_1)
	s_or_b32 s5, s3, s5
	s_and_not1_b32 exec_lo, exec_lo, s5
	s_cbranch_execnz .LBB78_28
; %bb.29:
	s_or_b32 exec_lo, exec_lo, s5
.LBB78_30:
	s_delay_alu instid0(SALU_CYCLE_1) | instskip(SKIP_2) | instid1(VALU_DEP_2)
	s_or_b32 exec_lo, exec_lo, s4
	v_add_nc_u32_e32 v8, v5, v9
	v_add_nc_u32_e32 v12, v6, v12
                                        ; implicit-def: $vgpr10
	v_sub_nc_u32_e32 v6, v8, v6
	s_delay_alu instid0(VALU_DEP_2) | instskip(SKIP_1) | instid1(VALU_DEP_3)
	v_add_nc_u32_e32 v11, v0, v12
	v_cmp_le_i32_e64 s3, v5, v12
	v_add_nc_u32_e32 v13, v0, v6
	v_cmp_gt_i32_e64 s5, v7, v6
	ds_load_u8 v8, v11
	ds_load_u8 v9, v13
	s_waitcnt lgkmcnt(1)
	v_bfe_i32 v8, v8, 0, 8
	s_waitcnt lgkmcnt(0)
	v_bfe_i32 v9, v9, 0, 8
	s_delay_alu instid0(VALU_DEP_1) | instskip(NEXT) | instid1(VALU_DEP_1)
	v_cmp_lt_i16_e64 s4, v9, v8
	s_or_b32 s3, s3, s4
	s_delay_alu instid0(SALU_CYCLE_1) | instskip(NEXT) | instid1(SALU_CYCLE_1)
	s_and_b32 s3, s5, s3
	s_xor_b32 s4, s3, -1
	s_delay_alu instid0(SALU_CYCLE_1) | instskip(NEXT) | instid1(SALU_CYCLE_1)
	s_and_saveexec_b32 s5, s4
	s_xor_b32 s4, exec_lo, s5
	s_cbranch_execz .LBB78_32
; %bb.31:
	ds_load_u8 v10, v11 offset:1
                                        ; implicit-def: $vgpr13
.LBB78_32:
	s_or_saveexec_b32 s4, s4
	v_mov_b32_e32 v11, v9
	s_xor_b32 exec_lo, exec_lo, s4
	s_cbranch_execz .LBB78_34
; %bb.33:
	ds_load_u8 v11, v13 offset:1
	s_waitcnt lgkmcnt(1)
	v_mov_b32_e32 v10, v8
.LBB78_34:
	s_or_b32 exec_lo, exec_lo, s4
	v_add_nc_u32_e32 v13, 1, v12
	v_add_nc_u32_e32 v14, 1, v6
	s_waitcnt lgkmcnt(0)
	v_bfe_i32 v15, v10, 0, 8
	s_delay_alu instid0(VALU_DEP_3) | instskip(SKIP_2) | instid1(VALU_DEP_3)
	v_cndmask_b32_e64 v13, v13, v12, s3
	v_bfe_i32 v12, v11, 0, 8
	v_cndmask_b32_e64 v6, v6, v14, s3
	v_cmp_ge_i32_e64 s4, v13, v5
	s_delay_alu instid0(VALU_DEP_3) | instskip(NEXT) | instid1(VALU_DEP_3)
	v_cmp_lt_i16_e64 s5, v12, v15
	v_cmp_lt_i32_e64 s6, v6, v7
                                        ; implicit-def: $vgpr12
	s_delay_alu instid0(VALU_DEP_2)
	s_or_b32 s4, s4, s5
	s_delay_alu instid0(VALU_DEP_1) | instid1(SALU_CYCLE_1)
	s_and_b32 s4, s6, s4
	s_delay_alu instid0(SALU_CYCLE_1) | instskip(NEXT) | instid1(SALU_CYCLE_1)
	s_xor_b32 s5, s4, -1
	s_and_saveexec_b32 s6, s5
	s_delay_alu instid0(SALU_CYCLE_1)
	s_xor_b32 s5, exec_lo, s6
	s_cbranch_execz .LBB78_36
; %bb.35:
	v_add_nc_u32_e32 v12, v0, v13
	ds_load_u8 v12, v12 offset:1
.LBB78_36:
	s_or_saveexec_b32 s5, s5
	v_mov_b32_e32 v14, v11
	s_xor_b32 exec_lo, exec_lo, s5
	s_cbranch_execz .LBB78_38
; %bb.37:
	s_waitcnt lgkmcnt(0)
	v_add_nc_u32_e32 v12, v0, v6
	ds_load_u8 v14, v12 offset:1
	v_mov_b32_e32 v12, v10
.LBB78_38:
	s_or_b32 exec_lo, exec_lo, s5
	v_add_nc_u32_e32 v15, 1, v13
	v_add_nc_u32_e32 v17, 1, v6
	s_waitcnt lgkmcnt(0)
	v_bfe_i32 v18, v12, 0, 8
	s_delay_alu instid0(VALU_DEP_3) | instskip(SKIP_2) | instid1(VALU_DEP_3)
	v_cndmask_b32_e64 v16, v15, v13, s4
	v_bfe_i32 v13, v14, 0, 8
	v_cndmask_b32_e64 v17, v6, v17, s4
                                        ; implicit-def: $vgpr15
	v_cmp_ge_i32_e64 s5, v16, v5
	s_delay_alu instid0(VALU_DEP_3) | instskip(NEXT) | instid1(VALU_DEP_3)
	v_cmp_lt_i16_e64 s6, v13, v18
	v_cmp_lt_i32_e64 s7, v17, v7
	s_delay_alu instid0(VALU_DEP_2)
	s_or_b32 s5, s5, s6
	s_delay_alu instid0(VALU_DEP_1) | instid1(SALU_CYCLE_1)
	s_and_b32 s5, s7, s5
	s_delay_alu instid0(SALU_CYCLE_1) | instskip(NEXT) | instid1(SALU_CYCLE_1)
	s_xor_b32 s6, s5, -1
	s_and_saveexec_b32 s7, s6
	s_delay_alu instid0(SALU_CYCLE_1)
	s_xor_b32 s6, exec_lo, s7
	s_cbranch_execz .LBB78_40
; %bb.39:
	v_add_nc_u32_e32 v6, v0, v16
	ds_load_u8 v15, v6 offset:1
.LBB78_40:
	s_or_saveexec_b32 s6, s6
	v_mov_b32_e32 v18, v14
	s_xor_b32 exec_lo, exec_lo, s6
	s_cbranch_execz .LBB78_42
; %bb.41:
	v_add_nc_u32_e32 v6, v0, v17
	s_waitcnt lgkmcnt(0)
	v_mov_b32_e32 v15, v12
	ds_load_u8 v18, v6 offset:1
.LBB78_42:
	s_or_b32 exec_lo, exec_lo, s6
	v_and_b32_e32 v6, 0x60, v3
	v_add_nc_u32_e32 v20, 1, v16
	v_cndmask_b32_e64 v10, v10, v11, s4
	v_cndmask_b32_e64 v11, v8, v9, s3
	v_and_b32_e32 v9, 28, v3
	v_min_i32_e32 v13, v4, v6
	v_cndmask_b32_e64 v12, v12, v14, s5
	v_add_nc_u32_e32 v14, 1, v17
	s_waitcnt lgkmcnt(0)
	v_bfe_i32 v21, v18, 0, 8
	v_cndmask_b32_e64 v16, v20, v16, s5
	v_add_nc_u32_e32 v6, 16, v13
	v_min_i32_e32 v9, v4, v9
	v_cndmask_b32_e64 v14, v17, v14, s5
	s_delay_alu instid0(VALU_DEP_4) | instskip(NEXT) | instid1(VALU_DEP_4)
	v_cmp_ge_i32_e64 s4, v16, v5
	v_min_i32_e32 v6, v4, v6
	; wave barrier
	s_delay_alu instid0(VALU_DEP_3) | instskip(NEXT) | instid1(VALU_DEP_2)
	v_cmp_lt_i32_e64 s5, v14, v7
	v_add_nc_u32_e32 v19, 16, v6
	v_sub_nc_u32_e32 v17, v6, v13
	s_delay_alu instid0(VALU_DEP_2) | instskip(SKIP_1) | instid1(VALU_DEP_3)
	v_min_i32_e32 v8, v4, v19
	v_bfe_i32 v19, v15, 0, 8
	v_min_i32_e32 v7, v9, v17
	s_delay_alu instid0(VALU_DEP_3) | instskip(NEXT) | instid1(VALU_DEP_3)
	v_sub_nc_u32_e32 v22, v8, v6
	v_cmp_lt_i16_e64 s3, v21, v19
	s_delay_alu instid0(VALU_DEP_2) | instskip(SKIP_1) | instid1(VALU_DEP_3)
	v_sub_nc_u32_e32 v19, v9, v22
	v_cmp_ge_i32_e64 s6, v9, v22
	s_or_b32 s3, s4, s3
	s_mov_b32 s4, exec_lo
	s_and_b32 s3, s5, s3
	s_mov_b32 s5, 0
	v_cndmask_b32_e64 v5, 0, v19, s6
	v_cndmask_b32_e64 v14, v15, v18, s3
	ds_store_b8 v1, v11
	ds_store_b8 v1, v10 offset:1
	ds_store_b8 v1, v12 offset:2
	;; [unrolled: 1-line block ×3, first 2 shown]
	; wave barrier
	v_cmpx_lt_i32_e64 v5, v7
	s_cbranch_execz .LBB78_46
; %bb.43:
	v_add_nc_u32_e32 v10, v0, v13
	v_add3_u32 v11, v0, v6, v9
	.p2align	6
.LBB78_44:                              ; =>This Inner Loop Header: Depth=1
	v_sub_nc_u32_e32 v12, v7, v5
	s_delay_alu instid0(VALU_DEP_1) | instskip(NEXT) | instid1(VALU_DEP_1)
	v_lshrrev_b32_e32 v14, 31, v12
	v_add_nc_u32_e32 v12, v12, v14
	s_delay_alu instid0(VALU_DEP_1) | instskip(NEXT) | instid1(VALU_DEP_1)
	v_ashrrev_i32_e32 v12, 1, v12
	v_add_nc_u32_e32 v12, v12, v5
	s_delay_alu instid0(VALU_DEP_1)
	v_add_nc_u32_e32 v14, v10, v12
	v_xad_u32 v15, v12, -1, v11
	v_add_nc_u32_e32 v16, 1, v12
	ds_load_i8 v14, v14
	ds_load_i8 v15, v15
	s_waitcnt lgkmcnt(0)
	v_cmp_lt_i16_e64 s3, v15, v14
	s_delay_alu instid0(VALU_DEP_1) | instskip(SKIP_1) | instid1(VALU_DEP_1)
	v_cndmask_b32_e64 v7, v7, v12, s3
	v_cndmask_b32_e64 v5, v16, v5, s3
	v_cmp_ge_i32_e64 s3, v5, v7
	s_delay_alu instid0(VALU_DEP_1) | instskip(NEXT) | instid1(SALU_CYCLE_1)
	s_or_b32 s5, s3, s5
	s_and_not1_b32 exec_lo, exec_lo, s5
	s_cbranch_execnz .LBB78_44
; %bb.45:
	s_or_b32 exec_lo, exec_lo, s5
.LBB78_46:
	s_delay_alu instid0(SALU_CYCLE_1) | instskip(SKIP_2) | instid1(VALU_DEP_2)
	s_or_b32 exec_lo, exec_lo, s4
	v_add_nc_u32_e32 v7, v6, v9
	v_add_nc_u32_e32 v12, v5, v13
                                        ; implicit-def: $vgpr10
	v_sub_nc_u32_e32 v7, v7, v5
	s_delay_alu instid0(VALU_DEP_2) | instskip(SKIP_1) | instid1(VALU_DEP_3)
	v_add_nc_u32_e32 v11, v0, v12
	v_cmp_le_i32_e64 s3, v6, v12
	v_add_nc_u32_e32 v13, v0, v7
	v_cmp_gt_i32_e64 s5, v8, v7
	ds_load_u8 v5, v11
	ds_load_u8 v9, v13
	s_waitcnt lgkmcnt(1)
	v_bfe_i32 v5, v5, 0, 8
	s_waitcnt lgkmcnt(0)
	v_bfe_i32 v9, v9, 0, 8
	s_delay_alu instid0(VALU_DEP_1) | instskip(NEXT) | instid1(VALU_DEP_1)
	v_cmp_lt_i16_e64 s4, v9, v5
	s_or_b32 s3, s3, s4
	s_delay_alu instid0(SALU_CYCLE_1) | instskip(NEXT) | instid1(SALU_CYCLE_1)
	s_and_b32 s3, s5, s3
	s_xor_b32 s4, s3, -1
	s_delay_alu instid0(SALU_CYCLE_1) | instskip(NEXT) | instid1(SALU_CYCLE_1)
	s_and_saveexec_b32 s5, s4
	s_xor_b32 s4, exec_lo, s5
	s_cbranch_execz .LBB78_48
; %bb.47:
	ds_load_u8 v10, v11 offset:1
                                        ; implicit-def: $vgpr13
.LBB78_48:
	s_or_saveexec_b32 s4, s4
	v_mov_b32_e32 v11, v9
	s_xor_b32 exec_lo, exec_lo, s4
	s_cbranch_execz .LBB78_50
; %bb.49:
	ds_load_u8 v11, v13 offset:1
	s_waitcnt lgkmcnt(1)
	v_mov_b32_e32 v10, v5
.LBB78_50:
	s_or_b32 exec_lo, exec_lo, s4
	v_add_nc_u32_e32 v13, 1, v12
	v_add_nc_u32_e32 v14, 1, v7
	s_waitcnt lgkmcnt(0)
	v_bfe_i32 v15, v10, 0, 8
	s_delay_alu instid0(VALU_DEP_3) | instskip(SKIP_2) | instid1(VALU_DEP_3)
	v_cndmask_b32_e64 v13, v13, v12, s3
	v_bfe_i32 v12, v11, 0, 8
	v_cndmask_b32_e64 v7, v7, v14, s3
	v_cmp_ge_i32_e64 s4, v13, v6
	s_delay_alu instid0(VALU_DEP_3) | instskip(NEXT) | instid1(VALU_DEP_3)
	v_cmp_lt_i16_e64 s5, v12, v15
	v_cmp_lt_i32_e64 s6, v7, v8
                                        ; implicit-def: $vgpr12
	s_delay_alu instid0(VALU_DEP_2)
	s_or_b32 s4, s4, s5
	s_delay_alu instid0(VALU_DEP_1) | instid1(SALU_CYCLE_1)
	s_and_b32 s4, s6, s4
	s_delay_alu instid0(SALU_CYCLE_1) | instskip(NEXT) | instid1(SALU_CYCLE_1)
	s_xor_b32 s5, s4, -1
	s_and_saveexec_b32 s6, s5
	s_delay_alu instid0(SALU_CYCLE_1)
	s_xor_b32 s5, exec_lo, s6
	s_cbranch_execz .LBB78_52
; %bb.51:
	v_add_nc_u32_e32 v12, v0, v13
	ds_load_u8 v12, v12 offset:1
.LBB78_52:
	s_or_saveexec_b32 s5, s5
	v_mov_b32_e32 v14, v11
	s_xor_b32 exec_lo, exec_lo, s5
	s_cbranch_execz .LBB78_54
; %bb.53:
	s_waitcnt lgkmcnt(0)
	v_add_nc_u32_e32 v12, v0, v7
	ds_load_u8 v14, v12 offset:1
	v_mov_b32_e32 v12, v10
.LBB78_54:
	s_or_b32 exec_lo, exec_lo, s5
	v_add_nc_u32_e32 v15, 1, v13
	v_add_nc_u32_e32 v17, 1, v7
	s_waitcnt lgkmcnt(0)
	v_bfe_i32 v18, v12, 0, 8
	s_delay_alu instid0(VALU_DEP_3) | instskip(SKIP_2) | instid1(VALU_DEP_3)
	v_cndmask_b32_e64 v16, v15, v13, s4
	v_bfe_i32 v13, v14, 0, 8
	v_cndmask_b32_e64 v17, v7, v17, s4
                                        ; implicit-def: $vgpr15
	v_cmp_ge_i32_e64 s5, v16, v6
	s_delay_alu instid0(VALU_DEP_3) | instskip(NEXT) | instid1(VALU_DEP_3)
	v_cmp_lt_i16_e64 s6, v13, v18
	v_cmp_lt_i32_e64 s7, v17, v8
	s_delay_alu instid0(VALU_DEP_2)
	s_or_b32 s5, s5, s6
	s_delay_alu instid0(VALU_DEP_1) | instid1(SALU_CYCLE_1)
	s_and_b32 s5, s7, s5
	s_delay_alu instid0(SALU_CYCLE_1) | instskip(NEXT) | instid1(SALU_CYCLE_1)
	s_xor_b32 s6, s5, -1
	s_and_saveexec_b32 s7, s6
	s_delay_alu instid0(SALU_CYCLE_1)
	s_xor_b32 s6, exec_lo, s7
	s_cbranch_execz .LBB78_56
; %bb.55:
	v_add_nc_u32_e32 v7, v0, v16
	ds_load_u8 v15, v7 offset:1
.LBB78_56:
	s_or_saveexec_b32 s6, s6
	v_mov_b32_e32 v18, v14
	s_xor_b32 exec_lo, exec_lo, s6
	s_cbranch_execz .LBB78_58
; %bb.57:
	v_add_nc_u32_e32 v7, v0, v17
	s_waitcnt lgkmcnt(0)
	v_mov_b32_e32 v15, v12
	ds_load_u8 v18, v7 offset:1
.LBB78_58:
	s_or_b32 exec_lo, exec_lo, s6
	v_and_b32_e32 v7, 64, v3
	v_add_nc_u32_e32 v20, 1, v16
	v_cndmask_b32_e64 v10, v10, v11, s4
	v_cndmask_b32_e64 v11, v5, v9, s3
	v_and_b32_e32 v5, 60, v3
	v_min_i32_e32 v13, v4, v7
	v_cndmask_b32_e64 v12, v12, v14, s5
	v_add_nc_u32_e32 v14, 1, v17
	s_waitcnt lgkmcnt(0)
	v_bfe_i32 v21, v18, 0, 8
	v_cndmask_b32_e64 v16, v20, v16, s5
	v_add_nc_u32_e32 v7, 32, v13
	v_min_i32_e32 v5, v4, v5
	v_cndmask_b32_e64 v14, v17, v14, s5
	s_delay_alu instid0(VALU_DEP_4) | instskip(NEXT) | instid1(VALU_DEP_4)
	v_cmp_ge_i32_e64 s4, v16, v6
	v_min_i32_e32 v7, v4, v7
	; wave barrier
	s_delay_alu instid0(VALU_DEP_3) | instskip(NEXT) | instid1(VALU_DEP_2)
	v_cmp_lt_i32_e64 s5, v14, v8
	v_add_nc_u32_e32 v19, 32, v7
	v_sub_nc_u32_e32 v17, v7, v13
	s_delay_alu instid0(VALU_DEP_2) | instskip(SKIP_1) | instid1(VALU_DEP_3)
	v_min_i32_e32 v9, v4, v19
	v_bfe_i32 v19, v15, 0, 8
	v_min_i32_e32 v8, v5, v17
	s_delay_alu instid0(VALU_DEP_3) | instskip(NEXT) | instid1(VALU_DEP_3)
	v_sub_nc_u32_e32 v22, v9, v7
	v_cmp_lt_i16_e64 s3, v21, v19
	s_delay_alu instid0(VALU_DEP_2) | instskip(SKIP_1) | instid1(VALU_DEP_3)
	v_sub_nc_u32_e32 v19, v5, v22
	v_cmp_ge_i32_e64 s6, v5, v22
	s_or_b32 s3, s4, s3
	s_mov_b32 s4, exec_lo
	s_and_b32 s3, s5, s3
	s_mov_b32 s5, 0
	v_cndmask_b32_e64 v6, 0, v19, s6
	v_cndmask_b32_e64 v14, v15, v18, s3
	ds_store_b8 v1, v11
	ds_store_b8 v1, v10 offset:1
	ds_store_b8 v1, v12 offset:2
	;; [unrolled: 1-line block ×3, first 2 shown]
	; wave barrier
	v_cmpx_lt_i32_e64 v6, v8
	s_cbranch_execz .LBB78_62
; %bb.59:
	v_add_nc_u32_e32 v10, v0, v13
	v_add3_u32 v11, v0, v7, v5
	.p2align	6
.LBB78_60:                              ; =>This Inner Loop Header: Depth=1
	v_sub_nc_u32_e32 v12, v8, v6
	s_delay_alu instid0(VALU_DEP_1) | instskip(NEXT) | instid1(VALU_DEP_1)
	v_lshrrev_b32_e32 v14, 31, v12
	v_add_nc_u32_e32 v12, v12, v14
	s_delay_alu instid0(VALU_DEP_1) | instskip(NEXT) | instid1(VALU_DEP_1)
	v_ashrrev_i32_e32 v12, 1, v12
	v_add_nc_u32_e32 v12, v12, v6
	s_delay_alu instid0(VALU_DEP_1)
	v_add_nc_u32_e32 v14, v10, v12
	v_xad_u32 v15, v12, -1, v11
	v_add_nc_u32_e32 v16, 1, v12
	ds_load_i8 v14, v14
	ds_load_i8 v15, v15
	s_waitcnt lgkmcnt(0)
	v_cmp_lt_i16_e64 s3, v15, v14
	s_delay_alu instid0(VALU_DEP_1) | instskip(SKIP_1) | instid1(VALU_DEP_1)
	v_cndmask_b32_e64 v8, v8, v12, s3
	v_cndmask_b32_e64 v6, v16, v6, s3
	v_cmp_ge_i32_e64 s3, v6, v8
	s_delay_alu instid0(VALU_DEP_1) | instskip(NEXT) | instid1(SALU_CYCLE_1)
	s_or_b32 s5, s3, s5
	s_and_not1_b32 exec_lo, exec_lo, s5
	s_cbranch_execnz .LBB78_60
; %bb.61:
	s_or_b32 exec_lo, exec_lo, s5
.LBB78_62:
	s_delay_alu instid0(SALU_CYCLE_1) | instskip(SKIP_2) | instid1(VALU_DEP_2)
	s_or_b32 exec_lo, exec_lo, s4
	v_add_nc_u32_e32 v5, v7, v5
	v_add_nc_u32_e32 v12, v6, v13
                                        ; implicit-def: $vgpr10
	v_sub_nc_u32_e32 v5, v5, v6
	s_delay_alu instid0(VALU_DEP_2) | instskip(SKIP_1) | instid1(VALU_DEP_3)
	v_add_nc_u32_e32 v11, v0, v12
	v_cmp_le_i32_e64 s3, v7, v12
	v_add_nc_u32_e32 v13, v0, v5
	v_cmp_gt_i32_e64 s5, v9, v5
	ds_load_u8 v6, v11
	ds_load_u8 v8, v13
	s_waitcnt lgkmcnt(1)
	v_bfe_i32 v6, v6, 0, 8
	s_waitcnt lgkmcnt(0)
	v_bfe_i32 v8, v8, 0, 8
	s_delay_alu instid0(VALU_DEP_1) | instskip(NEXT) | instid1(VALU_DEP_1)
	v_cmp_lt_i16_e64 s4, v8, v6
	s_or_b32 s3, s3, s4
	s_delay_alu instid0(SALU_CYCLE_1) | instskip(NEXT) | instid1(SALU_CYCLE_1)
	s_and_b32 s3, s5, s3
	s_xor_b32 s4, s3, -1
	s_delay_alu instid0(SALU_CYCLE_1) | instskip(NEXT) | instid1(SALU_CYCLE_1)
	s_and_saveexec_b32 s5, s4
	s_xor_b32 s4, exec_lo, s5
	s_cbranch_execz .LBB78_64
; %bb.63:
	ds_load_u8 v10, v11 offset:1
                                        ; implicit-def: $vgpr13
.LBB78_64:
	s_or_saveexec_b32 s4, s4
	v_mov_b32_e32 v11, v8
	s_xor_b32 exec_lo, exec_lo, s4
	s_cbranch_execz .LBB78_66
; %bb.65:
	ds_load_u8 v11, v13 offset:1
	s_waitcnt lgkmcnt(1)
	v_mov_b32_e32 v10, v6
.LBB78_66:
	s_or_b32 exec_lo, exec_lo, s4
	v_add_nc_u32_e32 v13, 1, v12
	v_add_nc_u32_e32 v14, 1, v5
	s_waitcnt lgkmcnt(0)
	v_bfe_i32 v15, v10, 0, 8
	s_delay_alu instid0(VALU_DEP_3) | instskip(SKIP_2) | instid1(VALU_DEP_3)
	v_cndmask_b32_e64 v13, v13, v12, s3
	v_bfe_i32 v12, v11, 0, 8
	v_cndmask_b32_e64 v5, v5, v14, s3
	v_cmp_ge_i32_e64 s4, v13, v7
	s_delay_alu instid0(VALU_DEP_3) | instskip(NEXT) | instid1(VALU_DEP_3)
	v_cmp_lt_i16_e64 s5, v12, v15
	v_cmp_lt_i32_e64 s6, v5, v9
                                        ; implicit-def: $vgpr12
	s_delay_alu instid0(VALU_DEP_2)
	s_or_b32 s4, s4, s5
	s_delay_alu instid0(VALU_DEP_1) | instid1(SALU_CYCLE_1)
	s_and_b32 s4, s6, s4
	s_delay_alu instid0(SALU_CYCLE_1) | instskip(NEXT) | instid1(SALU_CYCLE_1)
	s_xor_b32 s5, s4, -1
	s_and_saveexec_b32 s6, s5
	s_delay_alu instid0(SALU_CYCLE_1)
	s_xor_b32 s5, exec_lo, s6
	s_cbranch_execz .LBB78_68
; %bb.67:
	v_add_nc_u32_e32 v12, v0, v13
	ds_load_u8 v12, v12 offset:1
.LBB78_68:
	s_or_saveexec_b32 s5, s5
	v_mov_b32_e32 v14, v11
	s_xor_b32 exec_lo, exec_lo, s5
	s_cbranch_execz .LBB78_70
; %bb.69:
	s_waitcnt lgkmcnt(0)
	v_add_nc_u32_e32 v12, v0, v5
	ds_load_u8 v14, v12 offset:1
	v_mov_b32_e32 v12, v10
.LBB78_70:
	s_or_b32 exec_lo, exec_lo, s5
	v_add_nc_u32_e32 v15, 1, v13
	v_add_nc_u32_e32 v16, 1, v5
	s_waitcnt lgkmcnt(0)
	v_bfe_i32 v18, v12, 0, 8
	s_delay_alu instid0(VALU_DEP_3) | instskip(SKIP_2) | instid1(VALU_DEP_3)
	v_cndmask_b32_e64 v15, v15, v13, s4
	v_bfe_i32 v13, v14, 0, 8
	v_cndmask_b32_e64 v17, v5, v16, s4
                                        ; implicit-def: $vgpr16
	v_cmp_ge_i32_e64 s5, v15, v7
	s_delay_alu instid0(VALU_DEP_3) | instskip(NEXT) | instid1(VALU_DEP_3)
	v_cmp_lt_i16_e64 s6, v13, v18
	v_cmp_lt_i32_e64 s7, v17, v9
	s_delay_alu instid0(VALU_DEP_2)
	s_or_b32 s5, s5, s6
	s_delay_alu instid0(VALU_DEP_1) | instid1(SALU_CYCLE_1)
	s_and_b32 s5, s7, s5
	s_delay_alu instid0(SALU_CYCLE_1) | instskip(NEXT) | instid1(SALU_CYCLE_1)
	s_xor_b32 s6, s5, -1
	s_and_saveexec_b32 s7, s6
	s_delay_alu instid0(SALU_CYCLE_1)
	s_xor_b32 s6, exec_lo, s7
	s_cbranch_execz .LBB78_72
; %bb.71:
	v_add_nc_u32_e32 v5, v0, v15
	ds_load_u8 v16, v5 offset:1
.LBB78_72:
	s_or_saveexec_b32 s6, s6
	v_mov_b32_e32 v18, v14
	s_xor_b32 exec_lo, exec_lo, s6
	s_cbranch_execz .LBB78_74
; %bb.73:
	v_add_nc_u32_e32 v5, v0, v17
	s_waitcnt lgkmcnt(0)
	v_mov_b32_e32 v16, v12
	ds_load_u8 v18, v5 offset:1
.LBB78_74:
	s_or_b32 exec_lo, exec_lo, s6
	v_min_i32_e32 v13, 0, v4
	v_add_nc_u32_e32 v20, 1, v15
	v_cndmask_b32_e64 v10, v10, v11, s4
	v_cndmask_b32_e64 v11, v6, v8, s3
	v_and_b32_e32 v8, 0x7c, v3
	v_add_nc_u32_e32 v5, 64, v13
	v_cndmask_b32_e64 v12, v12, v14, s5
	v_add_nc_u32_e32 v14, 1, v17
	s_waitcnt lgkmcnt(0)
	v_bfe_i32 v21, v18, 0, 8
	v_min_i32_e32 v5, v4, v5
	; wave barrier
	s_delay_alu instid0(VALU_DEP_3) | instskip(NEXT) | instid1(VALU_DEP_2)
	v_cndmask_b32_e64 v14, v17, v14, s5
	v_add_nc_u32_e32 v19, 64, v5
	s_delay_alu instid0(VALU_DEP_1)
	v_min_i32_e32 v6, v4, v19
	v_bfe_i32 v19, v16, 0, 8
	v_min_i32_e32 v4, v4, v8
	v_cndmask_b32_e64 v8, v20, v15, s5
	v_sub_nc_u32_e32 v15, v5, v13
	v_sub_nc_u32_e32 v22, v6, v5
	v_cmp_lt_i16_e64 s3, v21, v19
	v_cmp_lt_i32_e64 s5, v14, v9
	v_cmp_ge_i32_e64 s4, v8, v7
	v_min_i32_e32 v8, v4, v15
	v_sub_nc_u32_e32 v17, v4, v22
	v_cmp_ge_i32_e64 s6, v4, v22
	s_delay_alu instid0(VALU_DEP_4) | instskip(SKIP_2) | instid1(VALU_DEP_1)
	s_or_b32 s3, s4, s3
	s_mov_b32 s4, exec_lo
	s_and_b32 s3, s5, s3
	v_cndmask_b32_e64 v7, 0, v17, s6
	v_cndmask_b32_e64 v9, v16, v18, s3
	s_mov_b32 s5, 0
	ds_store_b8 v1, v11
	ds_store_b8 v1, v10 offset:1
	ds_store_b8 v1, v12 offset:2
	;; [unrolled: 1-line block ×3, first 2 shown]
	; wave barrier
	v_cmpx_lt_i32_e64 v7, v8
	s_cbranch_execz .LBB78_78
; %bb.75:
	v_add_nc_u32_e32 v1, v0, v13
	v_add3_u32 v9, v0, v5, v4
	.p2align	6
.LBB78_76:                              ; =>This Inner Loop Header: Depth=1
	v_sub_nc_u32_e32 v10, v8, v7
	s_delay_alu instid0(VALU_DEP_1) | instskip(NEXT) | instid1(VALU_DEP_1)
	v_lshrrev_b32_e32 v11, 31, v10
	v_add_nc_u32_e32 v10, v10, v11
	s_delay_alu instid0(VALU_DEP_1) | instskip(NEXT) | instid1(VALU_DEP_1)
	v_ashrrev_i32_e32 v10, 1, v10
	v_add_nc_u32_e32 v10, v10, v7
	s_delay_alu instid0(VALU_DEP_1)
	v_add_nc_u32_e32 v11, v1, v10
	v_xad_u32 v12, v10, -1, v9
	v_add_nc_u32_e32 v14, 1, v10
	ds_load_i8 v11, v11
	ds_load_i8 v12, v12
	s_waitcnt lgkmcnt(0)
	v_cmp_lt_i16_e64 s3, v12, v11
	s_delay_alu instid0(VALU_DEP_1) | instskip(SKIP_1) | instid1(VALU_DEP_1)
	v_cndmask_b32_e64 v8, v8, v10, s3
	v_cndmask_b32_e64 v7, v14, v7, s3
	v_cmp_ge_i32_e64 s3, v7, v8
	s_delay_alu instid0(VALU_DEP_1) | instskip(NEXT) | instid1(SALU_CYCLE_1)
	s_or_b32 s5, s3, s5
	s_and_not1_b32 exec_lo, exec_lo, s5
	s_cbranch_execnz .LBB78_76
; %bb.77:
	s_or_b32 exec_lo, exec_lo, s5
.LBB78_78:
	s_delay_alu instid0(SALU_CYCLE_1) | instskip(SKIP_2) | instid1(VALU_DEP_2)
	s_or_b32 exec_lo, exec_lo, s4
	v_add_nc_u32_e32 v1, v5, v4
	v_add_nc_u32_e32 v10, v7, v13
                                        ; implicit-def: $vgpr8
	v_sub_nc_u32_e32 v1, v1, v7
	s_delay_alu instid0(VALU_DEP_2) | instskip(SKIP_1) | instid1(VALU_DEP_3)
	v_add_nc_u32_e32 v9, v0, v10
	v_cmp_le_i32_e64 s3, v5, v10
	v_add_nc_u32_e32 v11, v0, v1
	v_cmp_gt_i32_e64 s5, v6, v1
	ds_load_u8 v4, v9
	ds_load_u8 v7, v11
	s_waitcnt lgkmcnt(1)
	v_bfe_i32 v4, v4, 0, 8
	s_waitcnt lgkmcnt(0)
	v_bfe_i32 v7, v7, 0, 8
	s_delay_alu instid0(VALU_DEP_1) | instskip(NEXT) | instid1(VALU_DEP_1)
	v_cmp_lt_i16_e64 s4, v7, v4
	s_or_b32 s3, s3, s4
	s_delay_alu instid0(SALU_CYCLE_1) | instskip(NEXT) | instid1(SALU_CYCLE_1)
	s_and_b32 s3, s5, s3
	s_xor_b32 s4, s3, -1
	s_delay_alu instid0(SALU_CYCLE_1) | instskip(NEXT) | instid1(SALU_CYCLE_1)
	s_and_saveexec_b32 s5, s4
	s_xor_b32 s4, exec_lo, s5
	s_cbranch_execz .LBB78_80
; %bb.79:
	ds_load_u8 v8, v9 offset:1
                                        ; implicit-def: $vgpr11
.LBB78_80:
	s_or_saveexec_b32 s4, s4
	v_mov_b32_e32 v9, v7
	s_xor_b32 exec_lo, exec_lo, s4
	s_cbranch_execz .LBB78_82
; %bb.81:
	ds_load_u8 v9, v11 offset:1
	s_waitcnt lgkmcnt(1)
	v_mov_b32_e32 v8, v4
.LBB78_82:
	s_or_b32 exec_lo, exec_lo, s4
	v_add_nc_u32_e32 v11, 1, v10
	v_add_nc_u32_e32 v13, 1, v1
	s_waitcnt lgkmcnt(0)
	v_bfe_i32 v14, v8, 0, 8
	s_delay_alu instid0(VALU_DEP_3) | instskip(SKIP_2) | instid1(VALU_DEP_3)
	v_cndmask_b32_e64 v12, v11, v10, s3
	v_bfe_i32 v10, v9, 0, 8
	v_cndmask_b32_e64 v1, v1, v13, s3
	v_cmp_ge_i32_e64 s4, v12, v5
	s_delay_alu instid0(VALU_DEP_3) | instskip(NEXT) | instid1(VALU_DEP_3)
	v_cmp_lt_i16_e64 s5, v10, v14
	v_cmp_lt_i32_e64 s6, v1, v6
                                        ; implicit-def: $vgpr10
	s_delay_alu instid0(VALU_DEP_2)
	s_or_b32 s4, s4, s5
	s_delay_alu instid0(VALU_DEP_1) | instid1(SALU_CYCLE_1)
	s_and_b32 s4, s6, s4
	s_delay_alu instid0(SALU_CYCLE_1) | instskip(NEXT) | instid1(SALU_CYCLE_1)
	s_xor_b32 s5, s4, -1
	s_and_saveexec_b32 s6, s5
	s_delay_alu instid0(SALU_CYCLE_1)
	s_xor_b32 s5, exec_lo, s6
	s_cbranch_execz .LBB78_84
; %bb.83:
	v_add_nc_u32_e32 v10, v0, v12
	ds_load_u8 v10, v10 offset:1
.LBB78_84:
	s_or_saveexec_b32 s5, s5
	v_mov_b32_e32 v11, v9
	s_xor_b32 exec_lo, exec_lo, s5
	s_cbranch_execz .LBB78_86
; %bb.85:
	s_waitcnt lgkmcnt(0)
	v_add_nc_u32_e32 v10, v0, v1
	ds_load_u8 v11, v10 offset:1
	v_mov_b32_e32 v10, v8
.LBB78_86:
	s_or_b32 exec_lo, exec_lo, s5
	v_add_nc_u32_e32 v13, 1, v12
	v_add_nc_u32_e32 v14, 1, v1
	s_waitcnt lgkmcnt(0)
	v_bfe_i32 v15, v10, 0, 8
	s_delay_alu instid0(VALU_DEP_3) | instskip(SKIP_2) | instid1(VALU_DEP_3)
	v_cndmask_b32_e64 v16, v13, v12, s4
	v_bfe_i32 v13, v11, 0, 8
	v_cndmask_b32_e64 v12, v1, v14, s4
                                        ; implicit-def: $vgpr14
	v_cmp_ge_i32_e64 s5, v16, v5
	s_delay_alu instid0(VALU_DEP_3) | instskip(NEXT) | instid1(VALU_DEP_3)
	v_cmp_lt_i16_e64 s6, v13, v15
	v_cmp_lt_i32_e64 s7, v12, v6
                                        ; implicit-def: $vgpr13
	s_delay_alu instid0(VALU_DEP_2)
	s_or_b32 s5, s5, s6
	s_delay_alu instid0(VALU_DEP_1) | instid1(SALU_CYCLE_1)
	s_and_b32 s5, s7, s5
	s_delay_alu instid0(SALU_CYCLE_1) | instskip(NEXT) | instid1(SALU_CYCLE_1)
	s_xor_b32 s6, s5, -1
	s_and_saveexec_b32 s7, s6
	s_delay_alu instid0(SALU_CYCLE_1)
	s_xor_b32 s6, exec_lo, s7
	s_cbranch_execz .LBB78_88
; %bb.87:
	v_add_nc_u32_e32 v0, v0, v16
	v_add_nc_u32_e32 v14, 1, v16
                                        ; implicit-def: $vgpr16
	ds_load_u8 v13, v0 offset:1
                                        ; implicit-def: $vgpr0
.LBB78_88:
	s_or_saveexec_b32 s6, s6
	v_mov_b32_e32 v15, v11
	s_xor_b32 exec_lo, exec_lo, s6
	s_cbranch_execz .LBB78_90
; %bb.89:
	s_waitcnt lgkmcnt(0)
	v_dual_mov_b32 v13, v10 :: v_dual_add_nc_u32 v0, v0, v12
	v_add_nc_u32_e32 v12, 1, v12
	v_mov_b32_e32 v14, v16
	ds_load_u8 v15, v0 offset:1
.LBB78_90:
	s_or_b32 exec_lo, exec_lo, s6
	v_add_co_u32 v0, s6, s10, v2
	s_delay_alu instid0(VALU_DEP_1) | instskip(NEXT) | instid1(VALU_DEP_2)
	v_add_co_ci_u32_e64 v1, null, s11, 0, s6
	v_add_co_u32 v0, s6, v0, v3
	s_delay_alu instid0(VALU_DEP_1)
	v_add_co_ci_u32_e64 v1, s6, 0, v1, s6
	s_and_saveexec_b32 s6, vcc_lo
	s_cbranch_execnz .LBB78_95
; %bb.91:
	s_or_b32 exec_lo, exec_lo, s6
	s_and_saveexec_b32 s3, s0
	s_cbranch_execnz .LBB78_96
.LBB78_92:
	s_or_b32 exec_lo, exec_lo, s3
	s_and_saveexec_b32 s0, s1
	s_cbranch_execnz .LBB78_97
.LBB78_93:
	s_or_b32 exec_lo, exec_lo, s0
	s_and_saveexec_b32 s0, s2
	s_cbranch_execnz .LBB78_98
.LBB78_94:
	s_nop 0
	s_sendmsg sendmsg(MSG_DEALLOC_VGPRS)
	s_endpgm
.LBB78_95:
	v_cndmask_b32_e64 v2, v4, v7, s3
	global_store_b8 v[0:1], v2, off
	s_or_b32 exec_lo, exec_lo, s6
	s_and_saveexec_b32 s3, s0
	s_cbranch_execz .LBB78_92
.LBB78_96:
	v_cndmask_b32_e64 v2, v8, v9, s4
	global_store_b8 v[0:1], v2, off offset:1
	s_or_b32 exec_lo, exec_lo, s3
	s_and_saveexec_b32 s0, s1
	s_cbranch_execz .LBB78_93
.LBB78_97:
	v_cndmask_b32_e64 v2, v10, v11, s5
	global_store_b8 v[0:1], v2, off offset:2
	s_or_b32 exec_lo, exec_lo, s0
	s_and_saveexec_b32 s0, s2
	s_cbranch_execz .LBB78_94
.LBB78_98:
	s_waitcnt lgkmcnt(0)
	v_bfe_i32 v2, v13, 0, 8
	v_bfe_i32 v3, v15, 0, 8
	v_cmp_ge_i32_e32 vcc_lo, v14, v5
	v_cmp_lt_i32_e64 s1, v12, v6
	s_delay_alu instid0(VALU_DEP_3) | instskip(NEXT) | instid1(VALU_DEP_1)
	v_cmp_lt_i16_e64 s0, v3, v2
	s_or_b32 s0, vcc_lo, s0
	s_delay_alu instid0(VALU_DEP_2) | instid1(SALU_CYCLE_1)
	s_and_b32 vcc_lo, s1, s0
	v_cndmask_b32_e32 v2, v13, v15, vcc_lo
	global_store_b8 v[0:1], v2, off offset:3
	s_nop 0
	s_sendmsg sendmsg(MSG_DEALLOC_VGPRS)
	s_endpgm
	.section	.rodata,"a",@progbits
	.p2align	6, 0x0
	.amdhsa_kernel _Z19sort_keys_segmentedILj256ELj32ELj4EaN10test_utils4lessEEvPKT2_PS2_PKjT3_
		.amdhsa_group_segment_fixed_size 1032
		.amdhsa_private_segment_fixed_size 0
		.amdhsa_kernarg_size 28
		.amdhsa_user_sgpr_count 15
		.amdhsa_user_sgpr_dispatch_ptr 0
		.amdhsa_user_sgpr_queue_ptr 0
		.amdhsa_user_sgpr_kernarg_segment_ptr 1
		.amdhsa_user_sgpr_dispatch_id 0
		.amdhsa_user_sgpr_private_segment_size 0
		.amdhsa_wavefront_size32 1
		.amdhsa_uses_dynamic_stack 0
		.amdhsa_enable_private_segment 0
		.amdhsa_system_sgpr_workgroup_id_x 1
		.amdhsa_system_sgpr_workgroup_id_y 0
		.amdhsa_system_sgpr_workgroup_id_z 0
		.amdhsa_system_sgpr_workgroup_info 0
		.amdhsa_system_vgpr_workitem_id 0
		.amdhsa_next_free_vgpr 23
		.amdhsa_next_free_sgpr 16
		.amdhsa_reserve_vcc 1
		.amdhsa_float_round_mode_32 0
		.amdhsa_float_round_mode_16_64 0
		.amdhsa_float_denorm_mode_32 3
		.amdhsa_float_denorm_mode_16_64 3
		.amdhsa_dx10_clamp 1
		.amdhsa_ieee_mode 1
		.amdhsa_fp16_overflow 0
		.amdhsa_workgroup_processor_mode 1
		.amdhsa_memory_ordered 1
		.amdhsa_forward_progress 0
		.amdhsa_shared_vgpr_count 0
		.amdhsa_exception_fp_ieee_invalid_op 0
		.amdhsa_exception_fp_denorm_src 0
		.amdhsa_exception_fp_ieee_div_zero 0
		.amdhsa_exception_fp_ieee_overflow 0
		.amdhsa_exception_fp_ieee_underflow 0
		.amdhsa_exception_fp_ieee_inexact 0
		.amdhsa_exception_int_div_zero 0
	.end_amdhsa_kernel
	.section	.text._Z19sort_keys_segmentedILj256ELj32ELj4EaN10test_utils4lessEEvPKT2_PS2_PKjT3_,"axG",@progbits,_Z19sort_keys_segmentedILj256ELj32ELj4EaN10test_utils4lessEEvPKT2_PS2_PKjT3_,comdat
.Lfunc_end78:
	.size	_Z19sort_keys_segmentedILj256ELj32ELj4EaN10test_utils4lessEEvPKT2_PS2_PKjT3_, .Lfunc_end78-_Z19sort_keys_segmentedILj256ELj32ELj4EaN10test_utils4lessEEvPKT2_PS2_PKjT3_
                                        ; -- End function
	.section	.AMDGPU.csdata,"",@progbits
; Kernel info:
; codeLenInByte = 5656
; NumSgprs: 18
; NumVgprs: 23
; ScratchSize: 0
; MemoryBound: 0
; FloatMode: 240
; IeeeMode: 1
; LDSByteSize: 1032 bytes/workgroup (compile time only)
; SGPRBlocks: 2
; VGPRBlocks: 2
; NumSGPRsForWavesPerEU: 18
; NumVGPRsForWavesPerEU: 23
; Occupancy: 16
; WaveLimiterHint : 0
; COMPUTE_PGM_RSRC2:SCRATCH_EN: 0
; COMPUTE_PGM_RSRC2:USER_SGPR: 15
; COMPUTE_PGM_RSRC2:TRAP_HANDLER: 0
; COMPUTE_PGM_RSRC2:TGID_X_EN: 1
; COMPUTE_PGM_RSRC2:TGID_Y_EN: 0
; COMPUTE_PGM_RSRC2:TGID_Z_EN: 0
; COMPUTE_PGM_RSRC2:TIDIG_COMP_CNT: 0
	.section	.text._Z20sort_pairs_segmentedILj256ELj32ELj4EaN10test_utils4lessEEvPKT2_PS2_PKjT3_,"axG",@progbits,_Z20sort_pairs_segmentedILj256ELj32ELj4EaN10test_utils4lessEEvPKT2_PS2_PKjT3_,comdat
	.protected	_Z20sort_pairs_segmentedILj256ELj32ELj4EaN10test_utils4lessEEvPKT2_PS2_PKjT3_ ; -- Begin function _Z20sort_pairs_segmentedILj256ELj32ELj4EaN10test_utils4lessEEvPKT2_PS2_PKjT3_
	.globl	_Z20sort_pairs_segmentedILj256ELj32ELj4EaN10test_utils4lessEEvPKT2_PS2_PKjT3_
	.p2align	8
	.type	_Z20sort_pairs_segmentedILj256ELj32ELj4EaN10test_utils4lessEEvPKT2_PS2_PKjT3_,@function
_Z20sort_pairs_segmentedILj256ELj32ELj4EaN10test_utils4lessEEvPKT2_PS2_PKjT3_: ; @_Z20sort_pairs_segmentedILj256ELj32ELj4EaN10test_utils4lessEEvPKT2_PS2_PKjT3_
; %bb.0:
	s_clause 0x1
	s_load_b64 s[2:3], s[0:1], 0x10
	s_load_b128 s[8:11], s[0:1], 0x0
	v_lshrrev_b32_e32 v5, 5, v0
                                        ; implicit-def: $vgpr9
	s_delay_alu instid0(VALU_DEP_1) | instskip(SKIP_1) | instid1(VALU_DEP_1)
	v_lshl_or_b32 v0, s15, 3, v5
	v_mov_b32_e32 v1, 0
	v_lshlrev_b64 v[1:2], 2, v[0:1]
	s_waitcnt lgkmcnt(0)
	s_delay_alu instid0(VALU_DEP_1) | instskip(NEXT) | instid1(VALU_DEP_2)
	v_add_co_u32 v1, vcc_lo, s2, v1
	v_add_co_ci_u32_e32 v2, vcc_lo, s3, v2, vcc_lo
	global_load_b32 v4, v[1:2], off
	v_lshlrev_b32_e32 v2, 7, v0
	v_mbcnt_lo_u32_b32 v1, -1, 0
	s_delay_alu instid0(VALU_DEP_2) | instskip(NEXT) | instid1(VALU_DEP_2)
	v_add_co_u32 v0, s0, s8, v2
	v_lshlrev_b32_e32 v3, 2, v1
	v_add_co_ci_u32_e64 v1, null, s9, 0, s0
	s_delay_alu instid0(VALU_DEP_2) | instskip(NEXT) | instid1(VALU_DEP_2)
	v_add_co_u32 v0, vcc_lo, v0, v3
	v_add_co_ci_u32_e32 v1, vcc_lo, 0, v1, vcc_lo
	s_waitcnt vmcnt(0)
	v_cmp_lt_u32_e32 vcc_lo, v3, v4
	s_and_saveexec_b32 s0, vcc_lo
	s_cbranch_execz .LBB79_2
; %bb.1:
	global_load_u8 v9, v[0:1], off
.LBB79_2:
	s_or_b32 exec_lo, exec_lo, s0
	v_or_b32_e32 v6, 1, v3
                                        ; implicit-def: $vgpr11
	s_delay_alu instid0(VALU_DEP_1) | instskip(NEXT) | instid1(VALU_DEP_1)
	v_cmp_lt_u32_e64 s0, v6, v4
	s_and_saveexec_b32 s1, s0
	s_cbranch_execz .LBB79_4
; %bb.3:
	global_load_u8 v11, v[0:1], off offset:1
.LBB79_4:
	s_or_b32 exec_lo, exec_lo, s1
	v_or_b32_e32 v7, 2, v3
                                        ; implicit-def: $vgpr10
	s_delay_alu instid0(VALU_DEP_1) | instskip(NEXT) | instid1(VALU_DEP_1)
	v_cmp_lt_u32_e64 s1, v7, v4
	s_and_saveexec_b32 s2, s1
	s_cbranch_execz .LBB79_6
; %bb.5:
	global_load_u8 v10, v[0:1], off offset:2
.LBB79_6:
	s_or_b32 exec_lo, exec_lo, s2
	v_or_b32_e32 v8, 3, v3
                                        ; implicit-def: $vgpr12
	s_delay_alu instid0(VALU_DEP_1) | instskip(NEXT) | instid1(VALU_DEP_1)
	v_cmp_lt_u32_e64 s2, v8, v4
	s_and_saveexec_b32 s3, s2
	s_cbranch_execz .LBB79_8
; %bb.7:
	global_load_u8 v12, v[0:1], off offset:3
.LBB79_8:
	s_or_b32 exec_lo, exec_lo, s3
	s_waitcnt vmcnt(0)
	v_and_b32_e32 v0, 0xff, v9
	v_lshlrev_b16 v1, 8, v11
	v_and_b32_e32 v11, 0xff, v10
	v_lshlrev_b16 v12, 8, v12
	v_add_nc_u16 v9, v9, 1
	v_cmp_lt_i32_e64 s3, v6, v4
	v_or_b32_e32 v13, v0, v1
	v_or_b32_e32 v0, 0x7f00, v0
	;; [unrolled: 1-line block ×3, first 2 shown]
	v_and_b32_e32 v9, 0xff, v9
	v_add_nc_u16 v6, v10, 1
	v_and_b32_e32 v13, 0xffff, v13
	v_and_b32_e32 v0, 0xffff, v0
	v_lshlrev_b32_e32 v11, 16, v11
	v_or_b32_e32 v1, v1, v9
	v_and_b32_e32 v6, 0xff, v6
	v_and_b32_e32 v9, 0xffff, v9
	s_mov_b32 s4, exec_lo
	v_or_b32_e32 v13, v13, v11
	v_or_b32_e32 v0, v0, v11
	v_add_nc_u16 v1, v1, 0x100
	v_lshlrev_b32_e32 v6, 16, v6
	s_delay_alu instid0(VALU_DEP_3) | instskip(NEXT) | instid1(VALU_DEP_3)
	v_cndmask_b32_e64 v0, v0, v13, s3
	v_and_b32_e32 v1, 0xffff, v1
	v_cmp_lt_i32_e64 s3, v7, v4
	s_delay_alu instid0(VALU_DEP_3) | instskip(NEXT) | instid1(VALU_DEP_3)
	v_lshrrev_b32_e32 v10, 16, v0
	v_cndmask_b32_e64 v1, v9, v1, s0
	s_delay_alu instid0(VALU_DEP_2) | instskip(NEXT) | instid1(VALU_DEP_2)
	v_and_b32_e32 v10, 0xffffff00, v10
	v_or_b32_e32 v6, v1, v6
	s_delay_alu instid0(VALU_DEP_2) | instskip(NEXT) | instid1(VALU_DEP_2)
	v_or_b32_e32 v9, 0x7f, v10
	v_cndmask_b32_e64 v1, v1, v6, s1
	s_delay_alu instid0(VALU_DEP_2) | instskip(NEXT) | instid1(VALU_DEP_2)
	v_lshlrev_b32_e32 v9, 16, v9
	v_lshrrev_b32_e32 v6, 16, v1
	s_delay_alu instid0(VALU_DEP_2) | instskip(NEXT) | instid1(VALU_DEP_2)
	v_and_or_b32 v0, 0xffff, v0, v9
	v_and_b32_e32 v6, 0xff, v6
	s_delay_alu instid0(VALU_DEP_2) | instskip(NEXT) | instid1(VALU_DEP_2)
	v_cndmask_b32_e64 v0, v0, v13, s3
	v_or_b32_e32 v6, v12, v6
	v_cmp_lt_i32_e64 s3, v8, v4
	s_delay_alu instid0(VALU_DEP_3) | instskip(NEXT) | instid1(VALU_DEP_3)
	v_lshrrev_b32_e32 v7, 16, v0
	v_add_nc_u16 v6, v6, 0x100
	s_delay_alu instid0(VALU_DEP_2) | instskip(NEXT) | instid1(VALU_DEP_2)
	v_and_b32_e32 v7, 0xff, v7
	v_lshlrev_b32_e32 v6, 16, v6
	s_delay_alu instid0(VALU_DEP_2) | instskip(NEXT) | instid1(VALU_DEP_2)
	v_or_b32_e32 v7, 0x7f00, v7
	v_and_or_b32 v6, 0xffff, v1, v6
	s_delay_alu instid0(VALU_DEP_2) | instskip(NEXT) | instid1(VALU_DEP_2)
	v_lshlrev_b32_e32 v7, 16, v7
	v_cndmask_b32_e64 v6, v1, v6, s2
	s_delay_alu instid0(VALU_DEP_2) | instskip(NEXT) | instid1(VALU_DEP_1)
	v_and_or_b32 v0, 0xffff, v0, v7
	v_cndmask_b32_e64 v11, v0, v13, s3
	v_cmpx_lt_i32_e64 v3, v4
	s_cbranch_execz .LBB79_10
; %bb.9:
	s_delay_alu instid0(VALU_DEP_2) | instskip(SKIP_3) | instid1(VALU_DEP_4)
	v_lshrrev_b32_e32 v0, 8, v11
	v_bfe_i32 v1, v11, 0, 8
	v_perm_b32 v8, v11, v11, 0x7060405
	v_perm_b32 v7, v6, v6, 0x7060405
	v_bfe_i32 v0, v0, 0, 8
	s_delay_alu instid0(VALU_DEP_1) | instskip(NEXT) | instid1(VALU_DEP_1)
	v_cmp_lt_i16_e64 s3, v0, v1
	v_cndmask_b32_e64 v1, v11, v8, s3
	s_delay_alu instid0(VALU_DEP_4) | instskip(NEXT) | instid1(VALU_DEP_2)
	v_cndmask_b32_e64 v0, v6, v7, s3
	v_lshrrev_b32_e32 v7, 16, v1
	s_delay_alu instid0(VALU_DEP_2) | instskip(SKIP_1) | instid1(VALU_DEP_3)
	v_lshrrev_b32_e32 v6, 16, v0
	v_lshrrev_b32_e32 v8, 24, v1
	v_perm_b32 v9, 0, v7, 0xc0c0001
	s_delay_alu instid0(VALU_DEP_3) | instskip(NEXT) | instid1(VALU_DEP_3)
	v_perm_b32 v6, 0, v6, 0xc0c0001
	v_bfe_i32 v8, v8, 0, 8
	v_bfe_i32 v7, v7, 0, 8
	s_delay_alu instid0(VALU_DEP_4) | instskip(NEXT) | instid1(VALU_DEP_4)
	v_lshlrev_b32_e32 v9, 16, v9
	v_lshlrev_b32_e32 v6, 16, v6
	s_delay_alu instid0(VALU_DEP_3) | instskip(NEXT) | instid1(VALU_DEP_3)
	v_cmp_lt_i16_e64 s3, v8, v7
	v_and_or_b32 v9, 0xffff, v1, v9
	s_delay_alu instid0(VALU_DEP_3) | instskip(NEXT) | instid1(VALU_DEP_2)
	v_and_or_b32 v6, 0xffff, v0, v6
	v_cndmask_b32_e64 v1, v1, v9, s3
	s_delay_alu instid0(VALU_DEP_2) | instskip(SKIP_1) | instid1(VALU_DEP_3)
	v_cndmask_b32_e64 v0, v0, v6, s3
	v_min_i16 v6, v8, v7
	v_lshrrev_b32_e32 v7, 16, v1
	v_lshrrev_b16 v9, 8, v1
	s_delay_alu instid0(VALU_DEP_3) | instskip(SKIP_1) | instid1(VALU_DEP_4)
	v_lshlrev_b16 v8, 8, v6
	v_and_b32_e32 v10, 0xff, v1
	v_and_b32_e32 v7, 0xffffff00, v7
	s_delay_alu instid0(VALU_DEP_2) | instskip(SKIP_1) | instid1(VALU_DEP_3)
	v_or_b32_e32 v8, v10, v8
	v_perm_b32 v10, v0, v0, 0x7050604
	v_or_b32_e32 v7, v9, v7
	v_lshrrev_b32_e32 v9, 8, v1
	s_delay_alu instid0(VALU_DEP_4) | instskip(NEXT) | instid1(VALU_DEP_3)
	v_and_b32_e32 v8, 0xffff, v8
	v_lshlrev_b32_e32 v7, 16, v7
	s_delay_alu instid0(VALU_DEP_3) | instskip(NEXT) | instid1(VALU_DEP_2)
	v_bfe_i32 v9, v9, 0, 8
	v_or_b32_e32 v7, v8, v7
	s_delay_alu instid0(VALU_DEP_2) | instskip(SKIP_1) | instid1(VALU_DEP_2)
	v_cmp_lt_i16_e64 s3, v6, v9
	v_min_i16 v6, v6, v9
	v_cndmask_b32_e64 v1, v1, v7, s3
	s_delay_alu instid0(VALU_DEP_2) | instskip(SKIP_1) | instid1(VALU_DEP_3)
	v_and_b32_e32 v7, 0xff, v6
	v_cndmask_b32_e64 v0, v0, v10, s3
	v_lshlrev_b16 v8, 8, v1
	v_bfe_i32 v9, v1, 0, 8
	s_delay_alu instid0(VALU_DEP_2) | instskip(NEXT) | instid1(VALU_DEP_4)
	v_or_b32_e32 v7, v7, v8
	v_perm_b32 v8, 0, v0, 0xc0c0001
	s_delay_alu instid0(VALU_DEP_3) | instskip(NEXT) | instid1(VALU_DEP_3)
	v_cmp_lt_i16_e64 s3, v6, v9
	v_and_b32_e32 v7, 0xffff, v7
	s_delay_alu instid0(VALU_DEP_3) | instskip(NEXT) | instid1(VALU_DEP_2)
	v_and_or_b32 v8, 0xffff0000, v0, v8
	v_and_or_b32 v7, 0xffff0000, v1, v7
	s_delay_alu instid0(VALU_DEP_2) | instskip(NEXT) | instid1(VALU_DEP_2)
	v_cndmask_b32_e64 v0, v0, v8, s3
	v_cndmask_b32_e64 v1, v1, v7, s3
	s_delay_alu instid0(VALU_DEP_2) | instskip(NEXT) | instid1(VALU_DEP_2)
	v_lshrrev_b32_e32 v6, 16, v0
	v_lshrrev_b32_e32 v7, 16, v1
	;; [unrolled: 1-line block ×3, first 2 shown]
	s_delay_alu instid0(VALU_DEP_3) | instskip(NEXT) | instid1(VALU_DEP_3)
	v_perm_b32 v6, 0, v6, 0xc0c0001
	v_perm_b32 v9, 0, v7, 0xc0c0001
	s_delay_alu instid0(VALU_DEP_3) | instskip(SKIP_1) | instid1(VALU_DEP_4)
	v_bfe_i32 v8, v8, 0, 8
	v_bfe_i32 v7, v7, 0, 8
	v_lshlrev_b32_e32 v6, 16, v6
	s_delay_alu instid0(VALU_DEP_4) | instskip(NEXT) | instid1(VALU_DEP_3)
	v_lshlrev_b32_e32 v9, 16, v9
	v_cmp_lt_i16_e64 s3, v8, v7
	s_delay_alu instid0(VALU_DEP_3) | instskip(NEXT) | instid1(VALU_DEP_3)
	v_and_or_b32 v6, 0xffff, v0, v6
	v_and_or_b32 v9, 0xffff, v1, v9
	s_delay_alu instid0(VALU_DEP_2) | instskip(SKIP_1) | instid1(VALU_DEP_3)
	v_cndmask_b32_e64 v0, v0, v6, s3
	v_min_i16 v6, v8, v7
	v_cndmask_b32_e64 v1, v1, v9, s3
	s_delay_alu instid0(VALU_DEP_2) | instskip(NEXT) | instid1(VALU_DEP_2)
	v_lshlrev_b16 v8, 8, v6
	v_lshrrev_b32_e32 v7, 16, v1
	v_lshrrev_b16 v9, 8, v1
	v_and_b32_e32 v10, 0xff, v1
	s_delay_alu instid0(VALU_DEP_3) | instskip(NEXT) | instid1(VALU_DEP_2)
	v_and_b32_e32 v7, 0xffffff00, v7
	v_or_b32_e32 v8, v10, v8
	v_perm_b32 v10, v0, v0, 0x7050604
	s_delay_alu instid0(VALU_DEP_3) | instskip(SKIP_1) | instid1(VALU_DEP_4)
	v_or_b32_e32 v7, v9, v7
	v_lshrrev_b32_e32 v9, 8, v1
	v_and_b32_e32 v8, 0xffff, v8
	s_delay_alu instid0(VALU_DEP_3) | instskip(NEXT) | instid1(VALU_DEP_3)
	v_lshlrev_b32_e32 v7, 16, v7
	v_bfe_i32 v9, v9, 0, 8
	s_delay_alu instid0(VALU_DEP_2) | instskip(NEXT) | instid1(VALU_DEP_2)
	v_or_b32_e32 v7, v8, v7
	v_cmp_lt_i16_e64 s3, v6, v9
	s_delay_alu instid0(VALU_DEP_1) | instskip(NEXT) | instid1(VALU_DEP_3)
	v_cndmask_b32_e64 v6, v0, v10, s3
	v_cndmask_b32_e64 v11, v1, v7, s3
.LBB79_10:
	s_or_b32 exec_lo, exec_lo, s4
	v_and_b32_e32 v0, 0x78, v3
	v_and_b32_e32 v9, 4, v3
	v_mad_u32_u24 v13, 0x81, v5, v3
	s_mov_b32 s5, 0
	s_mov_b32 s4, exec_lo
	v_min_i32_e32 v8, v4, v0
	v_min_i32_e32 v9, v4, v9
	; wave barrier
	ds_store_b32 v13, v11
	v_add_nc_u32_e32 v0, 4, v8
	; wave barrier
	s_delay_alu instid0(VALU_DEP_1) | instskip(NEXT) | instid1(VALU_DEP_1)
	v_min_i32_e32 v1, v4, v0
	v_add_nc_u32_e32 v0, 4, v1
	v_sub_nc_u32_e32 v12, v1, v8
	s_delay_alu instid0(VALU_DEP_2) | instskip(NEXT) | instid1(VALU_DEP_2)
	v_min_i32_e32 v7, v4, v0
	v_min_i32_e32 v12, v9, v12
	s_delay_alu instid0(VALU_DEP_2) | instskip(NEXT) | instid1(VALU_DEP_1)
	v_sub_nc_u32_e32 v0, v7, v1
	v_sub_nc_u32_e32 v10, v9, v0
	v_cmp_ge_i32_e64 s3, v9, v0
	v_mul_u32_u24_e32 v0, 0x81, v5
	s_delay_alu instid0(VALU_DEP_2) | instskip(NEXT) | instid1(VALU_DEP_1)
	v_cndmask_b32_e64 v10, 0, v10, s3
	v_cmpx_lt_i32_e64 v10, v12
	s_cbranch_execz .LBB79_14
; %bb.11:
	s_delay_alu instid0(VALU_DEP_3)
	v_add_nc_u32_e32 v5, v0, v8
	v_add3_u32 v11, v0, v1, v9
	.p2align	6
.LBB79_12:                              ; =>This Inner Loop Header: Depth=1
	v_sub_nc_u32_e32 v13, v12, v10
	s_delay_alu instid0(VALU_DEP_1) | instskip(NEXT) | instid1(VALU_DEP_1)
	v_lshrrev_b32_e32 v14, 31, v13
	v_add_nc_u32_e32 v13, v13, v14
	s_delay_alu instid0(VALU_DEP_1) | instskip(NEXT) | instid1(VALU_DEP_1)
	v_ashrrev_i32_e32 v13, 1, v13
	v_add_nc_u32_e32 v13, v13, v10
	s_delay_alu instid0(VALU_DEP_1)
	v_add_nc_u32_e32 v14, v5, v13
	v_xad_u32 v15, v13, -1, v11
	v_add_nc_u32_e32 v16, 1, v13
	ds_load_i8 v14, v14
	ds_load_i8 v15, v15
	s_waitcnt lgkmcnt(0)
	v_cmp_lt_i16_e64 s3, v15, v14
	s_delay_alu instid0(VALU_DEP_1) | instskip(SKIP_1) | instid1(VALU_DEP_1)
	v_cndmask_b32_e64 v12, v12, v13, s3
	v_cndmask_b32_e64 v10, v16, v10, s3
	v_cmp_ge_i32_e64 s3, v10, v12
	s_delay_alu instid0(VALU_DEP_1) | instskip(NEXT) | instid1(SALU_CYCLE_1)
	s_or_b32 s5, s3, s5
	s_and_not1_b32 exec_lo, exec_lo, s5
	s_cbranch_execnz .LBB79_12
; %bb.13:
	s_or_b32 exec_lo, exec_lo, s5
.LBB79_14:
	s_delay_alu instid0(SALU_CYCLE_1) | instskip(SKIP_2) | instid1(VALU_DEP_2)
	s_or_b32 exec_lo, exec_lo, s4
	v_add_nc_u32_e32 v9, v1, v9
	v_add_nc_u32_e32 v5, v10, v8
                                        ; implicit-def: $vgpr13
	v_sub_nc_u32_e32 v8, v9, v10
	s_delay_alu instid0(VALU_DEP_2) | instskip(SKIP_1) | instid1(VALU_DEP_3)
	v_add_nc_u32_e32 v10, v0, v5
	v_cmp_le_i32_e64 s3, v1, v5
	v_add_nc_u32_e32 v9, v0, v8
	v_cmp_gt_i32_e64 s5, v7, v8
	ds_load_u8 v11, v10
	ds_load_u8 v12, v9
	s_waitcnt lgkmcnt(1)
	v_bfe_i32 v11, v11, 0, 8
	s_waitcnt lgkmcnt(0)
	v_bfe_i32 v12, v12, 0, 8
	s_delay_alu instid0(VALU_DEP_1) | instskip(NEXT) | instid1(VALU_DEP_1)
	v_cmp_lt_i16_e64 s4, v12, v11
	s_or_b32 s3, s3, s4
	s_delay_alu instid0(SALU_CYCLE_1) | instskip(NEXT) | instid1(SALU_CYCLE_1)
	s_and_b32 s3, s5, s3
	s_xor_b32 s4, s3, -1
	s_delay_alu instid0(SALU_CYCLE_1) | instskip(NEXT) | instid1(SALU_CYCLE_1)
	s_and_saveexec_b32 s5, s4
	s_xor_b32 s4, exec_lo, s5
	s_cbranch_execz .LBB79_16
; %bb.15:
	ds_load_u8 v13, v10 offset:1
                                        ; implicit-def: $vgpr9
.LBB79_16:
	s_or_saveexec_b32 s4, s4
	v_mov_b32_e32 v14, v12
	s_xor_b32 exec_lo, exec_lo, s4
	s_cbranch_execz .LBB79_18
; %bb.17:
	ds_load_u8 v14, v9 offset:1
	s_waitcnt lgkmcnt(1)
	v_mov_b32_e32 v13, v11
.LBB79_18:
	s_or_b32 exec_lo, exec_lo, s4
	v_add_nc_u32_e32 v9, 1, v5
	v_add_nc_u32_e32 v10, 1, v8
	s_waitcnt lgkmcnt(0)
	v_bfe_i32 v15, v13, 0, 8
	v_bfe_i32 v16, v14, 0, 8
	v_cndmask_b32_e64 v9, v9, v5, s3
	v_cndmask_b32_e64 v10, v8, v10, s3
	s_delay_alu instid0(VALU_DEP_3) | instskip(NEXT) | instid1(VALU_DEP_3)
	v_cmp_lt_i16_e64 s5, v16, v15
                                        ; implicit-def: $vgpr15
	v_cmp_ge_i32_e64 s4, v9, v1
	s_delay_alu instid0(VALU_DEP_3) | instskip(NEXT) | instid1(VALU_DEP_2)
	v_cmp_lt_i32_e64 s6, v10, v7
	s_or_b32 s4, s4, s5
	s_delay_alu instid0(VALU_DEP_1) | instid1(SALU_CYCLE_1)
	s_and_b32 s4, s6, s4
	s_delay_alu instid0(SALU_CYCLE_1) | instskip(NEXT) | instid1(SALU_CYCLE_1)
	s_xor_b32 s5, s4, -1
	s_and_saveexec_b32 s6, s5
	s_delay_alu instid0(SALU_CYCLE_1)
	s_xor_b32 s5, exec_lo, s6
	s_cbranch_execz .LBB79_20
; %bb.19:
	v_add_nc_u32_e32 v15, v0, v9
	ds_load_u8 v15, v15 offset:1
.LBB79_20:
	s_or_saveexec_b32 s5, s5
	v_mov_b32_e32 v16, v14
	s_xor_b32 exec_lo, exec_lo, s5
	s_cbranch_execz .LBB79_22
; %bb.21:
	s_waitcnt lgkmcnt(0)
	v_add_nc_u32_e32 v15, v0, v10
	ds_load_u8 v16, v15 offset:1
	v_mov_b32_e32 v15, v13
.LBB79_22:
	s_or_b32 exec_lo, exec_lo, s5
	v_add_nc_u32_e32 v17, 1, v9
	v_add_nc_u32_e32 v19, 1, v10
	s_waitcnt lgkmcnt(0)
	v_bfe_i32 v20, v15, 0, 8
	s_delay_alu instid0(VALU_DEP_3) | instskip(SKIP_2) | instid1(VALU_DEP_3)
	v_cndmask_b32_e64 v18, v17, v9, s4
	v_bfe_i32 v17, v16, 0, 8
	v_cndmask_b32_e64 v19, v10, v19, s4
	v_cmp_ge_i32_e64 s5, v18, v1
	s_delay_alu instid0(VALU_DEP_3) | instskip(NEXT) | instid1(VALU_DEP_3)
	v_cmp_lt_i16_e64 s6, v17, v20
	v_cmp_lt_i32_e64 s7, v19, v7
                                        ; implicit-def: $vgpr20
	s_delay_alu instid0(VALU_DEP_2)
	s_or_b32 s5, s5, s6
	s_delay_alu instid0(VALU_DEP_1) | instid1(SALU_CYCLE_1)
	s_and_b32 s5, s7, s5
	s_delay_alu instid0(SALU_CYCLE_1) | instskip(NEXT) | instid1(SALU_CYCLE_1)
	s_xor_b32 s6, s5, -1
	s_and_saveexec_b32 s7, s6
	s_delay_alu instid0(SALU_CYCLE_1)
	s_xor_b32 s6, exec_lo, s7
	s_cbranch_execz .LBB79_24
; %bb.23:
	v_add_nc_u32_e32 v17, v0, v18
	ds_load_u8 v20, v17 offset:1
.LBB79_24:
	s_or_saveexec_b32 s6, s6
	v_mov_b32_e32 v21, v16
	s_xor_b32 exec_lo, exec_lo, s6
	s_cbranch_execz .LBB79_26
; %bb.25:
	s_waitcnt lgkmcnt(0)
	v_dual_mov_b32 v20, v15 :: v_dual_add_nc_u32 v17, v0, v19
	ds_load_u8 v21, v17 offset:1
.LBB79_26:
	s_or_b32 exec_lo, exec_lo, s6
	v_add_nc_u32_e32 v17, 1, v18
	v_add_nc_u32_e32 v22, 1, v19
	v_and_b32_e32 v25, 0x70, v3
	s_waitcnt lgkmcnt(0)
	v_bfe_i32 v23, v20, 0, 8
	v_bfe_i32 v24, v21, 0, 8
	v_cndmask_b32_e64 v26, v17, v18, s5
	v_cndmask_b32_e64 v22, v19, v22, s5
	v_min_i32_e32 v17, v4, v25
	v_cndmask_b32_e64 v8, v5, v8, s3
	v_cmp_lt_i16_e64 s6, v24, v23
	v_cmp_ge_i32_e64 s7, v26, v1
	v_cmp_lt_i32_e64 s8, v22, v7
	v_cndmask_b32_e64 v7, v9, v10, s4
	v_add_nc_u32_e32 v9, 8, v17
	v_add_nc_u32_e32 v1, v0, v3
	s_or_b32 s6, s7, s6
	v_cndmask_b32_e64 v18, v18, v19, s5
	s_and_b32 s6, s8, s6
	v_min_i32_e32 v5, v4, v9
	v_cndmask_b32_e64 v9, v26, v22, s6
	; wave barrier
	ds_store_b32 v1, v6
	v_add_nc_u32_e32 v6, 8, v5
	v_add_nc_u32_e32 v8, v0, v8
	;; [unrolled: 1-line block ×3, first 2 shown]
	v_cndmask_b32_e64 v19, v20, v21, s6
	v_add_nc_u32_e32 v21, v0, v18
	v_add_nc_u32_e32 v9, v0, v9
	; wave barrier
	v_min_i32_e32 v10, v4, v6
	ds_load_u8 v6, v8
	ds_load_u8 v7, v7
	;; [unrolled: 1-line block ×4, first 2 shown]
	v_and_b32_e32 v20, 12, v3
	v_sub_nc_u32_e32 v22, v5, v17
	v_cndmask_b32_e64 v23, v15, v16, s5
	v_cndmask_b32_e64 v11, v11, v12, s3
	;; [unrolled: 1-line block ×3, first 2 shown]
	v_min_i32_e32 v18, v4, v20
	v_sub_nc_u32_e32 v20, v10, v5
	s_mov_b32 s4, exec_lo
	; wave barrier
	s_delay_alu instid0(VALU_DEP_2) | instskip(NEXT) | instid1(VALU_DEP_2)
	v_min_i32_e32 v15, v18, v22
	v_sub_nc_u32_e32 v21, v18, v20
	v_cmp_ge_i32_e64 s5, v18, v20
	ds_store_b8 v1, v11
	ds_store_b8 v1, v12 offset:1
	ds_store_b8 v1, v23 offset:2
	;; [unrolled: 1-line block ×3, first 2 shown]
	; wave barrier
	v_cndmask_b32_e64 v16, 0, v21, s5
	s_mov_b32 s5, 0
	s_delay_alu instid0(VALU_DEP_1)
	v_cmpx_lt_i32_e64 v16, v15
	s_cbranch_execz .LBB79_30
; %bb.27:
	v_add_nc_u32_e32 v11, v0, v17
	v_add3_u32 v12, v0, v5, v18
	.p2align	6
.LBB79_28:                              ; =>This Inner Loop Header: Depth=1
	v_sub_nc_u32_e32 v13, v15, v16
	s_delay_alu instid0(VALU_DEP_1) | instskip(NEXT) | instid1(VALU_DEP_1)
	v_lshrrev_b32_e32 v14, 31, v13
	v_add_nc_u32_e32 v13, v13, v14
	s_delay_alu instid0(VALU_DEP_1) | instskip(NEXT) | instid1(VALU_DEP_1)
	v_ashrrev_i32_e32 v13, 1, v13
	v_add_nc_u32_e32 v13, v13, v16
	s_delay_alu instid0(VALU_DEP_1)
	v_add_nc_u32_e32 v14, v11, v13
	v_xad_u32 v19, v13, -1, v12
	v_add_nc_u32_e32 v20, 1, v13
	ds_load_i8 v14, v14
	ds_load_i8 v19, v19
	s_waitcnt lgkmcnt(0)
	v_cmp_lt_i16_e64 s3, v19, v14
	s_delay_alu instid0(VALU_DEP_1) | instskip(SKIP_1) | instid1(VALU_DEP_1)
	v_cndmask_b32_e64 v15, v15, v13, s3
	v_cndmask_b32_e64 v16, v20, v16, s3
	v_cmp_ge_i32_e64 s3, v16, v15
	s_delay_alu instid0(VALU_DEP_1) | instskip(NEXT) | instid1(SALU_CYCLE_1)
	s_or_b32 s5, s3, s5
	s_and_not1_b32 exec_lo, exec_lo, s5
	s_cbranch_execnz .LBB79_28
; %bb.29:
	s_or_b32 exec_lo, exec_lo, s5
.LBB79_30:
	s_delay_alu instid0(SALU_CYCLE_1) | instskip(SKIP_2) | instid1(VALU_DEP_2)
	s_or_b32 exec_lo, exec_lo, s4
	v_add_nc_u32_e32 v11, v5, v18
	v_add_nc_u32_e32 v15, v16, v17
                                        ; implicit-def: $vgpr13
	v_sub_nc_u32_e32 v16, v11, v16
	s_delay_alu instid0(VALU_DEP_2) | instskip(SKIP_1) | instid1(VALU_DEP_3)
	v_add_nc_u32_e32 v14, v0, v15
	v_cmp_le_i32_e64 s3, v5, v15
	v_add_nc_u32_e32 v17, v0, v16
	v_cmp_gt_i32_e64 s5, v10, v16
	ds_load_u8 v11, v14
	ds_load_u8 v12, v17
	s_waitcnt lgkmcnt(1)
	v_bfe_i32 v11, v11, 0, 8
	s_waitcnt lgkmcnt(0)
	v_bfe_i32 v12, v12, 0, 8
	s_delay_alu instid0(VALU_DEP_1) | instskip(NEXT) | instid1(VALU_DEP_1)
	v_cmp_lt_i16_e64 s4, v12, v11
	s_or_b32 s3, s3, s4
	s_delay_alu instid0(SALU_CYCLE_1) | instskip(NEXT) | instid1(SALU_CYCLE_1)
	s_and_b32 s3, s5, s3
	s_xor_b32 s4, s3, -1
	s_delay_alu instid0(SALU_CYCLE_1) | instskip(NEXT) | instid1(SALU_CYCLE_1)
	s_and_saveexec_b32 s5, s4
	s_xor_b32 s4, exec_lo, s5
	s_cbranch_execz .LBB79_32
; %bb.31:
	ds_load_u8 v13, v14 offset:1
                                        ; implicit-def: $vgpr17
.LBB79_32:
	s_or_saveexec_b32 s4, s4
	v_mov_b32_e32 v14, v12
	s_xor_b32 exec_lo, exec_lo, s4
	s_cbranch_execz .LBB79_34
; %bb.33:
	ds_load_u8 v14, v17 offset:1
	s_waitcnt lgkmcnt(1)
	v_mov_b32_e32 v13, v11
.LBB79_34:
	s_or_b32 exec_lo, exec_lo, s4
	v_add_nc_u32_e32 v17, 1, v15
	v_add_nc_u32_e32 v18, 1, v16
	s_waitcnt lgkmcnt(0)
	v_bfe_i32 v21, v13, 0, 8
	s_delay_alu instid0(VALU_DEP_3) | instskip(SKIP_2) | instid1(VALU_DEP_3)
	v_cndmask_b32_e64 v19, v17, v15, s3
	v_bfe_i32 v17, v14, 0, 8
	v_cndmask_b32_e64 v20, v16, v18, s3
	v_cmp_ge_i32_e64 s4, v19, v5
	s_delay_alu instid0(VALU_DEP_3) | instskip(NEXT) | instid1(VALU_DEP_3)
	v_cmp_lt_i16_e64 s5, v17, v21
	v_cmp_lt_i32_e64 s6, v20, v10
                                        ; implicit-def: $vgpr17
	s_delay_alu instid0(VALU_DEP_2)
	s_or_b32 s4, s4, s5
	s_delay_alu instid0(VALU_DEP_1) | instid1(SALU_CYCLE_1)
	s_and_b32 s4, s6, s4
	s_delay_alu instid0(SALU_CYCLE_1) | instskip(NEXT) | instid1(SALU_CYCLE_1)
	s_xor_b32 s5, s4, -1
	s_and_saveexec_b32 s6, s5
	s_delay_alu instid0(SALU_CYCLE_1)
	s_xor_b32 s5, exec_lo, s6
	s_cbranch_execz .LBB79_36
; %bb.35:
	v_add_nc_u32_e32 v17, v0, v19
	ds_load_u8 v17, v17 offset:1
.LBB79_36:
	s_or_saveexec_b32 s5, s5
	v_mov_b32_e32 v18, v14
	s_xor_b32 exec_lo, exec_lo, s5
	s_cbranch_execz .LBB79_38
; %bb.37:
	s_waitcnt lgkmcnt(0)
	v_add_nc_u32_e32 v17, v0, v20
	ds_load_u8 v18, v17 offset:1
	v_mov_b32_e32 v17, v13
.LBB79_38:
	s_or_b32 exec_lo, exec_lo, s5
	v_add_nc_u32_e32 v21, 1, v19
	v_add_nc_u32_e32 v22, 1, v20
	s_waitcnt lgkmcnt(0)
	v_bfe_i32 v23, v17, 0, 8
	s_delay_alu instid0(VALU_DEP_3) | instskip(SKIP_2) | instid1(VALU_DEP_3)
	v_cndmask_b32_e64 v24, v21, v19, s4
	v_bfe_i32 v21, v18, 0, 8
	v_cndmask_b32_e64 v22, v20, v22, s4
	v_cmp_ge_i32_e64 s5, v24, v5
	s_delay_alu instid0(VALU_DEP_3) | instskip(NEXT) | instid1(VALU_DEP_3)
	v_cmp_lt_i16_e64 s6, v21, v23
	v_cmp_lt_i32_e64 s7, v22, v10
                                        ; implicit-def: $vgpr21
	s_delay_alu instid0(VALU_DEP_2)
	s_or_b32 s5, s5, s6
	s_delay_alu instid0(VALU_DEP_1) | instid1(SALU_CYCLE_1)
	s_and_b32 s5, s7, s5
	s_delay_alu instid0(SALU_CYCLE_1) | instskip(NEXT) | instid1(SALU_CYCLE_1)
	s_xor_b32 s6, s5, -1
	s_and_saveexec_b32 s7, s6
	s_delay_alu instid0(SALU_CYCLE_1)
	s_xor_b32 s6, exec_lo, s7
	s_cbranch_execz .LBB79_40
; %bb.39:
	v_add_nc_u32_e32 v21, v0, v24
	ds_load_u8 v21, v21 offset:1
.LBB79_40:
	s_or_saveexec_b32 s6, s6
	v_mov_b32_e32 v23, v18
	s_xor_b32 exec_lo, exec_lo, s6
	s_cbranch_execz .LBB79_42
; %bb.41:
	s_waitcnt lgkmcnt(0)
	v_add_nc_u32_e32 v21, v0, v22
	ds_load_u8 v23, v21 offset:1
	v_mov_b32_e32 v21, v17
.LBB79_42:
	s_or_b32 exec_lo, exec_lo, s6
	v_add_nc_u32_e32 v25, 1, v24
	v_cndmask_b32_e64 v27, v24, v22, s5
	v_add_nc_u32_e32 v26, 1, v22
	s_waitcnt lgkmcnt(0)
	v_bfe_i32 v28, v21, 0, 8
	v_bfe_i32 v29, v23, 0, 8
	v_cndmask_b32_e64 v24, v25, v24, s5
	v_and_b32_e32 v25, 0x60, v3
	v_cndmask_b32_e64 v20, v19, v20, s4
	v_cndmask_b32_e64 v22, v22, v26, s5
	v_cmp_lt_i16_e64 s6, v29, v28
	v_cmp_ge_i32_e64 s7, v24, v5
	v_min_i32_e32 v19, v4, v25
	s_delay_alu instid0(VALU_DEP_4) | instskip(SKIP_1) | instid1(VALU_DEP_4)
	v_cmp_lt_i32_e64 s8, v22, v10
	v_cndmask_b32_e64 v10, v15, v16, s3
	s_or_b32 s6, s7, s6
	s_delay_alu instid0(VALU_DEP_3) | instskip(NEXT) | instid1(VALU_DEP_3)
	v_add_nc_u32_e32 v5, 16, v19
	; wave barrier
	s_and_b32 s6, s8, s6
	ds_store_b8 v1, v6
	ds_store_b8 v1, v7 offset:1
	ds_store_b8 v1, v8 offset:2
	ds_store_b8 v1, v9 offset:3
	v_cndmask_b32_e64 v15, v24, v22, s6
	v_min_i32_e32 v5, v4, v5
	v_add_nc_u32_e32 v7, v0, v10
	v_and_b32_e32 v8, 28, v3
	v_add_nc_u32_e32 v9, v0, v20
	v_add_nc_u32_e32 v16, v0, v27
	;; [unrolled: 1-line block ×4, first 2 shown]
	; wave barrier
	v_min_i32_e32 v15, v4, v8
	s_delay_alu instid0(VALU_DEP_3)
	v_min_i32_e32 v10, v4, v6
	ds_load_u8 v6, v7
	ds_load_u8 v7, v9
	;; [unrolled: 1-line block ×4, first 2 shown]
	v_sub_nc_u32_e32 v20, v5, v19
	v_cndmask_b32_e64 v18, v17, v18, s5
	v_cndmask_b32_e64 v11, v11, v12, s3
	v_sub_nc_u32_e32 v22, v10, v5
	v_cndmask_b32_e64 v12, v13, v14, s4
	v_min_i32_e32 v17, v15, v20
	v_cndmask_b32_e64 v21, v21, v23, s6
	s_mov_b32 s4, exec_lo
	v_sub_nc_u32_e32 v16, v15, v22
	v_cmp_ge_i32_e64 s5, v15, v22
	; wave barrier
	ds_store_b8 v1, v11
	ds_store_b8 v1, v12 offset:1
	ds_store_b8 v1, v18 offset:2
	;; [unrolled: 1-line block ×3, first 2 shown]
	v_cndmask_b32_e64 v16, 0, v16, s5
	s_mov_b32 s5, 0
	; wave barrier
	s_delay_alu instid0(VALU_DEP_1)
	v_cmpx_lt_i32_e64 v16, v17
	s_cbranch_execz .LBB79_46
; %bb.43:
	v_add_nc_u32_e32 v11, v0, v19
	v_add3_u32 v12, v0, v5, v15
	.p2align	6
.LBB79_44:                              ; =>This Inner Loop Header: Depth=1
	v_sub_nc_u32_e32 v13, v17, v16
	s_delay_alu instid0(VALU_DEP_1) | instskip(NEXT) | instid1(VALU_DEP_1)
	v_lshrrev_b32_e32 v14, 31, v13
	v_add_nc_u32_e32 v13, v13, v14
	s_delay_alu instid0(VALU_DEP_1) | instskip(NEXT) | instid1(VALU_DEP_1)
	v_ashrrev_i32_e32 v13, 1, v13
	v_add_nc_u32_e32 v13, v13, v16
	s_delay_alu instid0(VALU_DEP_1)
	v_add_nc_u32_e32 v14, v11, v13
	v_xad_u32 v18, v13, -1, v12
	v_add_nc_u32_e32 v20, 1, v13
	ds_load_i8 v14, v14
	ds_load_i8 v18, v18
	s_waitcnt lgkmcnt(0)
	v_cmp_lt_i16_e64 s3, v18, v14
	s_delay_alu instid0(VALU_DEP_1) | instskip(SKIP_1) | instid1(VALU_DEP_1)
	v_cndmask_b32_e64 v17, v17, v13, s3
	v_cndmask_b32_e64 v16, v20, v16, s3
	v_cmp_ge_i32_e64 s3, v16, v17
	s_delay_alu instid0(VALU_DEP_1) | instskip(NEXT) | instid1(SALU_CYCLE_1)
	s_or_b32 s5, s3, s5
	s_and_not1_b32 exec_lo, exec_lo, s5
	s_cbranch_execnz .LBB79_44
; %bb.45:
	s_or_b32 exec_lo, exec_lo, s5
.LBB79_46:
	s_delay_alu instid0(SALU_CYCLE_1) | instskip(SKIP_2) | instid1(VALU_DEP_2)
	s_or_b32 exec_lo, exec_lo, s4
	v_add_nc_u32_e32 v11, v5, v15
	v_add_nc_u32_e32 v15, v16, v19
                                        ; implicit-def: $vgpr13
	v_sub_nc_u32_e32 v16, v11, v16
	s_delay_alu instid0(VALU_DEP_2) | instskip(SKIP_1) | instid1(VALU_DEP_3)
	v_add_nc_u32_e32 v14, v0, v15
	v_cmp_le_i32_e64 s3, v5, v15
	v_add_nc_u32_e32 v17, v0, v16
	v_cmp_gt_i32_e64 s5, v10, v16
	ds_load_u8 v11, v14
	ds_load_u8 v12, v17
	s_waitcnt lgkmcnt(1)
	v_bfe_i32 v11, v11, 0, 8
	s_waitcnt lgkmcnt(0)
	v_bfe_i32 v12, v12, 0, 8
	s_delay_alu instid0(VALU_DEP_1) | instskip(NEXT) | instid1(VALU_DEP_1)
	v_cmp_lt_i16_e64 s4, v12, v11
	s_or_b32 s3, s3, s4
	s_delay_alu instid0(SALU_CYCLE_1) | instskip(NEXT) | instid1(SALU_CYCLE_1)
	s_and_b32 s3, s5, s3
	s_xor_b32 s4, s3, -1
	s_delay_alu instid0(SALU_CYCLE_1) | instskip(NEXT) | instid1(SALU_CYCLE_1)
	s_and_saveexec_b32 s5, s4
	s_xor_b32 s4, exec_lo, s5
	s_cbranch_execz .LBB79_48
; %bb.47:
	ds_load_u8 v13, v14 offset:1
                                        ; implicit-def: $vgpr17
.LBB79_48:
	s_or_saveexec_b32 s4, s4
	v_mov_b32_e32 v14, v12
	s_xor_b32 exec_lo, exec_lo, s4
	s_cbranch_execz .LBB79_50
; %bb.49:
	ds_load_u8 v14, v17 offset:1
	s_waitcnt lgkmcnt(1)
	v_mov_b32_e32 v13, v11
.LBB79_50:
	s_or_b32 exec_lo, exec_lo, s4
	v_add_nc_u32_e32 v17, 1, v15
	v_add_nc_u32_e32 v18, 1, v16
	s_waitcnt lgkmcnt(0)
	v_bfe_i32 v21, v13, 0, 8
	s_delay_alu instid0(VALU_DEP_3) | instskip(SKIP_2) | instid1(VALU_DEP_3)
	v_cndmask_b32_e64 v19, v17, v15, s3
	v_bfe_i32 v17, v14, 0, 8
	v_cndmask_b32_e64 v20, v16, v18, s3
	v_cmp_ge_i32_e64 s4, v19, v5
	s_delay_alu instid0(VALU_DEP_3) | instskip(NEXT) | instid1(VALU_DEP_3)
	v_cmp_lt_i16_e64 s5, v17, v21
	v_cmp_lt_i32_e64 s6, v20, v10
                                        ; implicit-def: $vgpr17
	s_delay_alu instid0(VALU_DEP_2)
	s_or_b32 s4, s4, s5
	s_delay_alu instid0(VALU_DEP_1) | instid1(SALU_CYCLE_1)
	s_and_b32 s4, s6, s4
	s_delay_alu instid0(SALU_CYCLE_1) | instskip(NEXT) | instid1(SALU_CYCLE_1)
	s_xor_b32 s5, s4, -1
	s_and_saveexec_b32 s6, s5
	s_delay_alu instid0(SALU_CYCLE_1)
	s_xor_b32 s5, exec_lo, s6
	s_cbranch_execz .LBB79_52
; %bb.51:
	v_add_nc_u32_e32 v17, v0, v19
	ds_load_u8 v17, v17 offset:1
.LBB79_52:
	s_or_saveexec_b32 s5, s5
	v_mov_b32_e32 v18, v14
	s_xor_b32 exec_lo, exec_lo, s5
	s_cbranch_execz .LBB79_54
; %bb.53:
	s_waitcnt lgkmcnt(0)
	v_add_nc_u32_e32 v17, v0, v20
	ds_load_u8 v18, v17 offset:1
	v_mov_b32_e32 v17, v13
.LBB79_54:
	s_or_b32 exec_lo, exec_lo, s5
	v_add_nc_u32_e32 v21, 1, v19
	v_add_nc_u32_e32 v22, 1, v20
	s_waitcnt lgkmcnt(0)
	v_bfe_i32 v23, v17, 0, 8
	s_delay_alu instid0(VALU_DEP_3) | instskip(SKIP_2) | instid1(VALU_DEP_3)
	v_cndmask_b32_e64 v24, v21, v19, s4
	v_bfe_i32 v21, v18, 0, 8
	v_cndmask_b32_e64 v22, v20, v22, s4
	v_cmp_ge_i32_e64 s5, v24, v5
	s_delay_alu instid0(VALU_DEP_3) | instskip(NEXT) | instid1(VALU_DEP_3)
	v_cmp_lt_i16_e64 s6, v21, v23
	v_cmp_lt_i32_e64 s7, v22, v10
                                        ; implicit-def: $vgpr21
	s_delay_alu instid0(VALU_DEP_2)
	s_or_b32 s5, s5, s6
	s_delay_alu instid0(VALU_DEP_1) | instid1(SALU_CYCLE_1)
	s_and_b32 s5, s7, s5
	s_delay_alu instid0(SALU_CYCLE_1) | instskip(NEXT) | instid1(SALU_CYCLE_1)
	s_xor_b32 s6, s5, -1
	s_and_saveexec_b32 s7, s6
	s_delay_alu instid0(SALU_CYCLE_1)
	s_xor_b32 s6, exec_lo, s7
	s_cbranch_execz .LBB79_56
; %bb.55:
	v_add_nc_u32_e32 v21, v0, v24
	ds_load_u8 v21, v21 offset:1
.LBB79_56:
	s_or_saveexec_b32 s6, s6
	v_mov_b32_e32 v23, v18
	s_xor_b32 exec_lo, exec_lo, s6
	s_cbranch_execz .LBB79_58
; %bb.57:
	s_waitcnt lgkmcnt(0)
	v_add_nc_u32_e32 v21, v0, v22
	ds_load_u8 v23, v21 offset:1
	v_mov_b32_e32 v21, v17
.LBB79_58:
	s_or_b32 exec_lo, exec_lo, s6
	v_add_nc_u32_e32 v25, 1, v24
	v_cndmask_b32_e64 v27, v24, v22, s5
	v_add_nc_u32_e32 v26, 1, v22
	s_waitcnt lgkmcnt(0)
	v_bfe_i32 v28, v21, 0, 8
	v_bfe_i32 v29, v23, 0, 8
	v_cndmask_b32_e64 v24, v25, v24, s5
	v_and_b32_e32 v25, 64, v3
	v_cndmask_b32_e64 v20, v19, v20, s4
	v_cndmask_b32_e64 v22, v22, v26, s5
	v_cmp_lt_i16_e64 s6, v29, v28
	v_cmp_ge_i32_e64 s7, v24, v5
	v_min_i32_e32 v19, v4, v25
	s_delay_alu instid0(VALU_DEP_4) | instskip(SKIP_1) | instid1(VALU_DEP_4)
	v_cmp_lt_i32_e64 s8, v22, v10
	v_cndmask_b32_e64 v10, v15, v16, s3
	s_or_b32 s6, s7, s6
	s_delay_alu instid0(VALU_DEP_3) | instskip(NEXT) | instid1(VALU_DEP_3)
	v_add_nc_u32_e32 v5, 32, v19
	; wave barrier
	s_and_b32 s6, s8, s6
	ds_store_b8 v1, v6
	ds_store_b8 v1, v7 offset:1
	ds_store_b8 v1, v8 offset:2
	;; [unrolled: 1-line block ×3, first 2 shown]
	v_cndmask_b32_e64 v15, v24, v22, s6
	v_min_i32_e32 v5, v4, v5
	v_add_nc_u32_e32 v7, v0, v10
	v_and_b32_e32 v8, 60, v3
	v_add_nc_u32_e32 v9, v0, v20
	v_add_nc_u32_e32 v16, v0, v27
	;; [unrolled: 1-line block ×4, first 2 shown]
	; wave barrier
	v_min_i32_e32 v15, v4, v8
	s_delay_alu instid0(VALU_DEP_3)
	v_min_i32_e32 v10, v4, v6
	ds_load_u8 v6, v7
	ds_load_u8 v7, v9
	;; [unrolled: 1-line block ×4, first 2 shown]
	v_sub_nc_u32_e32 v20, v5, v19
	v_cndmask_b32_e64 v18, v17, v18, s5
	v_cndmask_b32_e64 v11, v11, v12, s3
	v_sub_nc_u32_e32 v22, v10, v5
	v_cndmask_b32_e64 v12, v13, v14, s4
	v_min_i32_e32 v17, v15, v20
	v_cndmask_b32_e64 v21, v21, v23, s6
	s_mov_b32 s4, exec_lo
	v_sub_nc_u32_e32 v16, v15, v22
	v_cmp_ge_i32_e64 s5, v15, v22
	; wave barrier
	ds_store_b8 v1, v11
	ds_store_b8 v1, v12 offset:1
	ds_store_b8 v1, v18 offset:2
	;; [unrolled: 1-line block ×3, first 2 shown]
	v_cndmask_b32_e64 v16, 0, v16, s5
	s_mov_b32 s5, 0
	; wave barrier
	s_delay_alu instid0(VALU_DEP_1)
	v_cmpx_lt_i32_e64 v16, v17
	s_cbranch_execz .LBB79_62
; %bb.59:
	v_add_nc_u32_e32 v11, v0, v19
	v_add3_u32 v12, v0, v5, v15
	.p2align	6
.LBB79_60:                              ; =>This Inner Loop Header: Depth=1
	v_sub_nc_u32_e32 v13, v17, v16
	s_delay_alu instid0(VALU_DEP_1) | instskip(NEXT) | instid1(VALU_DEP_1)
	v_lshrrev_b32_e32 v14, 31, v13
	v_add_nc_u32_e32 v13, v13, v14
	s_delay_alu instid0(VALU_DEP_1) | instskip(NEXT) | instid1(VALU_DEP_1)
	v_ashrrev_i32_e32 v13, 1, v13
	v_add_nc_u32_e32 v13, v13, v16
	s_delay_alu instid0(VALU_DEP_1)
	v_add_nc_u32_e32 v14, v11, v13
	v_xad_u32 v18, v13, -1, v12
	v_add_nc_u32_e32 v20, 1, v13
	ds_load_i8 v14, v14
	ds_load_i8 v18, v18
	s_waitcnt lgkmcnt(0)
	v_cmp_lt_i16_e64 s3, v18, v14
	s_delay_alu instid0(VALU_DEP_1) | instskip(SKIP_1) | instid1(VALU_DEP_1)
	v_cndmask_b32_e64 v17, v17, v13, s3
	v_cndmask_b32_e64 v16, v20, v16, s3
	v_cmp_ge_i32_e64 s3, v16, v17
	s_delay_alu instid0(VALU_DEP_1) | instskip(NEXT) | instid1(SALU_CYCLE_1)
	s_or_b32 s5, s3, s5
	s_and_not1_b32 exec_lo, exec_lo, s5
	s_cbranch_execnz .LBB79_60
; %bb.61:
	s_or_b32 exec_lo, exec_lo, s5
.LBB79_62:
	s_delay_alu instid0(SALU_CYCLE_1) | instskip(SKIP_2) | instid1(VALU_DEP_2)
	s_or_b32 exec_lo, exec_lo, s4
	v_add_nc_u32_e32 v11, v5, v15
	v_add_nc_u32_e32 v15, v16, v19
                                        ; implicit-def: $vgpr13
	v_sub_nc_u32_e32 v16, v11, v16
	s_delay_alu instid0(VALU_DEP_2) | instskip(SKIP_1) | instid1(VALU_DEP_3)
	v_add_nc_u32_e32 v14, v0, v15
	v_cmp_le_i32_e64 s3, v5, v15
	v_add_nc_u32_e32 v17, v0, v16
	v_cmp_gt_i32_e64 s5, v10, v16
	ds_load_u8 v11, v14
	ds_load_u8 v12, v17
	s_waitcnt lgkmcnt(1)
	v_bfe_i32 v11, v11, 0, 8
	s_waitcnt lgkmcnt(0)
	v_bfe_i32 v12, v12, 0, 8
	s_delay_alu instid0(VALU_DEP_1) | instskip(NEXT) | instid1(VALU_DEP_1)
	v_cmp_lt_i16_e64 s4, v12, v11
	s_or_b32 s3, s3, s4
	s_delay_alu instid0(SALU_CYCLE_1) | instskip(NEXT) | instid1(SALU_CYCLE_1)
	s_and_b32 s3, s5, s3
	s_xor_b32 s4, s3, -1
	s_delay_alu instid0(SALU_CYCLE_1) | instskip(NEXT) | instid1(SALU_CYCLE_1)
	s_and_saveexec_b32 s5, s4
	s_xor_b32 s4, exec_lo, s5
	s_cbranch_execz .LBB79_64
; %bb.63:
	ds_load_u8 v13, v14 offset:1
                                        ; implicit-def: $vgpr17
.LBB79_64:
	s_or_saveexec_b32 s4, s4
	v_mov_b32_e32 v14, v12
	s_xor_b32 exec_lo, exec_lo, s4
	s_cbranch_execz .LBB79_66
; %bb.65:
	ds_load_u8 v14, v17 offset:1
	s_waitcnt lgkmcnt(1)
	v_mov_b32_e32 v13, v11
.LBB79_66:
	s_or_b32 exec_lo, exec_lo, s4
	v_add_nc_u32_e32 v17, 1, v15
	v_add_nc_u32_e32 v18, 1, v16
	s_waitcnt lgkmcnt(0)
	v_bfe_i32 v21, v13, 0, 8
	s_delay_alu instid0(VALU_DEP_3) | instskip(SKIP_2) | instid1(VALU_DEP_3)
	v_cndmask_b32_e64 v19, v17, v15, s3
	v_bfe_i32 v17, v14, 0, 8
	v_cndmask_b32_e64 v20, v16, v18, s3
	v_cmp_ge_i32_e64 s4, v19, v5
	s_delay_alu instid0(VALU_DEP_3) | instskip(NEXT) | instid1(VALU_DEP_3)
	v_cmp_lt_i16_e64 s5, v17, v21
	v_cmp_lt_i32_e64 s6, v20, v10
                                        ; implicit-def: $vgpr17
	s_delay_alu instid0(VALU_DEP_2)
	s_or_b32 s4, s4, s5
	s_delay_alu instid0(VALU_DEP_1) | instid1(SALU_CYCLE_1)
	s_and_b32 s4, s6, s4
	s_delay_alu instid0(SALU_CYCLE_1) | instskip(NEXT) | instid1(SALU_CYCLE_1)
	s_xor_b32 s5, s4, -1
	s_and_saveexec_b32 s6, s5
	s_delay_alu instid0(SALU_CYCLE_1)
	s_xor_b32 s5, exec_lo, s6
	s_cbranch_execz .LBB79_68
; %bb.67:
	v_add_nc_u32_e32 v17, v0, v19
	ds_load_u8 v17, v17 offset:1
.LBB79_68:
	s_or_saveexec_b32 s5, s5
	v_mov_b32_e32 v18, v14
	s_xor_b32 exec_lo, exec_lo, s5
	s_cbranch_execz .LBB79_70
; %bb.69:
	s_waitcnt lgkmcnt(0)
	v_add_nc_u32_e32 v17, v0, v20
	ds_load_u8 v18, v17 offset:1
	v_mov_b32_e32 v17, v13
.LBB79_70:
	s_or_b32 exec_lo, exec_lo, s5
	v_add_nc_u32_e32 v21, 1, v19
	v_add_nc_u32_e32 v22, 1, v20
	s_waitcnt lgkmcnt(0)
	v_bfe_i32 v25, v17, 0, 8
	s_delay_alu instid0(VALU_DEP_3) | instskip(SKIP_2) | instid1(VALU_DEP_3)
	v_cndmask_b32_e64 v24, v21, v19, s4
	v_bfe_i32 v21, v18, 0, 8
	v_cndmask_b32_e64 v23, v20, v22, s4
	v_cmp_ge_i32_e64 s5, v24, v5
	s_delay_alu instid0(VALU_DEP_3) | instskip(NEXT) | instid1(VALU_DEP_3)
	v_cmp_lt_i16_e64 s6, v21, v25
	v_cmp_lt_i32_e64 s7, v23, v10
                                        ; implicit-def: $vgpr21
	s_delay_alu instid0(VALU_DEP_2)
	s_or_b32 s5, s5, s6
	s_delay_alu instid0(VALU_DEP_1) | instid1(SALU_CYCLE_1)
	s_and_b32 s5, s7, s5
	s_delay_alu instid0(SALU_CYCLE_1) | instskip(NEXT) | instid1(SALU_CYCLE_1)
	s_xor_b32 s6, s5, -1
	s_and_saveexec_b32 s7, s6
	s_delay_alu instid0(SALU_CYCLE_1)
	s_xor_b32 s6, exec_lo, s7
	s_cbranch_execz .LBB79_72
; %bb.71:
	v_add_nc_u32_e32 v21, v0, v24
	ds_load_u8 v21, v21 offset:1
.LBB79_72:
	s_or_saveexec_b32 s6, s6
	v_mov_b32_e32 v22, v18
	s_xor_b32 exec_lo, exec_lo, s6
	s_cbranch_execz .LBB79_74
; %bb.73:
	s_waitcnt lgkmcnt(0)
	v_add_nc_u32_e32 v21, v0, v23
	ds_load_u8 v22, v21 offset:1
	v_mov_b32_e32 v21, v17
.LBB79_74:
	s_or_b32 exec_lo, exec_lo, s6
	v_add_nc_u32_e32 v26, 1, v23
	v_add_nc_u32_e32 v25, 1, v24
	v_cndmask_b32_e64 v27, v24, v23, s5
	v_cndmask_b32_e64 v20, v19, v20, s4
	v_min_i32_e32 v19, 0, v4
	v_cndmask_b32_e64 v23, v23, v26, s5
	s_waitcnt lgkmcnt(0)
	v_bfe_i32 v28, v21, 0, 8
	v_bfe_i32 v29, v22, 0, 8
	v_cndmask_b32_e64 v24, v25, v24, s5
	v_cmp_lt_i32_e64 s8, v23, v10
	v_add_nc_u32_e32 v10, 64, v19
	s_delay_alu instid0(VALU_DEP_4) | instskip(NEXT) | instid1(VALU_DEP_4)
	v_cmp_lt_i16_e64 s6, v29, v28
	v_cmp_ge_i32_e64 s7, v24, v5
	v_cndmask_b32_e64 v5, v15, v16, s3
	; wave barrier
	s_delay_alu instid0(VALU_DEP_4)
	v_min_i32_e32 v10, v4, v10
	ds_store_b8 v1, v6
	ds_store_b8 v1, v7 offset:1
	ds_store_b8 v1, v8 offset:2
	;; [unrolled: 1-line block ×3, first 2 shown]
	s_or_b32 s6, s7, s6
	v_add_nc_u32_e32 v7, v0, v5
	s_and_b32 s6, s8, s6
	v_add_nc_u32_e32 v6, 64, v10
	v_cndmask_b32_e64 v15, v24, v23, s6
	v_and_b32_e32 v8, 0x7c, v3
	v_add_nc_u32_e32 v16, v0, v27
	s_delay_alu instid0(VALU_DEP_4)
	v_min_i32_e32 v5, v4, v6
	v_add_nc_u32_e32 v6, v0, v20
	v_add_nc_u32_e32 v15, v0, v15
	; wave barrier
	v_min_i32_e32 v9, v4, v8
	ds_load_u8 v4, v7
	ds_load_u8 v6, v6
	;; [unrolled: 1-line block ×4, first 2 shown]
	v_sub_nc_u32_e32 v20, v5, v10
	v_sub_nc_u32_e32 v16, v10, v19
	v_cndmask_b32_e64 v17, v17, v18, s5
	v_cndmask_b32_e64 v11, v11, v12, s3
	;; [unrolled: 1-line block ×3, first 2 shown]
	v_sub_nc_u32_e32 v15, v9, v20
	v_cmp_ge_i32_e64 s5, v9, v20
	v_min_i32_e32 v16, v9, v16
	v_cndmask_b32_e64 v21, v21, v22, s6
	s_mov_b32 s4, exec_lo
	s_delay_alu instid0(VALU_DEP_3)
	v_cndmask_b32_e64 v15, 0, v15, s5
	s_mov_b32 s5, 0
	; wave barrier
	ds_store_b8 v1, v11
	ds_store_b8 v1, v12 offset:1
	ds_store_b8 v1, v17 offset:2
	;; [unrolled: 1-line block ×3, first 2 shown]
	; wave barrier
	v_cmpx_lt_i32_e64 v15, v16
	s_cbranch_execz .LBB79_78
; %bb.75:
	v_add_nc_u32_e32 v11, v0, v19
	v_add3_u32 v12, v0, v10, v9
	.p2align	6
.LBB79_76:                              ; =>This Inner Loop Header: Depth=1
	v_sub_nc_u32_e32 v13, v16, v15
	s_delay_alu instid0(VALU_DEP_1) | instskip(NEXT) | instid1(VALU_DEP_1)
	v_lshrrev_b32_e32 v14, 31, v13
	v_add_nc_u32_e32 v13, v13, v14
	s_delay_alu instid0(VALU_DEP_1) | instskip(NEXT) | instid1(VALU_DEP_1)
	v_ashrrev_i32_e32 v13, 1, v13
	v_add_nc_u32_e32 v13, v13, v15
	s_delay_alu instid0(VALU_DEP_1)
	v_add_nc_u32_e32 v14, v11, v13
	v_xad_u32 v17, v13, -1, v12
	v_add_nc_u32_e32 v18, 1, v13
	ds_load_i8 v14, v14
	ds_load_i8 v17, v17
	s_waitcnt lgkmcnt(0)
	v_cmp_lt_i16_e64 s3, v17, v14
	s_delay_alu instid0(VALU_DEP_1) | instskip(SKIP_1) | instid1(VALU_DEP_1)
	v_cndmask_b32_e64 v16, v16, v13, s3
	v_cndmask_b32_e64 v15, v18, v15, s3
	v_cmp_ge_i32_e64 s3, v15, v16
	s_delay_alu instid0(VALU_DEP_1) | instskip(NEXT) | instid1(SALU_CYCLE_1)
	s_or_b32 s5, s3, s5
	s_and_not1_b32 exec_lo, exec_lo, s5
	s_cbranch_execnz .LBB79_76
; %bb.77:
	s_or_b32 exec_lo, exec_lo, s5
.LBB79_78:
	s_delay_alu instid0(SALU_CYCLE_1) | instskip(SKIP_2) | instid1(VALU_DEP_2)
	s_or_b32 exec_lo, exec_lo, s4
	v_add_nc_u32_e32 v9, v10, v9
	v_add_nc_u32_e32 v14, v15, v19
                                        ; implicit-def: $vgpr12
	v_sub_nc_u32_e32 v15, v9, v15
	s_delay_alu instid0(VALU_DEP_2) | instskip(SKIP_1) | instid1(VALU_DEP_3)
	v_add_nc_u32_e32 v13, v0, v14
	v_cmp_le_i32_e64 s3, v10, v14
	v_add_nc_u32_e32 v16, v0, v15
	v_cmp_gt_i32_e64 s5, v5, v15
	ds_load_u8 v9, v13
	ds_load_u8 v11, v16
	s_waitcnt lgkmcnt(1)
	v_bfe_i32 v9, v9, 0, 8
	s_waitcnt lgkmcnt(0)
	v_bfe_i32 v11, v11, 0, 8
	s_delay_alu instid0(VALU_DEP_1) | instskip(NEXT) | instid1(VALU_DEP_1)
	v_cmp_lt_i16_e64 s4, v11, v9
	s_or_b32 s3, s3, s4
	s_delay_alu instid0(SALU_CYCLE_1) | instskip(NEXT) | instid1(SALU_CYCLE_1)
	s_and_b32 s3, s5, s3
	s_xor_b32 s4, s3, -1
	s_delay_alu instid0(SALU_CYCLE_1) | instskip(NEXT) | instid1(SALU_CYCLE_1)
	s_and_saveexec_b32 s5, s4
	s_xor_b32 s4, exec_lo, s5
	s_cbranch_execz .LBB79_80
; %bb.79:
	ds_load_u8 v12, v13 offset:1
                                        ; implicit-def: $vgpr16
.LBB79_80:
	s_or_saveexec_b32 s4, s4
	v_mov_b32_e32 v13, v11
	s_xor_b32 exec_lo, exec_lo, s4
	s_cbranch_execz .LBB79_82
; %bb.81:
	ds_load_u8 v13, v16 offset:1
	s_waitcnt lgkmcnt(1)
	v_mov_b32_e32 v12, v9
.LBB79_82:
	s_or_b32 exec_lo, exec_lo, s4
	v_add_nc_u32_e32 v16, 1, v14
	v_add_nc_u32_e32 v18, 1, v15
	s_waitcnt lgkmcnt(0)
	v_bfe_i32 v19, v12, 0, 8
	s_delay_alu instid0(VALU_DEP_3) | instskip(SKIP_2) | instid1(VALU_DEP_3)
	v_cndmask_b32_e64 v17, v16, v14, s3
	v_bfe_i32 v16, v13, 0, 8
	v_cndmask_b32_e64 v18, v15, v18, s3
	v_cmp_ge_i32_e64 s4, v17, v10
	s_delay_alu instid0(VALU_DEP_3) | instskip(NEXT) | instid1(VALU_DEP_3)
	v_cmp_lt_i16_e64 s5, v16, v19
	v_cmp_lt_i32_e64 s6, v18, v5
                                        ; implicit-def: $vgpr16
	s_delay_alu instid0(VALU_DEP_2)
	s_or_b32 s4, s4, s5
	s_delay_alu instid0(VALU_DEP_1) | instid1(SALU_CYCLE_1)
	s_and_b32 s4, s6, s4
	s_delay_alu instid0(SALU_CYCLE_1) | instskip(NEXT) | instid1(SALU_CYCLE_1)
	s_xor_b32 s5, s4, -1
	s_and_saveexec_b32 s6, s5
	s_delay_alu instid0(SALU_CYCLE_1)
	s_xor_b32 s5, exec_lo, s6
	s_cbranch_execz .LBB79_84
; %bb.83:
	v_add_nc_u32_e32 v16, v0, v17
	ds_load_u8 v16, v16 offset:1
.LBB79_84:
	s_or_saveexec_b32 s5, s5
	v_mov_b32_e32 v19, v13
	s_xor_b32 exec_lo, exec_lo, s5
	s_cbranch_execz .LBB79_86
; %bb.85:
	s_waitcnt lgkmcnt(0)
	v_add_nc_u32_e32 v16, v0, v18
	ds_load_u8 v19, v16 offset:1
	v_mov_b32_e32 v16, v12
.LBB79_86:
	s_or_b32 exec_lo, exec_lo, s5
	v_add_nc_u32_e32 v20, 1, v17
	v_add_nc_u32_e32 v21, 1, v18
	s_waitcnt lgkmcnt(0)
	v_bfe_i32 v22, v16, 0, 8
	v_bfe_i32 v23, v19, 0, 8
	v_cndmask_b32_e64 v25, v20, v17, s4
	v_cndmask_b32_e64 v20, v18, v21, s4
                                        ; implicit-def: $vgpr21
	s_delay_alu instid0(VALU_DEP_3) | instskip(NEXT) | instid1(VALU_DEP_3)
	v_cmp_lt_i16_e64 s6, v23, v22
                                        ; implicit-def: $vgpr22
	v_cmp_ge_i32_e64 s5, v25, v10
	s_delay_alu instid0(VALU_DEP_3) | instskip(NEXT) | instid1(VALU_DEP_2)
	v_cmp_lt_i32_e64 s7, v20, v5
	s_or_b32 s5, s5, s6
	s_delay_alu instid0(VALU_DEP_1) | instid1(SALU_CYCLE_1)
	s_and_b32 s5, s7, s5
	s_delay_alu instid0(SALU_CYCLE_1) | instskip(NEXT) | instid1(SALU_CYCLE_1)
	s_xor_b32 s6, s5, -1
	s_and_saveexec_b32 s7, s6
	s_delay_alu instid0(SALU_CYCLE_1)
	s_xor_b32 s6, exec_lo, s7
	s_cbranch_execz .LBB79_88
; %bb.87:
	v_add_nc_u32_e32 v21, v0, v25
	ds_load_u8 v22, v21 offset:1
	v_add_nc_u32_e32 v21, 1, v25
.LBB79_88:
	s_or_saveexec_b32 s6, s6
	v_dual_mov_b32 v23, v25 :: v_dual_mov_b32 v24, v19
	s_xor_b32 exec_lo, exec_lo, s6
	s_cbranch_execz .LBB79_90
; %bb.89:
	s_waitcnt lgkmcnt(0)
	v_dual_mov_b32 v23, v20 :: v_dual_add_nc_u32 v22, 1, v20
	s_delay_alu instid0(VALU_DEP_1)
	v_dual_mov_b32 v20, v22 :: v_dual_add_nc_u32 v21, v0, v20
	v_mov_b32_e32 v22, v16
	ds_load_u8 v24, v21 offset:1
	v_mov_b32_e32 v21, v25
.LBB79_90:
	s_or_b32 exec_lo, exec_lo, s6
	v_cndmask_b32_e64 v14, v14, v15, s3
	s_delay_alu instid0(VALU_DEP_2)
	v_cmp_ge_i32_e64 s6, v21, v10
	; wave barrier
	ds_store_b8 v1, v4
	ds_store_b8 v1, v6 offset:1
	ds_store_b8 v1, v7 offset:2
	;; [unrolled: 1-line block ×3, first 2 shown]
	v_add_nc_u32_e32 v10, v0, v14
	; wave barrier
	s_waitcnt lgkmcnt(4)
	v_bfe_i32 v25, v22, 0, 8
	v_bfe_i32 v26, v24, 0, 8
	ds_load_u8 v1, v10
	v_cmp_lt_i32_e64 s8, v20, v5
	v_cndmask_b32_e64 v4, v17, v18, s4
	v_cndmask_b32_e64 v7, v9, v11, s3
	v_cmp_lt_i16_e64 s7, v26, v25
	v_add_nc_u32_e32 v8, v0, v23
	v_cndmask_b32_e64 v9, v16, v19, s5
	v_add_nc_u32_e32 v4, v0, v4
	s_delay_alu instid0(VALU_DEP_4) | instskip(NEXT) | instid1(SALU_CYCLE_1)
	s_or_b32 s6, s6, s7
	s_and_b32 s6, s8, s6
	s_delay_alu instid0(VALU_DEP_2) | instskip(SKIP_2) | instid1(VALU_DEP_2)
	v_and_b32_e32 v9, 0xff, v9
	v_cndmask_b32_e64 v6, v21, v20, s6
	v_cndmask_b32_e64 v5, v22, v24, s6
	v_add_nc_u32_e32 v0, v0, v6
	v_cndmask_b32_e64 v6, v12, v13, s4
	s_waitcnt lgkmcnt(0)
	v_add_nc_u16 v1, v1, v7
	v_and_b32_e32 v7, 0xff, v7
	v_lshlrev_b16 v5, 8, v5
	ds_load_u8 v4, v4
	ds_load_u8 v8, v8
	;; [unrolled: 1-line block ×3, first 2 shown]
	v_lshlrev_b16 v6, 8, v6
	v_and_b32_e32 v1, 0xff, v1
	v_or_b32_e32 v5, v9, v5
	s_delay_alu instid0(VALU_DEP_3) | instskip(NEXT) | instid1(VALU_DEP_3)
	v_or_b32_e32 v7, v7, v6
	v_or_b32_e32 v1, v1, v6
	s_delay_alu instid0(VALU_DEP_3) | instskip(NEXT) | instid1(VALU_DEP_3)
	v_lshlrev_b32_e32 v5, 16, v5
	v_and_b32_e32 v6, 0xffff, v7
	s_delay_alu instid0(VALU_DEP_3) | instskip(NEXT) | instid1(VALU_DEP_2)
	v_and_b32_e32 v1, 0xffff, v1
	v_or_b32_e32 v6, v6, v5
	s_delay_alu instid0(VALU_DEP_2) | instskip(NEXT) | instid1(VALU_DEP_1)
	v_or_b32_e32 v1, v1, v5
	v_cndmask_b32_e32 v1, v6, v1, vcc_lo
	s_delay_alu instid0(VALU_DEP_1) | instskip(SKIP_1) | instid1(VALU_DEP_1)
	v_lshrrev_b32_e32 v5, 8, v1
	s_waitcnt lgkmcnt(2)
	v_add_nc_u16 v4, v5, v4
	v_and_b32_e32 v5, 0xff, v1
	s_delay_alu instid0(VALU_DEP_2) | instskip(NEXT) | instid1(VALU_DEP_1)
	v_lshlrev_b16 v4, 8, v4
	v_or_b32_e32 v4, v5, v4
	s_delay_alu instid0(VALU_DEP_1) | instskip(NEXT) | instid1(VALU_DEP_1)
	v_and_b32_e32 v4, 0xffff, v4
	v_and_or_b32 v4, 0xffff0000, v1, v4
	s_delay_alu instid0(VALU_DEP_1) | instskip(NEXT) | instid1(VALU_DEP_1)
	v_cndmask_b32_e64 v1, v1, v4, s0
	v_lshrrev_b32_e32 v4, 16, v1
	s_waitcnt lgkmcnt(1)
	s_delay_alu instid0(VALU_DEP_1) | instskip(SKIP_1) | instid1(VALU_DEP_2)
	v_add_nc_u16 v5, v4, v8
	v_and_b32_e32 v4, 0xffffff00, v4
	v_and_b32_e32 v5, 0xff, v5
	s_delay_alu instid0(VALU_DEP_1) | instskip(NEXT) | instid1(VALU_DEP_1)
	v_or_b32_e32 v4, v5, v4
	v_lshlrev_b32_e32 v4, 16, v4
	s_delay_alu instid0(VALU_DEP_1) | instskip(NEXT) | instid1(VALU_DEP_1)
	v_and_or_b32 v4, 0xffff, v1, v4
	v_cndmask_b32_e64 v1, v1, v4, s1
	s_delay_alu instid0(VALU_DEP_1) | instskip(SKIP_2) | instid1(VALU_DEP_2)
	v_lshrrev_b32_e32 v4, 24, v1
	v_lshrrev_b32_e32 v5, 16, v1
	s_waitcnt lgkmcnt(0)
	v_add_nc_u16 v0, v4, v0
	s_delay_alu instid0(VALU_DEP_2) | instskip(NEXT) | instid1(VALU_DEP_2)
	v_and_b32_e32 v4, 0xff, v5
	v_lshlrev_b16 v0, 8, v0
	s_delay_alu instid0(VALU_DEP_1) | instskip(SKIP_1) | instid1(VALU_DEP_1)
	v_or_b32_e32 v0, v4, v0
	v_add_co_u32 v4, s3, s10, v2
	v_add_co_ci_u32_e64 v5, null, s11, 0, s3
	s_delay_alu instid0(VALU_DEP_3) | instskip(NEXT) | instid1(VALU_DEP_1)
	v_lshlrev_b32_e32 v0, 16, v0
	v_and_or_b32 v0, 0xffff, v1, v0
	s_delay_alu instid0(VALU_DEP_1) | instskip(SKIP_1) | instid1(VALU_DEP_1)
	v_cndmask_b32_e64 v2, v1, v0, s2
	v_add_co_u32 v0, s3, v4, v3
	v_add_co_ci_u32_e64 v1, s3, 0, v5, s3
	s_and_saveexec_b32 s3, vcc_lo
	s_cbranch_execnz .LBB79_95
; %bb.91:
	s_or_b32 exec_lo, exec_lo, s3
	s_and_saveexec_b32 s3, s0
	s_cbranch_execnz .LBB79_96
.LBB79_92:
	s_or_b32 exec_lo, exec_lo, s3
	s_and_saveexec_b32 s0, s1
	s_cbranch_execnz .LBB79_97
.LBB79_93:
	s_or_b32 exec_lo, exec_lo, s0
	s_and_saveexec_b32 s0, s2
	s_cbranch_execnz .LBB79_98
.LBB79_94:
	s_nop 0
	s_sendmsg sendmsg(MSG_DEALLOC_VGPRS)
	s_endpgm
.LBB79_95:
	global_store_b8 v[0:1], v2, off
	s_or_b32 exec_lo, exec_lo, s3
	s_and_saveexec_b32 s3, s0
	s_cbranch_execz .LBB79_92
.LBB79_96:
	v_lshrrev_b32_e32 v3, 8, v2
	global_store_b8 v[0:1], v3, off offset:1
	s_or_b32 exec_lo, exec_lo, s3
	s_and_saveexec_b32 s0, s1
	s_cbranch_execz .LBB79_93
.LBB79_97:
	global_store_d16_hi_b8 v[0:1], v2, off offset:2
	s_or_b32 exec_lo, exec_lo, s0
	s_and_saveexec_b32 s0, s2
	s_cbranch_execz .LBB79_94
.LBB79_98:
	v_lshrrev_b32_e32 v2, 24, v2
	global_store_b8 v[0:1], v2, off offset:3
	s_nop 0
	s_sendmsg sendmsg(MSG_DEALLOC_VGPRS)
	s_endpgm
	.section	.rodata,"a",@progbits
	.p2align	6, 0x0
	.amdhsa_kernel _Z20sort_pairs_segmentedILj256ELj32ELj4EaN10test_utils4lessEEvPKT2_PS2_PKjT3_
		.amdhsa_group_segment_fixed_size 1032
		.amdhsa_private_segment_fixed_size 0
		.amdhsa_kernarg_size 28
		.amdhsa_user_sgpr_count 15
		.amdhsa_user_sgpr_dispatch_ptr 0
		.amdhsa_user_sgpr_queue_ptr 0
		.amdhsa_user_sgpr_kernarg_segment_ptr 1
		.amdhsa_user_sgpr_dispatch_id 0
		.amdhsa_user_sgpr_private_segment_size 0
		.amdhsa_wavefront_size32 1
		.amdhsa_uses_dynamic_stack 0
		.amdhsa_enable_private_segment 0
		.amdhsa_system_sgpr_workgroup_id_x 1
		.amdhsa_system_sgpr_workgroup_id_y 0
		.amdhsa_system_sgpr_workgroup_id_z 0
		.amdhsa_system_sgpr_workgroup_info 0
		.amdhsa_system_vgpr_workitem_id 0
		.amdhsa_next_free_vgpr 30
		.amdhsa_next_free_sgpr 16
		.amdhsa_reserve_vcc 1
		.amdhsa_float_round_mode_32 0
		.amdhsa_float_round_mode_16_64 0
		.amdhsa_float_denorm_mode_32 3
		.amdhsa_float_denorm_mode_16_64 3
		.amdhsa_dx10_clamp 1
		.amdhsa_ieee_mode 1
		.amdhsa_fp16_overflow 0
		.amdhsa_workgroup_processor_mode 1
		.amdhsa_memory_ordered 1
		.amdhsa_forward_progress 0
		.amdhsa_shared_vgpr_count 0
		.amdhsa_exception_fp_ieee_invalid_op 0
		.amdhsa_exception_fp_denorm_src 0
		.amdhsa_exception_fp_ieee_div_zero 0
		.amdhsa_exception_fp_ieee_overflow 0
		.amdhsa_exception_fp_ieee_underflow 0
		.amdhsa_exception_fp_ieee_inexact 0
		.amdhsa_exception_int_div_zero 0
	.end_amdhsa_kernel
	.section	.text._Z20sort_pairs_segmentedILj256ELj32ELj4EaN10test_utils4lessEEvPKT2_PS2_PKjT3_,"axG",@progbits,_Z20sort_pairs_segmentedILj256ELj32ELj4EaN10test_utils4lessEEvPKT2_PS2_PKjT3_,comdat
.Lfunc_end79:
	.size	_Z20sort_pairs_segmentedILj256ELj32ELj4EaN10test_utils4lessEEvPKT2_PS2_PKjT3_, .Lfunc_end79-_Z20sort_pairs_segmentedILj256ELj32ELj4EaN10test_utils4lessEEvPKT2_PS2_PKjT3_
                                        ; -- End function
	.section	.AMDGPU.csdata,"",@progbits
; Kernel info:
; codeLenInByte = 6924
; NumSgprs: 18
; NumVgprs: 30
; ScratchSize: 0
; MemoryBound: 0
; FloatMode: 240
; IeeeMode: 1
; LDSByteSize: 1032 bytes/workgroup (compile time only)
; SGPRBlocks: 2
; VGPRBlocks: 3
; NumSGPRsForWavesPerEU: 18
; NumVGPRsForWavesPerEU: 30
; Occupancy: 16
; WaveLimiterHint : 0
; COMPUTE_PGM_RSRC2:SCRATCH_EN: 0
; COMPUTE_PGM_RSRC2:USER_SGPR: 15
; COMPUTE_PGM_RSRC2:TRAP_HANDLER: 0
; COMPUTE_PGM_RSRC2:TGID_X_EN: 1
; COMPUTE_PGM_RSRC2:TGID_Y_EN: 0
; COMPUTE_PGM_RSRC2:TGID_Z_EN: 0
; COMPUTE_PGM_RSRC2:TIDIG_COMP_CNT: 0
	.section	.text._Z9sort_keysILj256ELj32ELj8EaN10test_utils4lessEEvPKT2_PS2_T3_,"axG",@progbits,_Z9sort_keysILj256ELj32ELj8EaN10test_utils4lessEEvPKT2_PS2_T3_,comdat
	.protected	_Z9sort_keysILj256ELj32ELj8EaN10test_utils4lessEEvPKT2_PS2_T3_ ; -- Begin function _Z9sort_keysILj256ELj32ELj8EaN10test_utils4lessEEvPKT2_PS2_T3_
	.globl	_Z9sort_keysILj256ELj32ELj8EaN10test_utils4lessEEvPKT2_PS2_T3_
	.p2align	8
	.type	_Z9sort_keysILj256ELj32ELj8EaN10test_utils4lessEEvPKT2_PS2_T3_,@function
_Z9sort_keysILj256ELj32ELj8EaN10test_utils4lessEEvPKT2_PS2_T3_: ; @_Z9sort_keysILj256ELj32ELj8EaN10test_utils4lessEEvPKT2_PS2_T3_
; %bb.0:
	s_load_b128 s[8:11], s[0:1], 0x0
	s_lshl_b32 s12, s15, 11
	v_lshlrev_b32_e32 v1, 3, v0
	v_lshrrev_b32_e32 v0, 5, v0
	s_waitcnt lgkmcnt(0)
	s_add_u32 s0, s8, s12
	s_addc_u32 s1, s9, 0
	global_load_b64 v[2:3], v1, s[0:1]
	; wave barrier
	s_waitcnt vmcnt(0)
	v_lshrrev_b32_e32 v4, 8, v2
	v_bfe_i32 v5, v2, 0, 8
	v_perm_b32 v6, v2, v2, 0x3020405
	s_delay_alu instid0(VALU_DEP_3) | instskip(NEXT) | instid1(VALU_DEP_1)
	v_bfe_i32 v4, v4, 0, 8
	v_cmp_lt_i16_e32 vcc_lo, v4, v5
	s_delay_alu instid0(VALU_DEP_3) | instskip(NEXT) | instid1(VALU_DEP_1)
	v_cndmask_b32_e32 v2, v2, v6, vcc_lo
	v_lshrrev_b32_e32 v6, 16, v2
	v_lshrrev_b32_e32 v8, 24, v2
	s_delay_alu instid0(VALU_DEP_2) | instskip(NEXT) | instid1(VALU_DEP_2)
	v_perm_b32 v7, 0, v6, 0xc0c0001
	v_bfe_i32 v8, v8, 0, 8
	v_bfe_i32 v6, v6, 0, 8
	s_delay_alu instid0(VALU_DEP_3) | instskip(NEXT) | instid1(VALU_DEP_2)
	v_lshlrev_b32_e32 v7, 16, v7
	v_cmp_lt_i16_e32 vcc_lo, v8, v6
	v_min_i16 v9, v8, v6
	v_max_i16 v6, v8, v6
	s_delay_alu instid0(VALU_DEP_4) | instskip(NEXT) | instid1(VALU_DEP_3)
	v_and_or_b32 v7, 0xffff, v2, v7
	v_lshlrev_b16 v12, 8, v9
	s_delay_alu instid0(VALU_DEP_2) | instskip(SKIP_2) | instid1(VALU_DEP_3)
	v_cndmask_b32_e32 v2, v2, v7, vcc_lo
	v_max_i16 v7, v4, v5
	v_min_i16 v4, v4, v5
	v_lshrrev_b32_e32 v10, 16, v2
	s_delay_alu instid0(VALU_DEP_3)
	v_and_b32_e32 v11, 0xff, v7
	v_and_b32_e32 v13, 0xff, v2
	v_cmp_lt_i16_e32 vcc_lo, v9, v7
	v_min_i16 v5, v9, v7
	v_and_b32_e32 v10, 0xffffff00, v10
	v_lshlrev_b16 v8, 8, v4
	v_or_b32_e32 v12, v13, v12
	v_max_i16 v7, v9, v7
	s_delay_alu instid0(VALU_DEP_4) | instskip(NEXT) | instid1(VALU_DEP_3)
	v_or_b32_e32 v10, v11, v10
	v_and_b32_e32 v11, 0xffff, v12
	v_lshrrev_b32_e32 v12, 8, v3
	s_delay_alu instid0(VALU_DEP_4) | instskip(NEXT) | instid1(VALU_DEP_4)
	v_lshlrev_b16 v17, 8, v7
	v_lshlrev_b32_e32 v10, 16, v10
	s_delay_alu instid0(VALU_DEP_3) | instskip(NEXT) | instid1(VALU_DEP_2)
	v_bfe_i32 v12, v12, 0, 8
	v_or_b32_e32 v10, v11, v10
	v_bfe_i32 v11, v3, 0, 8
	s_delay_alu instid0(VALU_DEP_2) | instskip(NEXT) | instid1(VALU_DEP_2)
	v_cndmask_b32_e32 v2, v2, v10, vcc_lo
	v_min_i16 v10, v12, v11
	v_cmp_lt_i16_e64 s0, v12, v11
	v_max_i16 v11, v12, v11
	s_delay_alu instid0(VALU_DEP_4) | instskip(NEXT) | instid1(VALU_DEP_4)
	v_lshrrev_b32_e32 v13, 16, v2
	v_lshlrev_b16 v14, 8, v10
	v_cmp_lt_i16_e32 vcc_lo, v10, v6
	v_min_i16 v15, v10, v6
	s_delay_alu instid0(VALU_DEP_4) | instskip(NEXT) | instid1(VALU_DEP_2)
	v_and_b32_e32 v13, 0xff, v13
	v_and_b32_e32 v16, 0xff, v15
	s_delay_alu instid0(VALU_DEP_2) | instskip(SKIP_1) | instid1(VALU_DEP_2)
	v_or_b32_e32 v13, v13, v14
	v_and_b32_e32 v14, 0xff, v5
	v_lshlrev_b32_e32 v13, 16, v13
	s_delay_alu instid0(VALU_DEP_2) | instskip(SKIP_1) | instid1(VALU_DEP_3)
	v_or_b32_e32 v8, v14, v8
	v_perm_b32 v14, v3, v3, 0x7060405
	v_and_or_b32 v13, 0xffff, v2, v13
	s_delay_alu instid0(VALU_DEP_3) | instskip(NEXT) | instid1(VALU_DEP_3)
	v_and_b32_e32 v8, 0xffff, v8
	v_cndmask_b32_e64 v3, v3, v14, s0
	v_cmp_lt_i16_e64 s0, v9, v4
	s_delay_alu instid0(VALU_DEP_4) | instskip(SKIP_1) | instid1(VALU_DEP_4)
	v_cndmask_b32_e32 v2, v2, v13, vcc_lo
	v_or_b32_e32 v13, v16, v17
	v_lshrrev_b32_e32 v12, 24, v3
	v_lshrrev_b32_e32 v14, 16, v3
	v_cndmask_b32_e64 v16, v5, v4, s0
	v_and_or_b32 v8, 0xffff0000, v2, v8
	v_lshlrev_b32_e32 v13, 16, v13
	v_cndmask_b32_e64 v4, v4, v5, s0
	v_bfe_i32 v9, v14, 0, 8
	v_and_b32_e32 v19, 0xff, v16
	v_cndmask_b32_e64 v2, v2, v8, s0
	v_bfe_i32 v8, v12, 0, 8
	v_perm_b32 v12, v3, v3, 0x6070504
	v_and_b32_e32 v14, 0xff, v11
	s_delay_alu instid0(VALU_DEP_4) | instskip(NEXT) | instid1(VALU_DEP_4)
	v_and_or_b32 v13, 0xffff, v2, v13
	v_cmp_lt_i16_e64 s1, v8, v9
	s_delay_alu instid0(VALU_DEP_1) | instskip(SKIP_3) | instid1(VALU_DEP_4)
	v_cndmask_b32_e64 v3, v3, v12, s1
	v_cmp_lt_i16_e64 s1, v15, v7
	v_max_i16 v12, v8, v9
	v_min_i16 v8, v8, v9
	v_perm_b32 v17, v6, v3, 0x3020104
	s_delay_alu instid0(VALU_DEP_4)
	v_cndmask_b32_e64 v2, v2, v13, s1
	v_min_i16 v13, v15, v7
	v_max_i16 v6, v10, v6
	v_min_i16 v21, v8, v11
	v_cndmask_b32_e32 v3, v3, v17, vcc_lo
	v_lshrrev_b32_e32 v9, 16, v2
	v_lshlrev_b16 v18, 8, v13
	v_and_b32_e32 v20, 0xff, v2
	v_cmp_lt_i16_e64 s1, v13, v16
	v_lshrrev_b32_e32 v27, 16, v3
	v_and_b32_e32 v9, 0xffffff00, v9
	v_lshlrev_b16 v10, 8, v8
	v_or_b32_e32 v18, v20, v18
	v_min_i16 v5, v13, v16
	v_and_b32_e32 v28, 0xff, v3
	v_or_b32_e32 v9, v19, v9
	v_and_b32_e32 v22, 0xff, v21
	v_and_b32_e32 v18, 0xffff, v18
	v_lshlrev_b16 v23, 8, v6
	v_max_i16 v7, v15, v7
	v_lshlrev_b32_e32 v9, 16, v9
	v_and_b32_e32 v29, 0xff, v5
	v_or_b32_e32 v10, v28, v10
	v_or_b32_e32 v22, v22, v23
	v_max_i16 v13, v13, v16
	v_or_b32_e32 v9, v18, v9
	v_min_i16 v18, v21, v6
	v_and_b32_e32 v10, 0xffff, v10
	v_max_i16 v19, v8, v11
	v_and_b32_e32 v17, 0xffff, v22
	v_cndmask_b32_e64 v2, v2, v9, s1
	v_lshlrev_b16 v9, 8, v18
	v_min_i16 v25, v18, v7
	v_cmp_lt_i16_e32 vcc_lo, v18, v7
	v_cmp_lt_i16_e64 s0, v8, v11
	v_lshrrev_b32_e32 v26, 16, v2
	v_and_b32_e32 v20, 0xff, v12
	v_and_b32_e32 v22, 0xff, v25
	v_lshlrev_b16 v15, 8, v19
	v_max_i16 v23, v18, v7
	v_and_b32_e32 v26, 0xff, v26
	v_min_i16 v18, v5, v4
	v_max_i16 v24, v21, v6
	v_or_b32_e32 v15, v20, v15
	s_mov_b32 s1, exec_lo
	v_or_b32_e32 v9, v26, v9
	v_and_b32_e32 v26, 0xffffff00, v27
	v_lshlrev_b16 v27, 8, v4
	v_lshlrev_b32_e32 v15, 16, v15
	v_and_b32_e32 v20, 0xff, v24
	v_lshlrev_b32_e32 v9, 16, v9
	v_or_b32_e32 v14, v14, v26
	v_or_b32_e32 v16, v29, v27
	v_lshlrev_b16 v26, 8, v13
	s_delay_alu instid0(VALU_DEP_4) | instskip(NEXT) | instid1(VALU_DEP_4)
	v_and_or_b32 v9, 0xffff, v2, v9
	v_lshlrev_b32_e32 v14, 16, v14
	s_delay_alu instid0(VALU_DEP_4) | instskip(NEXT) | instid1(VALU_DEP_3)
	v_and_b32_e32 v16, 0xffff, v16
	v_cndmask_b32_e32 v2, v2, v9, vcc_lo
	s_delay_alu instid0(VALU_DEP_3) | instskip(SKIP_2) | instid1(VALU_DEP_4)
	v_or_b32_e32 v10, v10, v14
	v_or_b32_e32 v14, v22, v26
	v_lshlrev_b16 v9, 8, v23
	v_and_or_b32 v16, 0xffff0000, v2, v16
	s_delay_alu instid0(VALU_DEP_4)
	v_cndmask_b32_e64 v3, v3, v10, s0
	v_cmp_lt_i16_e64 s0, v5, v4
	v_lshlrev_b32_e32 v8, 16, v14
	v_max_i16 v4, v5, v4
	v_min_i16 v14, v25, v13
	v_and_or_b32 v5, 0xffff0000, v3, v17
	v_cndmask_b32_e64 v2, v2, v16, s0
	v_cmp_lt_i16_e64 s0, v21, v6
	v_max_i16 v10, v25, v13
	v_lshlrev_b16 v6, 8, v14
	s_delay_alu instid0(VALU_DEP_4) | instskip(NEXT) | instid1(VALU_DEP_4)
	v_and_or_b32 v8, 0xffff, v2, v8
	v_cndmask_b32_e64 v3, v3, v5, s0
	v_cmp_lt_i16_e64 s0, v25, v13
	v_and_b32_e32 v5, 0xff, v4
	v_max_i16 v13, v14, v4
	s_delay_alu instid0(VALU_DEP_3)
	v_cndmask_b32_e64 v2, v2, v8, s0
	v_and_or_b32 v8, 0xffff, v3, v15
	v_cmp_gt_i16_e64 s0, v11, v12
	v_min_i16 v15, v14, v4
	v_lshlrev_b16 v21, 8, v13
	v_lshrrev_b32_e32 v16, 16, v2
	v_and_b32_e32 v11, 0xff, v2
	v_cndmask_b32_e64 v3, v3, v8, s0
	v_lshlrev_b16 v8, 8, v18
	v_and_b32_e32 v17, 0xff, v15
	v_and_b32_e32 v16, 0xffffff00, v16
	v_or_b32_e32 v6, v11, v6
	v_perm_b32 v7, v7, v3, 0x3020104
	v_cndmask_b32_e64 v11, v12, v19, s0
	v_or_b32_e32 v8, v17, v8
	v_or_b32_e32 v5, v5, v16
	s_delay_alu instid0(VALU_DEP_4) | instskip(SKIP_2) | instid1(VALU_DEP_4)
	v_dual_cndmask_b32 v3, v3, v7 :: v_dual_and_b32 v6, 0xffff, v6
	v_cndmask_b32_e64 v7, v19, v12, s0
	v_cmp_lt_i16_e32 vcc_lo, v14, v4
	v_lshlrev_b32_e32 v5, 16, v5
	s_delay_alu instid0(VALU_DEP_4) | instskip(NEXT) | instid1(VALU_DEP_4)
	v_lshrrev_b32_e32 v12, 16, v3
	v_lshlrev_b16 v16, 8, v7
	v_min_i16 v19, v7, v24
	s_delay_alu instid0(VALU_DEP_4) | instskip(SKIP_3) | instid1(VALU_DEP_4)
	v_or_b32_e32 v5, v6, v5
	v_and_b32_e32 v6, 0xff, v3
	v_and_b32_e32 v12, 0xffffff00, v12
	v_max_i16 v17, v7, v24
	v_cndmask_b32_e32 v2, v2, v5, vcc_lo
	s_delay_alu instid0(VALU_DEP_4) | instskip(NEXT) | instid1(VALU_DEP_4)
	v_or_b32_e32 v4, v6, v16
	v_or_b32_e32 v5, v20, v12
	v_and_b32_e32 v6, 0xff, v19
	v_min_i16 v12, v19, v23
	v_lshrrev_b32_e32 v16, 16, v2
	v_and_b32_e32 v4, 0xffff, v4
	v_lshlrev_b32_e32 v5, 16, v5
	v_or_b32_e32 v6, v6, v9
	v_lshlrev_b16 v9, 8, v12
	v_and_b32_e32 v16, 0xff, v16
	v_cmp_lt_i16_e32 vcc_lo, v7, v24
	v_or_b32_e32 v4, v4, v5
	v_and_b32_e32 v20, 0xff, v11
	v_lshlrev_b16 v5, 8, v17
	v_and_b32_e32 v6, 0xffff, v6
	v_or_b32_e32 v9, v16, v9
	v_cndmask_b32_e32 v3, v3, v4, vcc_lo
	v_cmp_lt_i16_e32 vcc_lo, v19, v23
	v_or_b32_e32 v5, v20, v5
	v_and_b32_e32 v4, 0xffff, v8
	v_lshlrev_b32_e32 v7, 16, v9
	v_and_or_b32 v6, 0xffff0000, v3, v6
	v_min_i16 v9, v12, v10
	v_lshlrev_b32_e32 v5, 16, v5
	v_cmp_lt_i16_e64 s0, v11, v17
	v_and_or_b32 v7, 0xffff, v2, v7
	v_cndmask_b32_e32 v3, v3, v6, vcc_lo
	v_cmp_lt_i16_e32 vcc_lo, v12, v10
	v_and_b32_e32 v6, 0xff, v9
	v_max_i16 v8, v19, v23
	v_min_i16 v16, v11, v17
	v_and_or_b32 v5, 0xffff, v3, v5
	v_cndmask_b32_e32 v2, v2, v7, vcc_lo
	v_or_b32_e32 v6, v6, v21
	v_max_i16 v7, v11, v17
	v_lshlrev_b16 v11, 8, v16
	v_cndmask_b32_e64 v3, v3, v5, s0
	v_and_or_b32 v4, 0xffff0000, v2, v4
	v_cmp_lt_i16_e64 s0, v14, v18
	v_lshlrev_b32_e32 v5, 16, v6
	s_delay_alu instid0(VALU_DEP_4) | instskip(SKIP_1) | instid1(VALU_DEP_4)
	v_perm_b32 v6, v10, v3, 0x3020104
	v_max_i16 v10, v12, v10
	v_cndmask_b32_e64 v2, v2, v4, s0
	v_and_b32_e32 v4, 0xff, v8
	v_cndmask_b32_e64 v15, v15, v18, s0
	v_cndmask_b32_e32 v3, v3, v6, vcc_lo
	v_cmp_lt_i16_e32 vcc_lo, v9, v13
	v_and_or_b32 v5, 0xffff, v2, v5
	v_min_i16 v6, v9, v13
	v_and_b32_e32 v20, 0xff, v15
	v_lshrrev_b32_e32 v14, 16, v3
	s_delay_alu instid0(VALU_DEP_4) | instskip(NEXT) | instid1(VALU_DEP_4)
	v_dual_cndmask_b32 v2, v2, v5 :: v_dual_and_b32 v19, 0xff, v3
	v_lshlrev_b16 v17, 8, v6
	v_min_i16 v5, v16, v8
	s_delay_alu instid0(VALU_DEP_4) | instskip(NEXT) | instid1(VALU_DEP_4)
	v_and_b32_e32 v14, 0xffffff00, v14
	v_or_b32_e32 v11, v19, v11
	v_lshrrev_b32_e32 v18, 16, v2
	v_and_b32_e32 v21, 0xff, v2
	v_and_b32_e32 v22, 0xff, v5
	v_or_b32_e32 v4, v4, v14
	v_and_b32_e32 v11, 0xffff, v11
	v_and_b32_e32 v18, 0xffffff00, v18
	v_or_b32_e32 v14, v21, v17
	v_cmp_lt_i16_e32 vcc_lo, v16, v8
	v_lshlrev_b32_e32 v4, 16, v4
	v_max_i16 v12, v16, v8
	v_or_b32_e32 v17, v20, v18
	v_lshlrev_b16 v18, 8, v10
	v_and_b32_e32 v14, 0xffff, v14
	v_or_b32_e32 v4, v11, v4
	v_and_b32_e32 v19, 0xff, v7
	v_lshlrev_b32_e32 v17, 16, v17
	v_or_b32_e32 v18, v22, v18
	v_lshlrev_b16 v11, 8, v12
	v_cndmask_b32_e32 v3, v3, v4, vcc_lo
	v_cmp_lt_i16_e32 vcc_lo, v6, v15
	v_or_b32_e32 v14, v14, v17
	v_and_b32_e32 v17, 0xffff, v18
	v_min_i16 v4, v5, v10
	v_or_b32_e32 v6, v19, v11
	v_max_i16 v9, v9, v13
	v_cndmask_b32_e32 v2, v2, v14, vcc_lo
	v_and_or_b32 v11, 0xffff0000, v3, v17
	v_cmp_lt_i16_e32 vcc_lo, v5, v10
	v_lshlrev_b16 v15, 8, v4
	v_lshlrev_b32_e32 v6, 16, v6
	v_lshrrev_b32_e32 v14, 16, v2
	v_cmp_lt_i16_e64 s0, v4, v9
	v_cndmask_b32_e32 v3, v3, v11, vcc_lo
	v_cmp_gt_i16_e32 vcc_lo, v8, v7
	v_mbcnt_lo_u32_b32 v4, -1, 0
	v_and_b32_e32 v11, 0xff, v14
	v_max_i16 v10, v5, v10
	v_and_or_b32 v6, 0xffff, v3, v6
	v_cndmask_b32_e32 v12, v12, v7, vcc_lo
	s_delay_alu instid0(VALU_DEP_4) | instskip(NEXT) | instid1(VALU_DEP_3)
	v_or_b32_e32 v11, v11, v15
	v_cndmask_b32_e32 v3, v3, v6, vcc_lo
	s_delay_alu instid0(VALU_DEP_3) | instskip(NEXT) | instid1(VALU_DEP_3)
	v_lshlrev_b16 v7, 8, v12
	v_lshlrev_b32_e32 v6, 16, v11
	s_delay_alu instid0(VALU_DEP_3) | instskip(NEXT) | instid1(VALU_DEP_2)
	v_perm_b32 v8, v9, v3, 0x3020104
	v_and_or_b32 v6, 0xffff, v2, v6
	s_delay_alu instid0(VALU_DEP_2) | instskip(NEXT) | instid1(VALU_DEP_2)
	v_cndmask_b32_e64 v11, v3, v8, s0
	v_cndmask_b32_e64 v9, v2, v6, s0
	v_lshlrev_b32_e32 v2, 3, v4
	s_delay_alu instid0(VALU_DEP_3)
	v_lshrrev_b32_e32 v3, 16, v11
	v_and_b32_e32 v6, 0xff, v10
	v_and_b32_e32 v8, 0xff, v11
	s_mov_b32 s0, 0
	v_and_b32_e32 v5, 0xf0, v2
	v_and_b32_e32 v13, 0xffffff00, v3
	v_mad_u32_u24 v16, 0x101, v0, v2
	v_or_b32_e32 v7, v8, v7
	v_mul_u32_u24_e32 v0, 0x101, v0
	v_or_b32_e32 v4, 8, v5
	v_add_nc_u32_e32 v3, 16, v5
	v_or_b32_e32 v8, v6, v13
	v_and_b32_e32 v6, 8, v2
	v_and_b32_e32 v7, 0xffff, v7
	v_sub_nc_u32_e32 v14, v4, v5
	v_sub_nc_u32_e32 v13, v3, v4
	v_lshlrev_b32_e32 v8, 16, v8
	s_delay_alu instid0(VALU_DEP_2) | instskip(SKIP_1) | instid1(VALU_DEP_3)
	v_sub_nc_u32_e32 v15, v6, v13
	v_cmp_ge_i32_e32 vcc_lo, v6, v13
	v_or_b32_e32 v17, v7, v8
	v_min_i32_e32 v8, v6, v14
	s_delay_alu instid0(VALU_DEP_4) | instskip(SKIP_1) | instid1(VALU_DEP_4)
	v_cndmask_b32_e32 v7, 0, v15, vcc_lo
	v_cmp_lt_i16_e32 vcc_lo, v12, v10
	v_cndmask_b32_e32 v10, v11, v17, vcc_lo
	ds_store_b64 v16, v[9:10]
	; wave barrier
	v_cmpx_lt_i32_e64 v7, v8
	s_cbranch_execz .LBB80_4
; %bb.1:
	v_add_nc_u32_e32 v9, v0, v5
	v_add3_u32 v10, v0, v4, v6
	.p2align	6
.LBB80_2:                               ; =>This Inner Loop Header: Depth=1
	v_sub_nc_u32_e32 v11, v8, v7
	s_delay_alu instid0(VALU_DEP_1) | instskip(NEXT) | instid1(VALU_DEP_1)
	v_lshrrev_b32_e32 v12, 31, v11
	v_add_nc_u32_e32 v11, v11, v12
	s_delay_alu instid0(VALU_DEP_1) | instskip(NEXT) | instid1(VALU_DEP_1)
	v_ashrrev_i32_e32 v11, 1, v11
	v_add_nc_u32_e32 v11, v11, v7
	s_delay_alu instid0(VALU_DEP_1)
	v_add_nc_u32_e32 v12, v9, v11
	v_xad_u32 v13, v11, -1, v10
	v_add_nc_u32_e32 v14, 1, v11
	ds_load_i8 v12, v12
	ds_load_i8 v13, v13
	s_waitcnt lgkmcnt(0)
	v_cmp_lt_i16_e32 vcc_lo, v13, v12
	v_cndmask_b32_e32 v8, v8, v11, vcc_lo
	v_cndmask_b32_e32 v7, v14, v7, vcc_lo
	s_delay_alu instid0(VALU_DEP_1) | instskip(SKIP_1) | instid1(SALU_CYCLE_1)
	v_cmp_ge_i32_e32 vcc_lo, v7, v8
	s_or_b32 s0, vcc_lo, s0
	s_and_not1_b32 exec_lo, exec_lo, s0
	s_cbranch_execnz .LBB80_2
; %bb.3:
	s_or_b32 exec_lo, exec_lo, s0
.LBB80_4:
	s_delay_alu instid0(SALU_CYCLE_1) | instskip(SKIP_2) | instid1(VALU_DEP_2)
	s_or_b32 exec_lo, exec_lo, s1
	v_add_nc_u32_e32 v6, v4, v6
	v_add_nc_u32_e32 v10, v7, v5
	v_sub_nc_u32_e32 v9, v6, v7
	s_delay_alu instid0(VALU_DEP_2) | instskip(SKIP_1) | instid1(VALU_DEP_3)
	v_add_nc_u32_e32 v8, v0, v10
	v_cmp_le_i32_e32 vcc_lo, v4, v10
                                        ; implicit-def: $vgpr7
	v_add_nc_u32_e32 v11, v0, v9
	v_cmp_gt_i32_e64 s1, v3, v9
	ds_load_u8 v5, v8
	ds_load_u8 v6, v11
	s_waitcnt lgkmcnt(1)
	v_bfe_i32 v5, v5, 0, 8
	s_waitcnt lgkmcnt(0)
	v_bfe_i32 v6, v6, 0, 8
	s_delay_alu instid0(VALU_DEP_1) | instskip(NEXT) | instid1(VALU_DEP_1)
	v_cmp_lt_i16_e64 s0, v6, v5
	s_or_b32 s0, vcc_lo, s0
	s_delay_alu instid0(SALU_CYCLE_1) | instskip(NEXT) | instid1(SALU_CYCLE_1)
	s_and_b32 vcc_lo, s1, s0
	s_xor_b32 s0, vcc_lo, -1
	s_delay_alu instid0(SALU_CYCLE_1) | instskip(NEXT) | instid1(SALU_CYCLE_1)
	s_and_saveexec_b32 s1, s0
	s_xor_b32 s0, exec_lo, s1
	s_cbranch_execz .LBB80_6
; %bb.5:
	ds_load_u8 v7, v8 offset:1
                                        ; implicit-def: $vgpr11
.LBB80_6:
	s_or_saveexec_b32 s0, s0
	v_mov_b32_e32 v8, v6
	s_xor_b32 exec_lo, exec_lo, s0
	s_cbranch_execz .LBB80_8
; %bb.7:
	ds_load_u8 v8, v11 offset:1
	s_waitcnt lgkmcnt(1)
	v_mov_b32_e32 v7, v5
.LBB80_8:
	s_or_b32 exec_lo, exec_lo, s0
	v_add_nc_u32_e32 v11, 1, v10
	v_add_nc_u32_e32 v13, 1, v9
	s_waitcnt lgkmcnt(0)
	v_bfe_i32 v14, v7, 0, 8
	s_delay_alu instid0(VALU_DEP_3) | instskip(SKIP_2) | instid1(VALU_DEP_3)
	v_cndmask_b32_e32 v12, v11, v10, vcc_lo
	v_bfe_i32 v10, v8, 0, 8
	v_cndmask_b32_e32 v11, v9, v13, vcc_lo
                                        ; implicit-def: $vgpr9
	v_cmp_ge_i32_e64 s0, v12, v4
	s_delay_alu instid0(VALU_DEP_3) | instskip(NEXT) | instid1(VALU_DEP_3)
	v_cmp_lt_i16_e64 s1, v10, v14
	v_cmp_lt_i32_e64 s2, v11, v3
	s_delay_alu instid0(VALU_DEP_2)
	s_or_b32 s0, s0, s1
	s_delay_alu instid0(VALU_DEP_1) | instid1(SALU_CYCLE_1)
	s_and_b32 s0, s2, s0
	s_delay_alu instid0(SALU_CYCLE_1) | instskip(NEXT) | instid1(SALU_CYCLE_1)
	s_xor_b32 s1, s0, -1
	s_and_saveexec_b32 s2, s1
	s_delay_alu instid0(SALU_CYCLE_1)
	s_xor_b32 s1, exec_lo, s2
	s_cbranch_execz .LBB80_10
; %bb.9:
	v_add_nc_u32_e32 v9, v0, v12
	ds_load_u8 v9, v9 offset:1
.LBB80_10:
	s_or_saveexec_b32 s1, s1
	v_mov_b32_e32 v10, v8
	s_xor_b32 exec_lo, exec_lo, s1
	s_cbranch_execz .LBB80_12
; %bb.11:
	s_waitcnt lgkmcnt(0)
	v_add_nc_u32_e32 v9, v0, v11
	ds_load_u8 v10, v9 offset:1
	v_mov_b32_e32 v9, v7
.LBB80_12:
	s_or_b32 exec_lo, exec_lo, s1
	v_add_nc_u32_e32 v13, 1, v12
	v_add_nc_u32_e32 v15, 1, v11
	s_waitcnt lgkmcnt(0)
	v_bfe_i32 v16, v9, 0, 8
	s_delay_alu instid0(VALU_DEP_3) | instskip(SKIP_2) | instid1(VALU_DEP_3)
	v_cndmask_b32_e64 v14, v13, v12, s0
	v_bfe_i32 v12, v10, 0, 8
	v_cndmask_b32_e64 v13, v11, v15, s0
                                        ; implicit-def: $vgpr11
	v_cmp_ge_i32_e64 s1, v14, v4
	s_delay_alu instid0(VALU_DEP_3) | instskip(NEXT) | instid1(VALU_DEP_3)
	v_cmp_lt_i16_e64 s2, v12, v16
	v_cmp_lt_i32_e64 s3, v13, v3
	s_delay_alu instid0(VALU_DEP_2)
	s_or_b32 s1, s1, s2
	s_delay_alu instid0(VALU_DEP_1) | instid1(SALU_CYCLE_1)
	s_and_b32 s1, s3, s1
	s_delay_alu instid0(SALU_CYCLE_1) | instskip(NEXT) | instid1(SALU_CYCLE_1)
	s_xor_b32 s2, s1, -1
	s_and_saveexec_b32 s3, s2
	s_delay_alu instid0(SALU_CYCLE_1)
	s_xor_b32 s2, exec_lo, s3
	s_cbranch_execz .LBB80_14
; %bb.13:
	v_add_nc_u32_e32 v11, v0, v14
	ds_load_u8 v11, v11 offset:1
.LBB80_14:
	s_or_saveexec_b32 s2, s2
	v_mov_b32_e32 v12, v10
	s_xor_b32 exec_lo, exec_lo, s2
	s_cbranch_execz .LBB80_16
; %bb.15:
	s_waitcnt lgkmcnt(0)
	v_add_nc_u32_e32 v11, v0, v13
	ds_load_u8 v12, v11 offset:1
	v_mov_b32_e32 v11, v9
.LBB80_16:
	s_or_b32 exec_lo, exec_lo, s2
	v_add_nc_u32_e32 v15, 1, v14
	v_add_nc_u32_e32 v17, 1, v13
	s_waitcnt lgkmcnt(0)
	v_bfe_i32 v18, v11, 0, 8
	s_delay_alu instid0(VALU_DEP_3) | instskip(SKIP_2) | instid1(VALU_DEP_3)
	v_cndmask_b32_e64 v16, v15, v14, s1
	v_bfe_i32 v14, v12, 0, 8
	v_cndmask_b32_e64 v15, v13, v17, s1
                                        ; implicit-def: $vgpr13
	v_cmp_ge_i32_e64 s2, v16, v4
	s_delay_alu instid0(VALU_DEP_3) | instskip(NEXT) | instid1(VALU_DEP_3)
	v_cmp_lt_i16_e64 s3, v14, v18
	v_cmp_lt_i32_e64 s4, v15, v3
	s_delay_alu instid0(VALU_DEP_2)
	s_or_b32 s2, s2, s3
	s_delay_alu instid0(VALU_DEP_1) | instid1(SALU_CYCLE_1)
	s_and_b32 s2, s4, s2
	s_delay_alu instid0(SALU_CYCLE_1) | instskip(NEXT) | instid1(SALU_CYCLE_1)
	s_xor_b32 s3, s2, -1
	s_and_saveexec_b32 s4, s3
	s_delay_alu instid0(SALU_CYCLE_1)
	s_xor_b32 s3, exec_lo, s4
	s_cbranch_execz .LBB80_18
; %bb.17:
	v_add_nc_u32_e32 v13, v0, v16
	ds_load_u8 v13, v13 offset:1
.LBB80_18:
	s_or_saveexec_b32 s3, s3
	v_mov_b32_e32 v14, v12
	s_xor_b32 exec_lo, exec_lo, s3
	s_cbranch_execz .LBB80_20
; %bb.19:
	s_waitcnt lgkmcnt(0)
	v_add_nc_u32_e32 v13, v0, v15
	ds_load_u8 v14, v13 offset:1
	v_mov_b32_e32 v13, v11
.LBB80_20:
	s_or_b32 exec_lo, exec_lo, s3
	v_add_nc_u32_e32 v17, 1, v16
	v_add_nc_u32_e32 v19, 1, v15
	s_waitcnt lgkmcnt(0)
	v_bfe_i32 v20, v13, 0, 8
	s_delay_alu instid0(VALU_DEP_3) | instskip(SKIP_2) | instid1(VALU_DEP_3)
	v_cndmask_b32_e64 v18, v17, v16, s2
	v_bfe_i32 v16, v14, 0, 8
	v_cndmask_b32_e64 v17, v15, v19, s2
                                        ; implicit-def: $vgpr15
	v_cmp_ge_i32_e64 s3, v18, v4
	s_delay_alu instid0(VALU_DEP_3) | instskip(NEXT) | instid1(VALU_DEP_3)
	v_cmp_lt_i16_e64 s4, v16, v20
	v_cmp_lt_i32_e64 s5, v17, v3
	s_delay_alu instid0(VALU_DEP_2)
	s_or_b32 s3, s3, s4
	s_delay_alu instid0(VALU_DEP_1) | instid1(SALU_CYCLE_1)
	s_and_b32 s3, s5, s3
	s_delay_alu instid0(SALU_CYCLE_1) | instskip(NEXT) | instid1(SALU_CYCLE_1)
	s_xor_b32 s4, s3, -1
	s_and_saveexec_b32 s5, s4
	s_delay_alu instid0(SALU_CYCLE_1)
	s_xor_b32 s4, exec_lo, s5
	s_cbranch_execz .LBB80_22
; %bb.21:
	v_add_nc_u32_e32 v15, v0, v18
	ds_load_u8 v15, v15 offset:1
.LBB80_22:
	s_or_saveexec_b32 s4, s4
	v_mov_b32_e32 v16, v14
	s_xor_b32 exec_lo, exec_lo, s4
	s_cbranch_execz .LBB80_24
; %bb.23:
	s_waitcnt lgkmcnt(0)
	v_add_nc_u32_e32 v15, v0, v17
	ds_load_u8 v16, v15 offset:1
	v_mov_b32_e32 v15, v13
.LBB80_24:
	s_or_b32 exec_lo, exec_lo, s4
	v_add_nc_u32_e32 v19, 1, v18
	v_add_nc_u32_e32 v21, 1, v17
	s_waitcnt lgkmcnt(0)
	v_bfe_i32 v22, v15, 0, 8
	s_delay_alu instid0(VALU_DEP_3) | instskip(SKIP_2) | instid1(VALU_DEP_3)
	v_cndmask_b32_e64 v20, v19, v18, s3
	v_bfe_i32 v19, v16, 0, 8
	v_cndmask_b32_e64 v18, v17, v21, s3
                                        ; implicit-def: $vgpr17
	v_cmp_ge_i32_e64 s4, v20, v4
	s_delay_alu instid0(VALU_DEP_3) | instskip(NEXT) | instid1(VALU_DEP_3)
	v_cmp_lt_i16_e64 s5, v19, v22
	v_cmp_lt_i32_e64 s6, v18, v3
	s_delay_alu instid0(VALU_DEP_2)
	s_or_b32 s4, s4, s5
	s_delay_alu instid0(VALU_DEP_1) | instid1(SALU_CYCLE_1)
	s_and_b32 s4, s6, s4
	s_delay_alu instid0(SALU_CYCLE_1) | instskip(NEXT) | instid1(SALU_CYCLE_1)
	s_xor_b32 s5, s4, -1
	s_and_saveexec_b32 s6, s5
	s_delay_alu instid0(SALU_CYCLE_1)
	s_xor_b32 s5, exec_lo, s6
	s_cbranch_execz .LBB80_26
; %bb.25:
	v_add_nc_u32_e32 v17, v0, v20
	ds_load_u8 v17, v17 offset:1
.LBB80_26:
	s_or_saveexec_b32 s5, s5
	v_mov_b32_e32 v19, v16
	s_xor_b32 exec_lo, exec_lo, s5
	s_cbranch_execz .LBB80_28
; %bb.27:
	s_waitcnt lgkmcnt(0)
	v_add_nc_u32_e32 v17, v0, v18
	ds_load_u8 v19, v17 offset:1
	v_mov_b32_e32 v17, v15
.LBB80_28:
	s_or_b32 exec_lo, exec_lo, s5
	v_add_nc_u32_e32 v21, 1, v20
	v_add_nc_u32_e32 v22, 1, v18
	s_waitcnt lgkmcnt(0)
	v_bfe_i32 v23, v17, 0, 8
	v_bfe_i32 v24, v19, 0, 8
	v_cndmask_b32_e64 v21, v21, v20, s4
	v_cndmask_b32_e64 v20, v18, v22, s4
                                        ; implicit-def: $vgpr18
	s_delay_alu instid0(VALU_DEP_3) | instskip(NEXT) | instid1(VALU_DEP_3)
	v_cmp_lt_i16_e64 s6, v24, v23
	v_cmp_ge_i32_e64 s5, v21, v4
	s_delay_alu instid0(VALU_DEP_3) | instskip(NEXT) | instid1(VALU_DEP_2)
	v_cmp_lt_i32_e64 s7, v20, v3
	s_or_b32 s5, s5, s6
	s_delay_alu instid0(VALU_DEP_1) | instid1(SALU_CYCLE_1)
	s_and_b32 s5, s7, s5
	s_delay_alu instid0(SALU_CYCLE_1) | instskip(NEXT) | instid1(SALU_CYCLE_1)
	s_xor_b32 s6, s5, -1
	s_and_saveexec_b32 s7, s6
	s_delay_alu instid0(SALU_CYCLE_1)
	s_xor_b32 s6, exec_lo, s7
	s_cbranch_execz .LBB80_30
; %bb.29:
	v_add_nc_u32_e32 v18, v0, v21
	ds_load_u8 v18, v18 offset:1
.LBB80_30:
	s_or_saveexec_b32 s6, s6
	v_mov_b32_e32 v22, v19
	s_xor_b32 exec_lo, exec_lo, s6
	s_cbranch_execz .LBB80_32
; %bb.31:
	s_waitcnt lgkmcnt(0)
	v_add_nc_u32_e32 v18, v0, v20
	ds_load_u8 v22, v18 offset:1
	v_mov_b32_e32 v18, v17
.LBB80_32:
	s_or_b32 exec_lo, exec_lo, s6
	v_add_nc_u32_e32 v23, 1, v21
	v_cndmask_b32_e64 v17, v17, v19, s5
	v_add_nc_u32_e32 v19, 1, v20
	v_cndmask_b32_e64 v15, v15, v16, s4
	s_waitcnt lgkmcnt(0)
	v_bfe_i32 v16, v18, 0, 8
	v_cndmask_b32_e64 v21, v23, v21, s5
	v_bfe_i32 v23, v22, 0, 8
	v_cndmask_b32_e64 v11, v11, v12, s2
	v_cndmask_b32_e64 v12, v20, v19, s5
	v_cndmask_b32_e32 v5, v5, v6, vcc_lo
	v_cndmask_b32_e64 v6, v9, v10, s1
	v_cndmask_b32_e64 v13, v13, v14, s3
	v_cmp_ge_i32_e64 s2, v21, v4
	v_cmp_lt_i16_e64 s3, v23, v16
	v_cmp_lt_i32_e32 vcc_lo, v12, v3
	v_and_b32_e32 v12, 0xff, v17
	v_cndmask_b32_e64 v4, v7, v8, s0
	v_lshlrev_b16 v7, 8, v11
	v_and_b32_e32 v8, 0xff, v6
	s_or_b32 s0, s2, s3
	v_and_b32_e32 v5, 0xff, v5
	s_and_b32 vcc_lo, vcc_lo, s0
	v_lshlrev_b16 v4, 8, v4
	v_and_b32_e32 v6, 0xe0, v2
	v_or_b32_e32 v8, v8, v7
	v_cndmask_b32_e32 v9, v18, v22, vcc_lo
	v_lshlrev_b16 v7, 8, v15
	v_or_b32_e32 v10, v5, v4
	v_and_b32_e32 v11, 0xff, v13
	v_lshlrev_b32_e32 v8, 16, v8
	v_or_b32_e32 v5, 16, v6
	v_add_nc_u32_e32 v4, 32, v6
	v_lshlrev_b16 v9, 8, v9
	v_or_b32_e32 v11, v11, v7
	v_and_b32_e32 v7, 24, v2
	v_and_b32_e32 v10, 0xffff, v10
	v_sub_nc_u32_e32 v13, v4, v5
	v_or_b32_e32 v9, v12, v9
	v_and_b32_e32 v11, 0xffff, v11
	v_sub_nc_u32_e32 v14, v5, v6
	v_add_nc_u32_e32 v3, v0, v2
	v_sub_nc_u32_e32 v12, v7, v13
	v_lshlrev_b32_e32 v15, 16, v9
	v_cmp_ge_i32_e32 vcc_lo, v7, v13
	v_or_b32_e32 v10, v10, v8
	v_min_i32_e32 v9, v7, v14
	s_mov_b32 s1, 0
	v_or_b32_e32 v11, v11, v15
	v_cndmask_b32_e32 v8, 0, v12, vcc_lo
	s_mov_b32 s0, exec_lo
	; wave barrier
	ds_store_b64 v3, v[10:11]
	; wave barrier
	v_cmpx_lt_i32_e64 v8, v9
	s_cbranch_execz .LBB80_36
; %bb.33:
	v_add_nc_u32_e32 v10, v0, v6
	v_add3_u32 v11, v0, v5, v7
	.p2align	6
.LBB80_34:                              ; =>This Inner Loop Header: Depth=1
	v_sub_nc_u32_e32 v12, v9, v8
	s_delay_alu instid0(VALU_DEP_1) | instskip(NEXT) | instid1(VALU_DEP_1)
	v_lshrrev_b32_e32 v13, 31, v12
	v_add_nc_u32_e32 v12, v12, v13
	s_delay_alu instid0(VALU_DEP_1) | instskip(NEXT) | instid1(VALU_DEP_1)
	v_ashrrev_i32_e32 v12, 1, v12
	v_add_nc_u32_e32 v12, v12, v8
	s_delay_alu instid0(VALU_DEP_1)
	v_add_nc_u32_e32 v13, v10, v12
	v_xad_u32 v14, v12, -1, v11
	v_add_nc_u32_e32 v15, 1, v12
	ds_load_i8 v13, v13
	ds_load_i8 v14, v14
	s_waitcnt lgkmcnt(0)
	v_cmp_lt_i16_e32 vcc_lo, v14, v13
	v_cndmask_b32_e32 v9, v9, v12, vcc_lo
	v_cndmask_b32_e32 v8, v15, v8, vcc_lo
	s_delay_alu instid0(VALU_DEP_1) | instskip(SKIP_1) | instid1(SALU_CYCLE_1)
	v_cmp_ge_i32_e32 vcc_lo, v8, v9
	s_or_b32 s1, vcc_lo, s1
	s_and_not1_b32 exec_lo, exec_lo, s1
	s_cbranch_execnz .LBB80_34
; %bb.35:
	s_or_b32 exec_lo, exec_lo, s1
.LBB80_36:
	s_delay_alu instid0(SALU_CYCLE_1) | instskip(SKIP_2) | instid1(VALU_DEP_2)
	s_or_b32 exec_lo, exec_lo, s0
	v_add_nc_u32_e32 v7, v5, v7
	v_add_nc_u32_e32 v11, v8, v6
	v_sub_nc_u32_e32 v10, v7, v8
	s_delay_alu instid0(VALU_DEP_2) | instskip(SKIP_1) | instid1(VALU_DEP_3)
	v_add_nc_u32_e32 v9, v0, v11
	v_cmp_le_i32_e32 vcc_lo, v5, v11
                                        ; implicit-def: $vgpr8
	v_add_nc_u32_e32 v12, v0, v10
	v_cmp_gt_i32_e64 s1, v4, v10
	ds_load_u8 v6, v9
	ds_load_u8 v7, v12
	s_waitcnt lgkmcnt(1)
	v_bfe_i32 v6, v6, 0, 8
	s_waitcnt lgkmcnt(0)
	v_bfe_i32 v7, v7, 0, 8
	s_delay_alu instid0(VALU_DEP_1) | instskip(NEXT) | instid1(VALU_DEP_1)
	v_cmp_lt_i16_e64 s0, v7, v6
	s_or_b32 s0, vcc_lo, s0
	s_delay_alu instid0(SALU_CYCLE_1) | instskip(NEXT) | instid1(SALU_CYCLE_1)
	s_and_b32 vcc_lo, s1, s0
	s_xor_b32 s0, vcc_lo, -1
	s_delay_alu instid0(SALU_CYCLE_1) | instskip(NEXT) | instid1(SALU_CYCLE_1)
	s_and_saveexec_b32 s1, s0
	s_xor_b32 s0, exec_lo, s1
	s_cbranch_execz .LBB80_38
; %bb.37:
	ds_load_u8 v8, v9 offset:1
                                        ; implicit-def: $vgpr12
.LBB80_38:
	s_or_saveexec_b32 s0, s0
	v_mov_b32_e32 v9, v7
	s_xor_b32 exec_lo, exec_lo, s0
	s_cbranch_execz .LBB80_40
; %bb.39:
	ds_load_u8 v9, v12 offset:1
	s_waitcnt lgkmcnt(1)
	v_mov_b32_e32 v8, v6
.LBB80_40:
	s_or_b32 exec_lo, exec_lo, s0
	v_add_nc_u32_e32 v12, 1, v11
	v_add_nc_u32_e32 v14, 1, v10
	s_waitcnt lgkmcnt(0)
	v_bfe_i32 v15, v8, 0, 8
	s_delay_alu instid0(VALU_DEP_3) | instskip(SKIP_2) | instid1(VALU_DEP_3)
	v_cndmask_b32_e32 v13, v12, v11, vcc_lo
	v_bfe_i32 v11, v9, 0, 8
	v_cndmask_b32_e32 v12, v10, v14, vcc_lo
                                        ; implicit-def: $vgpr10
	v_cmp_ge_i32_e64 s0, v13, v5
	s_delay_alu instid0(VALU_DEP_3) | instskip(NEXT) | instid1(VALU_DEP_3)
	v_cmp_lt_i16_e64 s1, v11, v15
	v_cmp_lt_i32_e64 s2, v12, v4
	s_delay_alu instid0(VALU_DEP_2)
	s_or_b32 s0, s0, s1
	s_delay_alu instid0(VALU_DEP_1) | instid1(SALU_CYCLE_1)
	s_and_b32 s0, s2, s0
	s_delay_alu instid0(SALU_CYCLE_1) | instskip(NEXT) | instid1(SALU_CYCLE_1)
	s_xor_b32 s1, s0, -1
	s_and_saveexec_b32 s2, s1
	s_delay_alu instid0(SALU_CYCLE_1)
	s_xor_b32 s1, exec_lo, s2
	s_cbranch_execz .LBB80_42
; %bb.41:
	v_add_nc_u32_e32 v10, v0, v13
	ds_load_u8 v10, v10 offset:1
.LBB80_42:
	s_or_saveexec_b32 s1, s1
	v_mov_b32_e32 v11, v9
	s_xor_b32 exec_lo, exec_lo, s1
	s_cbranch_execz .LBB80_44
; %bb.43:
	s_waitcnt lgkmcnt(0)
	v_add_nc_u32_e32 v10, v0, v12
	ds_load_u8 v11, v10 offset:1
	v_mov_b32_e32 v10, v8
.LBB80_44:
	s_or_b32 exec_lo, exec_lo, s1
	v_add_nc_u32_e32 v14, 1, v13
	v_add_nc_u32_e32 v16, 1, v12
	s_waitcnt lgkmcnt(0)
	v_bfe_i32 v17, v10, 0, 8
	s_delay_alu instid0(VALU_DEP_3) | instskip(SKIP_2) | instid1(VALU_DEP_3)
	v_cndmask_b32_e64 v15, v14, v13, s0
	v_bfe_i32 v13, v11, 0, 8
	v_cndmask_b32_e64 v14, v12, v16, s0
                                        ; implicit-def: $vgpr12
	v_cmp_ge_i32_e64 s1, v15, v5
	s_delay_alu instid0(VALU_DEP_3) | instskip(NEXT) | instid1(VALU_DEP_3)
	v_cmp_lt_i16_e64 s2, v13, v17
	v_cmp_lt_i32_e64 s3, v14, v4
	s_delay_alu instid0(VALU_DEP_2)
	s_or_b32 s1, s1, s2
	s_delay_alu instid0(VALU_DEP_1) | instid1(SALU_CYCLE_1)
	s_and_b32 s1, s3, s1
	s_delay_alu instid0(SALU_CYCLE_1) | instskip(NEXT) | instid1(SALU_CYCLE_1)
	s_xor_b32 s2, s1, -1
	s_and_saveexec_b32 s3, s2
	s_delay_alu instid0(SALU_CYCLE_1)
	s_xor_b32 s2, exec_lo, s3
	s_cbranch_execz .LBB80_46
; %bb.45:
	v_add_nc_u32_e32 v12, v0, v15
	ds_load_u8 v12, v12 offset:1
.LBB80_46:
	s_or_saveexec_b32 s2, s2
	v_mov_b32_e32 v13, v11
	s_xor_b32 exec_lo, exec_lo, s2
	s_cbranch_execz .LBB80_48
; %bb.47:
	s_waitcnt lgkmcnt(0)
	v_add_nc_u32_e32 v12, v0, v14
	ds_load_u8 v13, v12 offset:1
	v_mov_b32_e32 v12, v10
.LBB80_48:
	s_or_b32 exec_lo, exec_lo, s2
	v_add_nc_u32_e32 v16, 1, v15
	v_add_nc_u32_e32 v18, 1, v14
	s_waitcnt lgkmcnt(0)
	v_bfe_i32 v19, v12, 0, 8
	s_delay_alu instid0(VALU_DEP_3) | instskip(SKIP_2) | instid1(VALU_DEP_3)
	v_cndmask_b32_e64 v17, v16, v15, s1
	v_bfe_i32 v15, v13, 0, 8
	v_cndmask_b32_e64 v16, v14, v18, s1
                                        ; implicit-def: $vgpr14
	v_cmp_ge_i32_e64 s2, v17, v5
	s_delay_alu instid0(VALU_DEP_3) | instskip(NEXT) | instid1(VALU_DEP_3)
	v_cmp_lt_i16_e64 s3, v15, v19
	v_cmp_lt_i32_e64 s4, v16, v4
	s_delay_alu instid0(VALU_DEP_2)
	s_or_b32 s2, s2, s3
	s_delay_alu instid0(VALU_DEP_1) | instid1(SALU_CYCLE_1)
	s_and_b32 s2, s4, s2
	s_delay_alu instid0(SALU_CYCLE_1) | instskip(NEXT) | instid1(SALU_CYCLE_1)
	s_xor_b32 s3, s2, -1
	s_and_saveexec_b32 s4, s3
	s_delay_alu instid0(SALU_CYCLE_1)
	s_xor_b32 s3, exec_lo, s4
	s_cbranch_execz .LBB80_50
; %bb.49:
	v_add_nc_u32_e32 v14, v0, v17
	ds_load_u8 v14, v14 offset:1
.LBB80_50:
	s_or_saveexec_b32 s3, s3
	v_mov_b32_e32 v15, v13
	s_xor_b32 exec_lo, exec_lo, s3
	s_cbranch_execz .LBB80_52
; %bb.51:
	s_waitcnt lgkmcnt(0)
	v_add_nc_u32_e32 v14, v0, v16
	ds_load_u8 v15, v14 offset:1
	v_mov_b32_e32 v14, v12
.LBB80_52:
	s_or_b32 exec_lo, exec_lo, s3
	v_add_nc_u32_e32 v18, 1, v17
	v_add_nc_u32_e32 v20, 1, v16
	s_waitcnt lgkmcnt(0)
	v_bfe_i32 v21, v14, 0, 8
	s_delay_alu instid0(VALU_DEP_3) | instskip(SKIP_2) | instid1(VALU_DEP_3)
	v_cndmask_b32_e64 v19, v18, v17, s2
	v_bfe_i32 v17, v15, 0, 8
	v_cndmask_b32_e64 v18, v16, v20, s2
                                        ; implicit-def: $vgpr16
	v_cmp_ge_i32_e64 s3, v19, v5
	s_delay_alu instid0(VALU_DEP_3) | instskip(NEXT) | instid1(VALU_DEP_3)
	v_cmp_lt_i16_e64 s4, v17, v21
	v_cmp_lt_i32_e64 s5, v18, v4
	s_delay_alu instid0(VALU_DEP_2)
	s_or_b32 s3, s3, s4
	s_delay_alu instid0(VALU_DEP_1) | instid1(SALU_CYCLE_1)
	s_and_b32 s3, s5, s3
	s_delay_alu instid0(SALU_CYCLE_1) | instskip(NEXT) | instid1(SALU_CYCLE_1)
	s_xor_b32 s4, s3, -1
	s_and_saveexec_b32 s5, s4
	s_delay_alu instid0(SALU_CYCLE_1)
	s_xor_b32 s4, exec_lo, s5
	s_cbranch_execz .LBB80_54
; %bb.53:
	v_add_nc_u32_e32 v16, v0, v19
	ds_load_u8 v16, v16 offset:1
.LBB80_54:
	s_or_saveexec_b32 s4, s4
	v_mov_b32_e32 v17, v15
	s_xor_b32 exec_lo, exec_lo, s4
	s_cbranch_execz .LBB80_56
; %bb.55:
	s_waitcnt lgkmcnt(0)
	v_add_nc_u32_e32 v16, v0, v18
	ds_load_u8 v17, v16 offset:1
	v_mov_b32_e32 v16, v14
.LBB80_56:
	s_or_b32 exec_lo, exec_lo, s4
	v_add_nc_u32_e32 v20, 1, v19
	v_add_nc_u32_e32 v22, 1, v18
	s_waitcnt lgkmcnt(0)
	v_bfe_i32 v23, v16, 0, 8
	s_delay_alu instid0(VALU_DEP_3) | instskip(SKIP_2) | instid1(VALU_DEP_3)
	v_cndmask_b32_e64 v21, v20, v19, s3
	v_bfe_i32 v20, v17, 0, 8
	v_cndmask_b32_e64 v19, v18, v22, s3
                                        ; implicit-def: $vgpr18
	v_cmp_ge_i32_e64 s4, v21, v5
	s_delay_alu instid0(VALU_DEP_3) | instskip(NEXT) | instid1(VALU_DEP_3)
	v_cmp_lt_i16_e64 s5, v20, v23
	v_cmp_lt_i32_e64 s6, v19, v4
	s_delay_alu instid0(VALU_DEP_2)
	s_or_b32 s4, s4, s5
	s_delay_alu instid0(VALU_DEP_1) | instid1(SALU_CYCLE_1)
	s_and_b32 s4, s6, s4
	s_delay_alu instid0(SALU_CYCLE_1) | instskip(NEXT) | instid1(SALU_CYCLE_1)
	s_xor_b32 s5, s4, -1
	s_and_saveexec_b32 s6, s5
	s_delay_alu instid0(SALU_CYCLE_1)
	s_xor_b32 s5, exec_lo, s6
	s_cbranch_execz .LBB80_58
; %bb.57:
	v_add_nc_u32_e32 v18, v0, v21
	ds_load_u8 v18, v18 offset:1
.LBB80_58:
	s_or_saveexec_b32 s5, s5
	v_mov_b32_e32 v20, v17
	s_xor_b32 exec_lo, exec_lo, s5
	s_cbranch_execz .LBB80_60
; %bb.59:
	s_waitcnt lgkmcnt(0)
	v_add_nc_u32_e32 v18, v0, v19
	ds_load_u8 v20, v18 offset:1
	v_mov_b32_e32 v18, v16
.LBB80_60:
	s_or_b32 exec_lo, exec_lo, s5
	v_add_nc_u32_e32 v22, 1, v21
	v_add_nc_u32_e32 v23, 1, v19
	s_waitcnt lgkmcnt(0)
	v_bfe_i32 v24, v18, 0, 8
	v_bfe_i32 v25, v20, 0, 8
	v_cndmask_b32_e64 v22, v22, v21, s4
	v_cndmask_b32_e64 v21, v19, v23, s4
                                        ; implicit-def: $vgpr19
	s_delay_alu instid0(VALU_DEP_3) | instskip(NEXT) | instid1(VALU_DEP_3)
	v_cmp_lt_i16_e64 s6, v25, v24
	v_cmp_ge_i32_e64 s5, v22, v5
	s_delay_alu instid0(VALU_DEP_3) | instskip(NEXT) | instid1(VALU_DEP_2)
	v_cmp_lt_i32_e64 s7, v21, v4
	s_or_b32 s5, s5, s6
	s_delay_alu instid0(VALU_DEP_1) | instid1(SALU_CYCLE_1)
	s_and_b32 s5, s7, s5
	s_delay_alu instid0(SALU_CYCLE_1) | instskip(NEXT) | instid1(SALU_CYCLE_1)
	s_xor_b32 s6, s5, -1
	s_and_saveexec_b32 s7, s6
	s_delay_alu instid0(SALU_CYCLE_1)
	s_xor_b32 s6, exec_lo, s7
	s_cbranch_execz .LBB80_62
; %bb.61:
	v_add_nc_u32_e32 v19, v0, v22
	ds_load_u8 v19, v19 offset:1
.LBB80_62:
	s_or_saveexec_b32 s6, s6
	v_mov_b32_e32 v23, v20
	s_xor_b32 exec_lo, exec_lo, s6
	s_cbranch_execz .LBB80_64
; %bb.63:
	s_waitcnt lgkmcnt(0)
	v_add_nc_u32_e32 v19, v0, v21
	ds_load_u8 v23, v19 offset:1
	v_mov_b32_e32 v19, v18
.LBB80_64:
	s_or_b32 exec_lo, exec_lo, s6
	v_add_nc_u32_e32 v24, 1, v22
	v_cndmask_b32_e64 v18, v18, v20, s5
	v_add_nc_u32_e32 v20, 1, v21
	v_cndmask_b32_e64 v16, v16, v17, s4
	s_waitcnt lgkmcnt(0)
	v_bfe_i32 v17, v19, 0, 8
	v_cndmask_b32_e64 v22, v24, v22, s5
	v_bfe_i32 v24, v23, 0, 8
	v_cndmask_b32_e64 v12, v12, v13, s2
	v_cndmask_b32_e64 v13, v21, v20, s5
	;; [unrolled: 1-line block ×3, first 2 shown]
	v_cmp_ge_i32_e64 s2, v22, v5
	v_cmp_lt_i16_e64 s3, v24, v17
	v_cndmask_b32_e32 v6, v6, v7, vcc_lo
	v_cmp_lt_i32_e32 vcc_lo, v13, v4
	v_cndmask_b32_e64 v5, v8, v9, s0
	v_cndmask_b32_e64 v7, v10, v11, s1
	v_and_b32_e32 v11, 0xff, v14
	s_or_b32 s0, s2, s3
	v_lshlrev_b16 v8, 8, v12
	s_and_b32 vcc_lo, vcc_lo, s0
	v_lshlrev_b16 v4, 8, v5
	v_and_b32_e32 v5, 0xff, v6
	v_and_b32_e32 v7, 0xff, v7
	v_dual_cndmask_b32 v9, v19, v23 :: v_dual_and_b32 v6, 0xc0, v2
	v_and_b32_e32 v12, 0xff, v18
	s_delay_alu instid0(VALU_DEP_4) | instskip(NEXT) | instid1(VALU_DEP_4)
	v_or_b32_e32 v10, v5, v4
	v_or_b32_e32 v8, v7, v8
	v_lshlrev_b16 v7, 8, v16
	v_or_b32_e32 v5, 32, v6
	v_add_nc_u32_e32 v4, 64, v6
	v_lshlrev_b16 v9, 8, v9
	v_and_b32_e32 v10, 0xffff, v10
	v_or_b32_e32 v11, v11, v7
	v_and_b32_e32 v7, 56, v2
	v_sub_nc_u32_e32 v13, v4, v5
	v_or_b32_e32 v9, v12, v9
	v_lshlrev_b32_e32 v8, 16, v8
	v_and_b32_e32 v11, 0xffff, v11
	v_sub_nc_u32_e32 v14, v5, v6
	v_sub_nc_u32_e32 v12, v7, v13
	v_lshlrev_b32_e32 v15, 16, v9
	v_cmp_ge_i32_e32 vcc_lo, v7, v13
	v_or_b32_e32 v10, v10, v8
	v_min_i32_e32 v9, v7, v14
	s_mov_b32 s1, 0
	v_or_b32_e32 v11, v11, v15
	v_cndmask_b32_e32 v8, 0, v12, vcc_lo
	s_mov_b32 s0, exec_lo
	; wave barrier
	ds_store_b64 v3, v[10:11]
	; wave barrier
	v_cmpx_lt_i32_e64 v8, v9
	s_cbranch_execz .LBB80_68
; %bb.65:
	v_add_nc_u32_e32 v10, v0, v6
	v_add3_u32 v11, v0, v5, v7
	.p2align	6
.LBB80_66:                              ; =>This Inner Loop Header: Depth=1
	v_sub_nc_u32_e32 v12, v9, v8
	s_delay_alu instid0(VALU_DEP_1) | instskip(NEXT) | instid1(VALU_DEP_1)
	v_lshrrev_b32_e32 v13, 31, v12
	v_add_nc_u32_e32 v12, v12, v13
	s_delay_alu instid0(VALU_DEP_1) | instskip(NEXT) | instid1(VALU_DEP_1)
	v_ashrrev_i32_e32 v12, 1, v12
	v_add_nc_u32_e32 v12, v12, v8
	s_delay_alu instid0(VALU_DEP_1)
	v_add_nc_u32_e32 v13, v10, v12
	v_xad_u32 v14, v12, -1, v11
	v_add_nc_u32_e32 v15, 1, v12
	ds_load_i8 v13, v13
	ds_load_i8 v14, v14
	s_waitcnt lgkmcnt(0)
	v_cmp_lt_i16_e32 vcc_lo, v14, v13
	v_cndmask_b32_e32 v9, v9, v12, vcc_lo
	v_cndmask_b32_e32 v8, v15, v8, vcc_lo
	s_delay_alu instid0(VALU_DEP_1) | instskip(SKIP_1) | instid1(SALU_CYCLE_1)
	v_cmp_ge_i32_e32 vcc_lo, v8, v9
	s_or_b32 s1, vcc_lo, s1
	s_and_not1_b32 exec_lo, exec_lo, s1
	s_cbranch_execnz .LBB80_66
; %bb.67:
	s_or_b32 exec_lo, exec_lo, s1
.LBB80_68:
	s_delay_alu instid0(SALU_CYCLE_1) | instskip(SKIP_2) | instid1(VALU_DEP_2)
	s_or_b32 exec_lo, exec_lo, s0
	v_add_nc_u32_e32 v7, v5, v7
	v_add_nc_u32_e32 v11, v8, v6
	v_sub_nc_u32_e32 v10, v7, v8
	s_delay_alu instid0(VALU_DEP_2) | instskip(SKIP_1) | instid1(VALU_DEP_3)
	v_add_nc_u32_e32 v9, v0, v11
	v_cmp_le_i32_e32 vcc_lo, v5, v11
                                        ; implicit-def: $vgpr8
	v_add_nc_u32_e32 v12, v0, v10
	v_cmp_gt_i32_e64 s1, v4, v10
	ds_load_u8 v6, v9
	ds_load_u8 v7, v12
	s_waitcnt lgkmcnt(1)
	v_bfe_i32 v6, v6, 0, 8
	s_waitcnt lgkmcnt(0)
	v_bfe_i32 v7, v7, 0, 8
	s_delay_alu instid0(VALU_DEP_1) | instskip(NEXT) | instid1(VALU_DEP_1)
	v_cmp_lt_i16_e64 s0, v7, v6
	s_or_b32 s0, vcc_lo, s0
	s_delay_alu instid0(SALU_CYCLE_1) | instskip(NEXT) | instid1(SALU_CYCLE_1)
	s_and_b32 vcc_lo, s1, s0
	s_xor_b32 s0, vcc_lo, -1
	s_delay_alu instid0(SALU_CYCLE_1) | instskip(NEXT) | instid1(SALU_CYCLE_1)
	s_and_saveexec_b32 s1, s0
	s_xor_b32 s0, exec_lo, s1
	s_cbranch_execz .LBB80_70
; %bb.69:
	ds_load_u8 v8, v9 offset:1
                                        ; implicit-def: $vgpr12
.LBB80_70:
	s_or_saveexec_b32 s0, s0
	v_mov_b32_e32 v9, v7
	s_xor_b32 exec_lo, exec_lo, s0
	s_cbranch_execz .LBB80_72
; %bb.71:
	ds_load_u8 v9, v12 offset:1
	s_waitcnt lgkmcnt(1)
	v_mov_b32_e32 v8, v6
.LBB80_72:
	s_or_b32 exec_lo, exec_lo, s0
	v_add_nc_u32_e32 v12, 1, v11
	v_add_nc_u32_e32 v14, 1, v10
	s_waitcnt lgkmcnt(0)
	v_bfe_i32 v15, v8, 0, 8
	s_delay_alu instid0(VALU_DEP_3) | instskip(SKIP_2) | instid1(VALU_DEP_3)
	v_cndmask_b32_e32 v13, v12, v11, vcc_lo
	v_bfe_i32 v11, v9, 0, 8
	v_cndmask_b32_e32 v12, v10, v14, vcc_lo
                                        ; implicit-def: $vgpr10
	v_cmp_ge_i32_e64 s0, v13, v5
	s_delay_alu instid0(VALU_DEP_3) | instskip(NEXT) | instid1(VALU_DEP_3)
	v_cmp_lt_i16_e64 s1, v11, v15
	v_cmp_lt_i32_e64 s2, v12, v4
	s_delay_alu instid0(VALU_DEP_2)
	s_or_b32 s0, s0, s1
	s_delay_alu instid0(VALU_DEP_1) | instid1(SALU_CYCLE_1)
	s_and_b32 s0, s2, s0
	s_delay_alu instid0(SALU_CYCLE_1) | instskip(NEXT) | instid1(SALU_CYCLE_1)
	s_xor_b32 s1, s0, -1
	s_and_saveexec_b32 s2, s1
	s_delay_alu instid0(SALU_CYCLE_1)
	s_xor_b32 s1, exec_lo, s2
	s_cbranch_execz .LBB80_74
; %bb.73:
	v_add_nc_u32_e32 v10, v0, v13
	ds_load_u8 v10, v10 offset:1
.LBB80_74:
	s_or_saveexec_b32 s1, s1
	v_mov_b32_e32 v11, v9
	s_xor_b32 exec_lo, exec_lo, s1
	s_cbranch_execz .LBB80_76
; %bb.75:
	s_waitcnt lgkmcnt(0)
	v_add_nc_u32_e32 v10, v0, v12
	ds_load_u8 v11, v10 offset:1
	v_mov_b32_e32 v10, v8
.LBB80_76:
	s_or_b32 exec_lo, exec_lo, s1
	v_add_nc_u32_e32 v14, 1, v13
	v_add_nc_u32_e32 v16, 1, v12
	s_waitcnt lgkmcnt(0)
	v_bfe_i32 v17, v10, 0, 8
	s_delay_alu instid0(VALU_DEP_3) | instskip(SKIP_2) | instid1(VALU_DEP_3)
	v_cndmask_b32_e64 v15, v14, v13, s0
	v_bfe_i32 v13, v11, 0, 8
	v_cndmask_b32_e64 v14, v12, v16, s0
                                        ; implicit-def: $vgpr12
	v_cmp_ge_i32_e64 s1, v15, v5
	s_delay_alu instid0(VALU_DEP_3) | instskip(NEXT) | instid1(VALU_DEP_3)
	v_cmp_lt_i16_e64 s2, v13, v17
	v_cmp_lt_i32_e64 s3, v14, v4
	s_delay_alu instid0(VALU_DEP_2)
	s_or_b32 s1, s1, s2
	s_delay_alu instid0(VALU_DEP_1) | instid1(SALU_CYCLE_1)
	s_and_b32 s1, s3, s1
	s_delay_alu instid0(SALU_CYCLE_1) | instskip(NEXT) | instid1(SALU_CYCLE_1)
	s_xor_b32 s2, s1, -1
	s_and_saveexec_b32 s3, s2
	s_delay_alu instid0(SALU_CYCLE_1)
	s_xor_b32 s2, exec_lo, s3
	s_cbranch_execz .LBB80_78
; %bb.77:
	v_add_nc_u32_e32 v12, v0, v15
	ds_load_u8 v12, v12 offset:1
.LBB80_78:
	s_or_saveexec_b32 s2, s2
	v_mov_b32_e32 v13, v11
	s_xor_b32 exec_lo, exec_lo, s2
	s_cbranch_execz .LBB80_80
; %bb.79:
	s_waitcnt lgkmcnt(0)
	v_add_nc_u32_e32 v12, v0, v14
	ds_load_u8 v13, v12 offset:1
	v_mov_b32_e32 v12, v10
.LBB80_80:
	s_or_b32 exec_lo, exec_lo, s2
	v_add_nc_u32_e32 v16, 1, v15
	v_add_nc_u32_e32 v18, 1, v14
	s_waitcnt lgkmcnt(0)
	v_bfe_i32 v19, v12, 0, 8
	s_delay_alu instid0(VALU_DEP_3) | instskip(SKIP_2) | instid1(VALU_DEP_3)
	v_cndmask_b32_e64 v17, v16, v15, s1
	v_bfe_i32 v15, v13, 0, 8
	v_cndmask_b32_e64 v16, v14, v18, s1
                                        ; implicit-def: $vgpr14
	v_cmp_ge_i32_e64 s2, v17, v5
	s_delay_alu instid0(VALU_DEP_3) | instskip(NEXT) | instid1(VALU_DEP_3)
	v_cmp_lt_i16_e64 s3, v15, v19
	v_cmp_lt_i32_e64 s4, v16, v4
	s_delay_alu instid0(VALU_DEP_2)
	s_or_b32 s2, s2, s3
	s_delay_alu instid0(VALU_DEP_1) | instid1(SALU_CYCLE_1)
	s_and_b32 s2, s4, s2
	s_delay_alu instid0(SALU_CYCLE_1) | instskip(NEXT) | instid1(SALU_CYCLE_1)
	s_xor_b32 s3, s2, -1
	s_and_saveexec_b32 s4, s3
	s_delay_alu instid0(SALU_CYCLE_1)
	s_xor_b32 s3, exec_lo, s4
	s_cbranch_execz .LBB80_82
; %bb.81:
	v_add_nc_u32_e32 v14, v0, v17
	ds_load_u8 v14, v14 offset:1
.LBB80_82:
	s_or_saveexec_b32 s3, s3
	v_mov_b32_e32 v15, v13
	s_xor_b32 exec_lo, exec_lo, s3
	s_cbranch_execz .LBB80_84
; %bb.83:
	s_waitcnt lgkmcnt(0)
	v_add_nc_u32_e32 v14, v0, v16
	ds_load_u8 v15, v14 offset:1
	v_mov_b32_e32 v14, v12
.LBB80_84:
	s_or_b32 exec_lo, exec_lo, s3
	v_add_nc_u32_e32 v18, 1, v17
	v_add_nc_u32_e32 v20, 1, v16
	s_waitcnt lgkmcnt(0)
	v_bfe_i32 v21, v14, 0, 8
	s_delay_alu instid0(VALU_DEP_3) | instskip(SKIP_2) | instid1(VALU_DEP_3)
	v_cndmask_b32_e64 v19, v18, v17, s2
	v_bfe_i32 v17, v15, 0, 8
	v_cndmask_b32_e64 v18, v16, v20, s2
                                        ; implicit-def: $vgpr16
	v_cmp_ge_i32_e64 s3, v19, v5
	s_delay_alu instid0(VALU_DEP_3) | instskip(NEXT) | instid1(VALU_DEP_3)
	v_cmp_lt_i16_e64 s4, v17, v21
	v_cmp_lt_i32_e64 s5, v18, v4
	s_delay_alu instid0(VALU_DEP_2)
	s_or_b32 s3, s3, s4
	s_delay_alu instid0(VALU_DEP_1) | instid1(SALU_CYCLE_1)
	s_and_b32 s3, s5, s3
	s_delay_alu instid0(SALU_CYCLE_1) | instskip(NEXT) | instid1(SALU_CYCLE_1)
	s_xor_b32 s4, s3, -1
	s_and_saveexec_b32 s5, s4
	s_delay_alu instid0(SALU_CYCLE_1)
	s_xor_b32 s4, exec_lo, s5
	s_cbranch_execz .LBB80_86
; %bb.85:
	v_add_nc_u32_e32 v16, v0, v19
	ds_load_u8 v16, v16 offset:1
.LBB80_86:
	s_or_saveexec_b32 s4, s4
	v_mov_b32_e32 v17, v15
	s_xor_b32 exec_lo, exec_lo, s4
	s_cbranch_execz .LBB80_88
; %bb.87:
	s_waitcnt lgkmcnt(0)
	v_add_nc_u32_e32 v16, v0, v18
	ds_load_u8 v17, v16 offset:1
	v_mov_b32_e32 v16, v14
.LBB80_88:
	s_or_b32 exec_lo, exec_lo, s4
	v_add_nc_u32_e32 v20, 1, v19
	v_add_nc_u32_e32 v22, 1, v18
	s_waitcnt lgkmcnt(0)
	v_bfe_i32 v23, v16, 0, 8
	s_delay_alu instid0(VALU_DEP_3) | instskip(SKIP_2) | instid1(VALU_DEP_3)
	v_cndmask_b32_e64 v21, v20, v19, s3
	v_bfe_i32 v20, v17, 0, 8
	v_cndmask_b32_e64 v19, v18, v22, s3
                                        ; implicit-def: $vgpr18
	v_cmp_ge_i32_e64 s4, v21, v5
	s_delay_alu instid0(VALU_DEP_3) | instskip(NEXT) | instid1(VALU_DEP_3)
	v_cmp_lt_i16_e64 s5, v20, v23
	v_cmp_lt_i32_e64 s6, v19, v4
	s_delay_alu instid0(VALU_DEP_2)
	s_or_b32 s4, s4, s5
	s_delay_alu instid0(VALU_DEP_1) | instid1(SALU_CYCLE_1)
	s_and_b32 s4, s6, s4
	s_delay_alu instid0(SALU_CYCLE_1) | instskip(NEXT) | instid1(SALU_CYCLE_1)
	s_xor_b32 s5, s4, -1
	s_and_saveexec_b32 s6, s5
	s_delay_alu instid0(SALU_CYCLE_1)
	s_xor_b32 s5, exec_lo, s6
	s_cbranch_execz .LBB80_90
; %bb.89:
	v_add_nc_u32_e32 v18, v0, v21
	ds_load_u8 v18, v18 offset:1
.LBB80_90:
	s_or_saveexec_b32 s5, s5
	v_mov_b32_e32 v20, v17
	s_xor_b32 exec_lo, exec_lo, s5
	s_cbranch_execz .LBB80_92
; %bb.91:
	s_waitcnt lgkmcnt(0)
	v_add_nc_u32_e32 v18, v0, v19
	ds_load_u8 v20, v18 offset:1
	v_mov_b32_e32 v18, v16
.LBB80_92:
	s_or_b32 exec_lo, exec_lo, s5
	v_add_nc_u32_e32 v22, 1, v21
	v_add_nc_u32_e32 v23, 1, v19
	s_waitcnt lgkmcnt(0)
	v_bfe_i32 v24, v18, 0, 8
	v_bfe_i32 v25, v20, 0, 8
	v_cndmask_b32_e64 v22, v22, v21, s4
	v_cndmask_b32_e64 v21, v19, v23, s4
                                        ; implicit-def: $vgpr19
	s_delay_alu instid0(VALU_DEP_3) | instskip(NEXT) | instid1(VALU_DEP_3)
	v_cmp_lt_i16_e64 s6, v25, v24
	v_cmp_ge_i32_e64 s5, v22, v5
	s_delay_alu instid0(VALU_DEP_3) | instskip(NEXT) | instid1(VALU_DEP_2)
	v_cmp_lt_i32_e64 s7, v21, v4
	s_or_b32 s5, s5, s6
	s_delay_alu instid0(VALU_DEP_1) | instid1(SALU_CYCLE_1)
	s_and_b32 s5, s7, s5
	s_delay_alu instid0(SALU_CYCLE_1) | instskip(NEXT) | instid1(SALU_CYCLE_1)
	s_xor_b32 s6, s5, -1
	s_and_saveexec_b32 s7, s6
	s_delay_alu instid0(SALU_CYCLE_1)
	s_xor_b32 s6, exec_lo, s7
	s_cbranch_execz .LBB80_94
; %bb.93:
	v_add_nc_u32_e32 v19, v0, v22
	ds_load_u8 v19, v19 offset:1
.LBB80_94:
	s_or_saveexec_b32 s6, s6
	v_mov_b32_e32 v23, v20
	s_xor_b32 exec_lo, exec_lo, s6
	s_cbranch_execz .LBB80_96
; %bb.95:
	s_waitcnt lgkmcnt(0)
	v_add_nc_u32_e32 v19, v0, v21
	ds_load_u8 v23, v19 offset:1
	v_mov_b32_e32 v19, v18
.LBB80_96:
	s_or_b32 exec_lo, exec_lo, s6
	v_add_nc_u32_e32 v24, 1, v22
	v_cndmask_b32_e64 v18, v18, v20, s5
	v_add_nc_u32_e32 v20, 1, v21
	v_cndmask_b32_e64 v16, v16, v17, s4
	s_waitcnt lgkmcnt(0)
	v_bfe_i32 v17, v19, 0, 8
	v_cndmask_b32_e64 v22, v24, v22, s5
	v_bfe_i32 v24, v23, 0, 8
	v_cndmask_b32_e64 v12, v12, v13, s2
	v_cndmask_b32_e64 v13, v21, v20, s5
	;; [unrolled: 1-line block ×3, first 2 shown]
	v_cmp_ge_i32_e64 s2, v22, v5
	v_cmp_lt_i16_e64 s3, v24, v17
	v_cndmask_b32_e32 v6, v6, v7, vcc_lo
	v_cmp_lt_i32_e32 vcc_lo, v13, v4
	v_cndmask_b32_e64 v5, v8, v9, s0
	v_cndmask_b32_e64 v7, v10, v11, s1
	v_and_b32_e32 v11, 0xff, v14
	s_or_b32 s0, s2, s3
	v_lshlrev_b16 v8, 8, v12
	s_and_b32 vcc_lo, vcc_lo, s0
	v_lshlrev_b16 v4, 8, v5
	v_and_b32_e32 v5, 0xff, v6
	v_and_b32_e32 v7, 0xff, v7
	v_dual_cndmask_b32 v9, v19, v23 :: v_dual_and_b32 v6, 0x80, v2
	v_and_b32_e32 v12, 0xff, v18
	s_delay_alu instid0(VALU_DEP_4) | instskip(NEXT) | instid1(VALU_DEP_4)
	v_or_b32_e32 v10, v5, v4
	v_or_b32_e32 v8, v7, v8
	v_lshlrev_b16 v7, 8, v16
	v_or_b32_e32 v5, 64, v6
	v_add_nc_u32_e32 v4, 0x80, v6
	v_lshlrev_b16 v9, 8, v9
	v_and_b32_e32 v10, 0xffff, v10
	v_or_b32_e32 v11, v11, v7
	v_and_b32_e32 v7, 0x78, v2
	v_sub_nc_u32_e32 v13, v4, v5
	v_or_b32_e32 v9, v12, v9
	v_lshlrev_b32_e32 v8, 16, v8
	v_and_b32_e32 v11, 0xffff, v11
	v_sub_nc_u32_e32 v14, v5, v6
	v_sub_nc_u32_e32 v12, v7, v13
	v_lshlrev_b32_e32 v15, 16, v9
	v_cmp_ge_i32_e32 vcc_lo, v7, v13
	v_or_b32_e32 v10, v10, v8
	v_min_i32_e32 v9, v7, v14
	s_mov_b32 s1, 0
	v_or_b32_e32 v11, v11, v15
	v_cndmask_b32_e32 v8, 0, v12, vcc_lo
	s_mov_b32 s0, exec_lo
	; wave barrier
	ds_store_b64 v3, v[10:11]
	; wave barrier
	v_cmpx_lt_i32_e64 v8, v9
	s_cbranch_execz .LBB80_100
; %bb.97:
	v_add_nc_u32_e32 v10, v0, v6
	v_add3_u32 v11, v0, v5, v7
	.p2align	6
.LBB80_98:                              ; =>This Inner Loop Header: Depth=1
	v_sub_nc_u32_e32 v12, v9, v8
	s_delay_alu instid0(VALU_DEP_1) | instskip(NEXT) | instid1(VALU_DEP_1)
	v_lshrrev_b32_e32 v13, 31, v12
	v_add_nc_u32_e32 v12, v12, v13
	s_delay_alu instid0(VALU_DEP_1) | instskip(NEXT) | instid1(VALU_DEP_1)
	v_ashrrev_i32_e32 v12, 1, v12
	v_add_nc_u32_e32 v12, v12, v8
	s_delay_alu instid0(VALU_DEP_1)
	v_add_nc_u32_e32 v13, v10, v12
	v_xad_u32 v14, v12, -1, v11
	v_add_nc_u32_e32 v15, 1, v12
	ds_load_i8 v13, v13
	ds_load_i8 v14, v14
	s_waitcnt lgkmcnt(0)
	v_cmp_lt_i16_e32 vcc_lo, v14, v13
	v_cndmask_b32_e32 v9, v9, v12, vcc_lo
	v_cndmask_b32_e32 v8, v15, v8, vcc_lo
	s_delay_alu instid0(VALU_DEP_1) | instskip(SKIP_1) | instid1(SALU_CYCLE_1)
	v_cmp_ge_i32_e32 vcc_lo, v8, v9
	s_or_b32 s1, vcc_lo, s1
	s_and_not1_b32 exec_lo, exec_lo, s1
	s_cbranch_execnz .LBB80_98
; %bb.99:
	s_or_b32 exec_lo, exec_lo, s1
.LBB80_100:
	s_delay_alu instid0(SALU_CYCLE_1) | instskip(SKIP_2) | instid1(VALU_DEP_2)
	s_or_b32 exec_lo, exec_lo, s0
	v_add_nc_u32_e32 v7, v5, v7
	v_add_nc_u32_e32 v11, v8, v6
	v_sub_nc_u32_e32 v10, v7, v8
	s_delay_alu instid0(VALU_DEP_2) | instskip(SKIP_1) | instid1(VALU_DEP_3)
	v_add_nc_u32_e32 v9, v0, v11
	v_cmp_le_i32_e32 vcc_lo, v5, v11
                                        ; implicit-def: $vgpr8
	v_add_nc_u32_e32 v12, v0, v10
	v_cmp_gt_i32_e64 s1, v4, v10
	ds_load_u8 v6, v9
	ds_load_u8 v7, v12
	s_waitcnt lgkmcnt(1)
	v_bfe_i32 v6, v6, 0, 8
	s_waitcnt lgkmcnt(0)
	v_bfe_i32 v7, v7, 0, 8
	s_delay_alu instid0(VALU_DEP_1) | instskip(NEXT) | instid1(VALU_DEP_1)
	v_cmp_lt_i16_e64 s0, v7, v6
	s_or_b32 s0, vcc_lo, s0
	s_delay_alu instid0(SALU_CYCLE_1) | instskip(NEXT) | instid1(SALU_CYCLE_1)
	s_and_b32 vcc_lo, s1, s0
	s_xor_b32 s0, vcc_lo, -1
	s_delay_alu instid0(SALU_CYCLE_1) | instskip(NEXT) | instid1(SALU_CYCLE_1)
	s_and_saveexec_b32 s1, s0
	s_xor_b32 s0, exec_lo, s1
	s_cbranch_execz .LBB80_102
; %bb.101:
	ds_load_u8 v8, v9 offset:1
                                        ; implicit-def: $vgpr12
.LBB80_102:
	s_or_saveexec_b32 s0, s0
	v_mov_b32_e32 v9, v7
	s_xor_b32 exec_lo, exec_lo, s0
	s_cbranch_execz .LBB80_104
; %bb.103:
	ds_load_u8 v9, v12 offset:1
	s_waitcnt lgkmcnt(1)
	v_mov_b32_e32 v8, v6
.LBB80_104:
	s_or_b32 exec_lo, exec_lo, s0
	v_add_nc_u32_e32 v12, 1, v11
	v_add_nc_u32_e32 v14, 1, v10
	s_waitcnt lgkmcnt(0)
	v_bfe_i32 v15, v8, 0, 8
	s_delay_alu instid0(VALU_DEP_3) | instskip(SKIP_2) | instid1(VALU_DEP_3)
	v_cndmask_b32_e32 v13, v12, v11, vcc_lo
	v_bfe_i32 v11, v9, 0, 8
	v_cndmask_b32_e32 v12, v10, v14, vcc_lo
                                        ; implicit-def: $vgpr10
	v_cmp_ge_i32_e64 s0, v13, v5
	s_delay_alu instid0(VALU_DEP_3) | instskip(NEXT) | instid1(VALU_DEP_3)
	v_cmp_lt_i16_e64 s1, v11, v15
	v_cmp_lt_i32_e64 s2, v12, v4
	s_delay_alu instid0(VALU_DEP_2)
	s_or_b32 s0, s0, s1
	s_delay_alu instid0(VALU_DEP_1) | instid1(SALU_CYCLE_1)
	s_and_b32 s0, s2, s0
	s_delay_alu instid0(SALU_CYCLE_1) | instskip(NEXT) | instid1(SALU_CYCLE_1)
	s_xor_b32 s1, s0, -1
	s_and_saveexec_b32 s2, s1
	s_delay_alu instid0(SALU_CYCLE_1)
	s_xor_b32 s1, exec_lo, s2
	s_cbranch_execz .LBB80_106
; %bb.105:
	v_add_nc_u32_e32 v10, v0, v13
	ds_load_u8 v10, v10 offset:1
.LBB80_106:
	s_or_saveexec_b32 s1, s1
	v_mov_b32_e32 v11, v9
	s_xor_b32 exec_lo, exec_lo, s1
	s_cbranch_execz .LBB80_108
; %bb.107:
	s_waitcnt lgkmcnt(0)
	v_add_nc_u32_e32 v10, v0, v12
	ds_load_u8 v11, v10 offset:1
	v_mov_b32_e32 v10, v8
.LBB80_108:
	s_or_b32 exec_lo, exec_lo, s1
	v_add_nc_u32_e32 v14, 1, v13
	v_add_nc_u32_e32 v16, 1, v12
	s_waitcnt lgkmcnt(0)
	v_bfe_i32 v17, v10, 0, 8
	s_delay_alu instid0(VALU_DEP_3) | instskip(SKIP_2) | instid1(VALU_DEP_3)
	v_cndmask_b32_e64 v15, v14, v13, s0
	v_bfe_i32 v13, v11, 0, 8
	v_cndmask_b32_e64 v14, v12, v16, s0
                                        ; implicit-def: $vgpr12
	v_cmp_ge_i32_e64 s1, v15, v5
	s_delay_alu instid0(VALU_DEP_3) | instskip(NEXT) | instid1(VALU_DEP_3)
	v_cmp_lt_i16_e64 s2, v13, v17
	v_cmp_lt_i32_e64 s3, v14, v4
	s_delay_alu instid0(VALU_DEP_2)
	s_or_b32 s1, s1, s2
	s_delay_alu instid0(VALU_DEP_1) | instid1(SALU_CYCLE_1)
	s_and_b32 s1, s3, s1
	s_delay_alu instid0(SALU_CYCLE_1) | instskip(NEXT) | instid1(SALU_CYCLE_1)
	s_xor_b32 s2, s1, -1
	s_and_saveexec_b32 s3, s2
	s_delay_alu instid0(SALU_CYCLE_1)
	s_xor_b32 s2, exec_lo, s3
	s_cbranch_execz .LBB80_110
; %bb.109:
	v_add_nc_u32_e32 v12, v0, v15
	ds_load_u8 v12, v12 offset:1
.LBB80_110:
	s_or_saveexec_b32 s2, s2
	v_mov_b32_e32 v13, v11
	s_xor_b32 exec_lo, exec_lo, s2
	s_cbranch_execz .LBB80_112
; %bb.111:
	s_waitcnt lgkmcnt(0)
	v_add_nc_u32_e32 v12, v0, v14
	ds_load_u8 v13, v12 offset:1
	v_mov_b32_e32 v12, v10
.LBB80_112:
	s_or_b32 exec_lo, exec_lo, s2
	v_add_nc_u32_e32 v16, 1, v15
	v_add_nc_u32_e32 v18, 1, v14
	s_waitcnt lgkmcnt(0)
	v_bfe_i32 v19, v12, 0, 8
	s_delay_alu instid0(VALU_DEP_3) | instskip(SKIP_2) | instid1(VALU_DEP_3)
	v_cndmask_b32_e64 v17, v16, v15, s1
	v_bfe_i32 v15, v13, 0, 8
	v_cndmask_b32_e64 v16, v14, v18, s1
                                        ; implicit-def: $vgpr14
	v_cmp_ge_i32_e64 s2, v17, v5
	s_delay_alu instid0(VALU_DEP_3) | instskip(NEXT) | instid1(VALU_DEP_3)
	v_cmp_lt_i16_e64 s3, v15, v19
	v_cmp_lt_i32_e64 s4, v16, v4
	s_delay_alu instid0(VALU_DEP_2)
	s_or_b32 s2, s2, s3
	s_delay_alu instid0(VALU_DEP_1) | instid1(SALU_CYCLE_1)
	s_and_b32 s2, s4, s2
	s_delay_alu instid0(SALU_CYCLE_1) | instskip(NEXT) | instid1(SALU_CYCLE_1)
	s_xor_b32 s3, s2, -1
	s_and_saveexec_b32 s4, s3
	s_delay_alu instid0(SALU_CYCLE_1)
	s_xor_b32 s3, exec_lo, s4
	s_cbranch_execz .LBB80_114
; %bb.113:
	v_add_nc_u32_e32 v14, v0, v17
	ds_load_u8 v14, v14 offset:1
.LBB80_114:
	s_or_saveexec_b32 s3, s3
	v_mov_b32_e32 v15, v13
	s_xor_b32 exec_lo, exec_lo, s3
	s_cbranch_execz .LBB80_116
; %bb.115:
	s_waitcnt lgkmcnt(0)
	v_add_nc_u32_e32 v14, v0, v16
	ds_load_u8 v15, v14 offset:1
	v_mov_b32_e32 v14, v12
.LBB80_116:
	s_or_b32 exec_lo, exec_lo, s3
	v_add_nc_u32_e32 v18, 1, v17
	v_add_nc_u32_e32 v20, 1, v16
	s_waitcnt lgkmcnt(0)
	v_bfe_i32 v21, v14, 0, 8
	s_delay_alu instid0(VALU_DEP_3) | instskip(SKIP_2) | instid1(VALU_DEP_3)
	v_cndmask_b32_e64 v19, v18, v17, s2
	v_bfe_i32 v17, v15, 0, 8
	v_cndmask_b32_e64 v18, v16, v20, s2
                                        ; implicit-def: $vgpr16
	v_cmp_ge_i32_e64 s3, v19, v5
	s_delay_alu instid0(VALU_DEP_3) | instskip(NEXT) | instid1(VALU_DEP_3)
	v_cmp_lt_i16_e64 s4, v17, v21
	v_cmp_lt_i32_e64 s5, v18, v4
	s_delay_alu instid0(VALU_DEP_2)
	s_or_b32 s3, s3, s4
	s_delay_alu instid0(VALU_DEP_1) | instid1(SALU_CYCLE_1)
	s_and_b32 s3, s5, s3
	s_delay_alu instid0(SALU_CYCLE_1) | instskip(NEXT) | instid1(SALU_CYCLE_1)
	s_xor_b32 s4, s3, -1
	s_and_saveexec_b32 s5, s4
	s_delay_alu instid0(SALU_CYCLE_1)
	s_xor_b32 s4, exec_lo, s5
	s_cbranch_execz .LBB80_118
; %bb.117:
	v_add_nc_u32_e32 v16, v0, v19
	ds_load_u8 v16, v16 offset:1
.LBB80_118:
	s_or_saveexec_b32 s4, s4
	v_mov_b32_e32 v17, v15
	s_xor_b32 exec_lo, exec_lo, s4
	s_cbranch_execz .LBB80_120
; %bb.119:
	s_waitcnt lgkmcnt(0)
	v_add_nc_u32_e32 v16, v0, v18
	ds_load_u8 v17, v16 offset:1
	v_mov_b32_e32 v16, v14
.LBB80_120:
	s_or_b32 exec_lo, exec_lo, s4
	v_add_nc_u32_e32 v20, 1, v19
	v_add_nc_u32_e32 v22, 1, v18
	s_waitcnt lgkmcnt(0)
	v_bfe_i32 v23, v16, 0, 8
	s_delay_alu instid0(VALU_DEP_3) | instskip(SKIP_2) | instid1(VALU_DEP_3)
	v_cndmask_b32_e64 v21, v20, v19, s3
	v_bfe_i32 v19, v17, 0, 8
	v_cndmask_b32_e64 v20, v18, v22, s3
                                        ; implicit-def: $vgpr18
	v_cmp_ge_i32_e64 s4, v21, v5
	s_delay_alu instid0(VALU_DEP_3) | instskip(NEXT) | instid1(VALU_DEP_3)
	v_cmp_lt_i16_e64 s5, v19, v23
	v_cmp_lt_i32_e64 s6, v20, v4
	s_delay_alu instid0(VALU_DEP_2)
	s_or_b32 s4, s4, s5
	s_delay_alu instid0(VALU_DEP_1) | instid1(SALU_CYCLE_1)
	s_and_b32 s4, s6, s4
	s_delay_alu instid0(SALU_CYCLE_1) | instskip(NEXT) | instid1(SALU_CYCLE_1)
	s_xor_b32 s5, s4, -1
	s_and_saveexec_b32 s6, s5
	s_delay_alu instid0(SALU_CYCLE_1)
	s_xor_b32 s5, exec_lo, s6
	s_cbranch_execz .LBB80_122
; %bb.121:
	v_add_nc_u32_e32 v18, v0, v21
	ds_load_u8 v18, v18 offset:1
.LBB80_122:
	s_or_saveexec_b32 s5, s5
	v_mov_b32_e32 v19, v17
	s_xor_b32 exec_lo, exec_lo, s5
	s_cbranch_execz .LBB80_124
; %bb.123:
	s_waitcnt lgkmcnt(0)
	v_add_nc_u32_e32 v18, v0, v20
	ds_load_u8 v19, v18 offset:1
	v_mov_b32_e32 v18, v16
.LBB80_124:
	s_or_b32 exec_lo, exec_lo, s5
	v_add_nc_u32_e32 v22, 1, v21
	v_add_nc_u32_e32 v23, 1, v20
	s_waitcnt lgkmcnt(0)
	v_bfe_i32 v24, v18, 0, 8
	s_delay_alu instid0(VALU_DEP_3) | instskip(SKIP_2) | instid1(VALU_DEP_3)
	v_cndmask_b32_e64 v21, v22, v21, s4
	v_bfe_i32 v22, v19, 0, 8
	v_cndmask_b32_e64 v20, v20, v23, s4
	v_cmp_ge_i32_e64 s5, v21, v5
	s_delay_alu instid0(VALU_DEP_3) | instskip(NEXT) | instid1(VALU_DEP_3)
	v_cmp_lt_i16_e64 s6, v22, v24
	v_cmp_lt_i32_e64 s7, v20, v4
                                        ; implicit-def: $vgpr22
	s_delay_alu instid0(VALU_DEP_2)
	s_or_b32 s5, s5, s6
	s_delay_alu instid0(VALU_DEP_1) | instid1(SALU_CYCLE_1)
	s_and_b32 s5, s7, s5
	s_delay_alu instid0(SALU_CYCLE_1) | instskip(NEXT) | instid1(SALU_CYCLE_1)
	s_xor_b32 s6, s5, -1
	s_and_saveexec_b32 s7, s6
	s_delay_alu instid0(SALU_CYCLE_1)
	s_xor_b32 s6, exec_lo, s7
	s_cbranch_execz .LBB80_126
; %bb.125:
	v_add_nc_u32_e32 v22, v0, v21
	ds_load_u8 v22, v22 offset:1
.LBB80_126:
	s_or_saveexec_b32 s6, s6
	v_mov_b32_e32 v23, v19
	s_xor_b32 exec_lo, exec_lo, s6
	s_cbranch_execz .LBB80_128
; %bb.127:
	s_waitcnt lgkmcnt(0)
	v_add_nc_u32_e32 v22, v0, v20
	ds_load_u8 v23, v22 offset:1
	v_mov_b32_e32 v22, v18
.LBB80_128:
	s_or_b32 exec_lo, exec_lo, s6
	v_add_nc_u32_e32 v24, 1, v21
	v_cndmask_b32_e64 v18, v18, v19, s5
	v_dual_cndmask_b32 v6, v6, v7 :: v_dual_add_nc_u32 v19, 1, v20
	s_waitcnt lgkmcnt(0)
	v_bfe_i32 v25, v22, 0, 8
	v_bfe_i32 v26, v23, 0, 8
	v_cndmask_b32_e64 v21, v24, v21, s5
	v_cndmask_b32_e64 v16, v16, v17, s4
	;; [unrolled: 1-line block ×4, first 2 shown]
	v_cmp_lt_i16_e64 s3, v26, v25
	v_cmp_ge_i32_e64 s4, v21, v5
	v_cndmask_b32_e64 v5, v12, v13, s2
	v_cmp_lt_i32_e64 s2, v17, v4
	v_cndmask_b32_e64 v4, v8, v9, s0
	v_cndmask_b32_e64 v7, v10, v11, s1
	s_or_b32 s0, s4, s3
	v_and_b32_e32 v2, 0xf8, v2
	s_and_b32 vcc_lo, s2, s0
	v_lshlrev_b16 v4, 8, v4
	v_dual_cndmask_b32 v8, v22, v23 :: v_dual_and_b32 v11, 0xff, v18
	v_and_b32_e32 v6, 0xff, v6
	v_lshlrev_b16 v5, 8, v5
	v_lshlrev_b16 v9, 8, v16
	v_and_b32_e32 v10, 0xff, v14
	v_lshlrev_b16 v8, 8, v8
	v_cmp_lt_i32_e32 vcc_lo, 0x7f, v2
	v_and_b32_e32 v7, 0xff, v7
	v_or_b32_e32 v4, v6, v4
	v_or_b32_e32 v6, v10, v9
	s_mov_b32 s0, exec_lo
	s_delay_alu instid0(VALU_DEP_3)
	v_or_b32_e32 v5, v7, v5
	v_or_b32_e32 v7, v11, v8
	v_and_b32_e32 v8, 0xffff, v4
	v_add_nc_u32_e32 v4, 0xffffff80, v2
	v_and_b32_e32 v9, 0xffff, v6
	v_lshlrev_b32_e32 v5, 16, v5
	v_lshlrev_b32_e32 v10, 16, v7
	; wave barrier
	s_delay_alu instid0(VALU_DEP_4) | instskip(SKIP_1) | instid1(VALU_DEP_4)
	v_cndmask_b32_e32 v6, 0, v4, vcc_lo
	v_min_i32_e32 v4, 0x80, v2
	v_or_b32_e32 v7, v8, v5
	s_delay_alu instid0(VALU_DEP_4)
	v_or_b32_e32 v8, v9, v10
	ds_store_b64 v3, v[7:8]
	; wave barrier
	v_cmpx_lt_i32_e64 v6, v4
	s_cbranch_execz .LBB80_132
; %bb.129:
	v_add3_u32 v3, 0x80, v0, v2
	s_mov_b32 s1, 0
	.p2align	6
.LBB80_130:                             ; =>This Inner Loop Header: Depth=1
	v_sub_nc_u32_e32 v5, v4, v6
	s_delay_alu instid0(VALU_DEP_1) | instskip(NEXT) | instid1(VALU_DEP_1)
	v_lshrrev_b32_e32 v7, 31, v5
	v_add_nc_u32_e32 v5, v5, v7
	s_delay_alu instid0(VALU_DEP_1) | instskip(NEXT) | instid1(VALU_DEP_1)
	v_ashrrev_i32_e32 v5, 1, v5
	v_add_nc_u32_e32 v5, v5, v6
	s_delay_alu instid0(VALU_DEP_1)
	v_add_nc_u32_e32 v9, 1, v5
	v_add_nc_u32_e32 v7, v0, v5
	v_xad_u32 v8, v5, -1, v3
	ds_load_i8 v7, v7
	ds_load_i8 v8, v8
	s_waitcnt lgkmcnt(0)
	v_cmp_lt_i16_e32 vcc_lo, v8, v7
	v_cndmask_b32_e32 v6, v9, v6, vcc_lo
	v_cndmask_b32_e32 v4, v4, v5, vcc_lo
	s_delay_alu instid0(VALU_DEP_1) | instskip(SKIP_1) | instid1(SALU_CYCLE_1)
	v_cmp_ge_i32_e32 vcc_lo, v6, v4
	s_or_b32 s1, vcc_lo, s1
	s_and_not1_b32 exec_lo, exec_lo, s1
	s_cbranch_execnz .LBB80_130
; %bb.131:
	s_or_b32 exec_lo, exec_lo, s1
.LBB80_132:
	s_delay_alu instid0(SALU_CYCLE_1) | instskip(SKIP_3) | instid1(VALU_DEP_3)
	s_or_b32 exec_lo, exec_lo, s0
	v_add_nc_u32_e32 v2, 0x80, v2
	v_add_nc_u32_e32 v5, v0, v6
	v_cmp_le_i32_e32 vcc_lo, 0x80, v6
                                        ; implicit-def: $vgpr4
	v_sub_nc_u32_e32 v7, v2, v6
	s_delay_alu instid0(VALU_DEP_1)
	v_add_nc_u32_e32 v8, v0, v7
	v_cmp_gt_i32_e64 s1, 0x100, v7
	ds_load_u8 v2, v5
	ds_load_u8 v3, v8
	s_waitcnt lgkmcnt(1)
	v_bfe_i32 v2, v2, 0, 8
	s_waitcnt lgkmcnt(0)
	v_bfe_i32 v3, v3, 0, 8
	s_delay_alu instid0(VALU_DEP_1) | instskip(NEXT) | instid1(VALU_DEP_1)
	v_cmp_lt_i16_e64 s0, v3, v2
	s_or_b32 s0, vcc_lo, s0
	s_delay_alu instid0(SALU_CYCLE_1) | instskip(NEXT) | instid1(SALU_CYCLE_1)
	s_and_b32 vcc_lo, s1, s0
	s_xor_b32 s0, vcc_lo, -1
	s_delay_alu instid0(SALU_CYCLE_1) | instskip(NEXT) | instid1(SALU_CYCLE_1)
	s_and_saveexec_b32 s1, s0
	s_xor_b32 s0, exec_lo, s1
	s_cbranch_execz .LBB80_134
; %bb.133:
	ds_load_u8 v4, v5 offset:1
                                        ; implicit-def: $vgpr8
.LBB80_134:
	s_or_saveexec_b32 s0, s0
	v_mov_b32_e32 v5, v3
	s_xor_b32 exec_lo, exec_lo, s0
	s_cbranch_execz .LBB80_136
; %bb.135:
	ds_load_u8 v5, v8 offset:1
	s_waitcnt lgkmcnt(1)
	v_mov_b32_e32 v4, v2
.LBB80_136:
	s_or_b32 exec_lo, exec_lo, s0
	v_add_nc_u32_e32 v8, 1, v6
	v_add_nc_u32_e32 v10, 1, v7
	s_waitcnt lgkmcnt(0)
	v_bfe_i32 v11, v4, 0, 8
	s_delay_alu instid0(VALU_DEP_3) | instskip(SKIP_2) | instid1(VALU_DEP_3)
	v_cndmask_b32_e32 v9, v8, v6, vcc_lo
	v_bfe_i32 v6, v5, 0, 8
	v_cndmask_b32_e32 v8, v7, v10, vcc_lo
	v_cmp_le_i32_e64 s0, 0x80, v9
	s_delay_alu instid0(VALU_DEP_3) | instskip(NEXT) | instid1(VALU_DEP_3)
	v_cmp_lt_i16_e64 s1, v6, v11
	v_cmp_gt_i32_e64 s2, 0x100, v8
                                        ; implicit-def: $vgpr6
	s_delay_alu instid0(VALU_DEP_2)
	s_or_b32 s0, s0, s1
	s_delay_alu instid0(VALU_DEP_1) | instid1(SALU_CYCLE_1)
	s_and_b32 s0, s2, s0
	s_delay_alu instid0(SALU_CYCLE_1) | instskip(NEXT) | instid1(SALU_CYCLE_1)
	s_xor_b32 s1, s0, -1
	s_and_saveexec_b32 s2, s1
	s_delay_alu instid0(SALU_CYCLE_1)
	s_xor_b32 s1, exec_lo, s2
	s_cbranch_execz .LBB80_138
; %bb.137:
	v_add_nc_u32_e32 v6, v0, v9
	ds_load_u8 v6, v6 offset:1
.LBB80_138:
	s_or_saveexec_b32 s1, s1
	v_mov_b32_e32 v7, v5
	s_xor_b32 exec_lo, exec_lo, s1
	s_cbranch_execz .LBB80_140
; %bb.139:
	s_waitcnt lgkmcnt(0)
	v_add_nc_u32_e32 v6, v0, v8
	ds_load_u8 v7, v6 offset:1
	v_mov_b32_e32 v6, v4
.LBB80_140:
	s_or_b32 exec_lo, exec_lo, s1
	v_add_nc_u32_e32 v10, 1, v9
	v_add_nc_u32_e32 v12, 1, v8
	s_waitcnt lgkmcnt(0)
	v_bfe_i32 v13, v6, 0, 8
	s_delay_alu instid0(VALU_DEP_3) | instskip(SKIP_2) | instid1(VALU_DEP_3)
	v_cndmask_b32_e64 v11, v10, v9, s0
	v_bfe_i32 v9, v7, 0, 8
	v_cndmask_b32_e64 v10, v8, v12, s0
                                        ; implicit-def: $vgpr8
	v_cmp_le_i32_e64 s1, 0x80, v11
	s_delay_alu instid0(VALU_DEP_3) | instskip(NEXT) | instid1(VALU_DEP_3)
	v_cmp_lt_i16_e64 s2, v9, v13
	v_cmp_gt_i32_e64 s3, 0x100, v10
	s_delay_alu instid0(VALU_DEP_2)
	s_or_b32 s1, s1, s2
	s_delay_alu instid0(VALU_DEP_1) | instid1(SALU_CYCLE_1)
	s_and_b32 s1, s3, s1
	s_delay_alu instid0(SALU_CYCLE_1) | instskip(NEXT) | instid1(SALU_CYCLE_1)
	s_xor_b32 s2, s1, -1
	s_and_saveexec_b32 s3, s2
	s_delay_alu instid0(SALU_CYCLE_1)
	s_xor_b32 s2, exec_lo, s3
	s_cbranch_execz .LBB80_142
; %bb.141:
	v_add_nc_u32_e32 v8, v0, v11
	ds_load_u8 v8, v8 offset:1
.LBB80_142:
	s_or_saveexec_b32 s2, s2
	v_mov_b32_e32 v9, v7
	s_xor_b32 exec_lo, exec_lo, s2
	s_cbranch_execz .LBB80_144
; %bb.143:
	s_waitcnt lgkmcnt(0)
	v_add_nc_u32_e32 v8, v0, v10
	ds_load_u8 v9, v8 offset:1
	v_mov_b32_e32 v8, v6
.LBB80_144:
	s_or_b32 exec_lo, exec_lo, s2
	v_add_nc_u32_e32 v12, 1, v11
	v_add_nc_u32_e32 v14, 1, v10
	s_waitcnt lgkmcnt(0)
	v_bfe_i32 v15, v8, 0, 8
	s_delay_alu instid0(VALU_DEP_3) | instskip(SKIP_2) | instid1(VALU_DEP_3)
	v_cndmask_b32_e64 v13, v12, v11, s1
	v_bfe_i32 v11, v9, 0, 8
	v_cndmask_b32_e64 v12, v10, v14, s1
                                        ; implicit-def: $vgpr10
	v_cmp_le_i32_e64 s2, 0x80, v13
	s_delay_alu instid0(VALU_DEP_3) | instskip(NEXT) | instid1(VALU_DEP_3)
	v_cmp_lt_i16_e64 s3, v11, v15
	v_cmp_gt_i32_e64 s4, 0x100, v12
	s_delay_alu instid0(VALU_DEP_2)
	s_or_b32 s2, s2, s3
	s_delay_alu instid0(VALU_DEP_1) | instid1(SALU_CYCLE_1)
	s_and_b32 s2, s4, s2
	s_delay_alu instid0(SALU_CYCLE_1) | instskip(NEXT) | instid1(SALU_CYCLE_1)
	s_xor_b32 s3, s2, -1
	s_and_saveexec_b32 s4, s3
	s_delay_alu instid0(SALU_CYCLE_1)
	s_xor_b32 s3, exec_lo, s4
	s_cbranch_execz .LBB80_146
; %bb.145:
	v_add_nc_u32_e32 v10, v0, v13
	ds_load_u8 v10, v10 offset:1
.LBB80_146:
	s_or_saveexec_b32 s3, s3
	v_mov_b32_e32 v11, v9
	s_xor_b32 exec_lo, exec_lo, s3
	s_cbranch_execz .LBB80_148
; %bb.147:
	s_waitcnt lgkmcnt(0)
	v_add_nc_u32_e32 v10, v0, v12
	ds_load_u8 v11, v10 offset:1
	v_mov_b32_e32 v10, v8
.LBB80_148:
	s_or_b32 exec_lo, exec_lo, s3
	v_add_nc_u32_e32 v14, 1, v13
	v_add_nc_u32_e32 v16, 1, v12
	s_waitcnt lgkmcnt(0)
	v_bfe_i32 v17, v10, 0, 8
	s_delay_alu instid0(VALU_DEP_3) | instskip(SKIP_2) | instid1(VALU_DEP_3)
	v_cndmask_b32_e64 v15, v14, v13, s2
	v_bfe_i32 v13, v11, 0, 8
	v_cndmask_b32_e64 v14, v12, v16, s2
                                        ; implicit-def: $vgpr12
	v_cmp_le_i32_e64 s3, 0x80, v15
	s_delay_alu instid0(VALU_DEP_3) | instskip(NEXT) | instid1(VALU_DEP_3)
	v_cmp_lt_i16_e64 s4, v13, v17
	v_cmp_gt_i32_e64 s5, 0x100, v14
	s_delay_alu instid0(VALU_DEP_2)
	s_or_b32 s3, s3, s4
	s_delay_alu instid0(VALU_DEP_1) | instid1(SALU_CYCLE_1)
	s_and_b32 s3, s5, s3
	s_delay_alu instid0(SALU_CYCLE_1) | instskip(NEXT) | instid1(SALU_CYCLE_1)
	s_xor_b32 s4, s3, -1
	s_and_saveexec_b32 s5, s4
	s_delay_alu instid0(SALU_CYCLE_1)
	s_xor_b32 s4, exec_lo, s5
	s_cbranch_execz .LBB80_150
; %bb.149:
	v_add_nc_u32_e32 v12, v0, v15
	ds_load_u8 v12, v12 offset:1
.LBB80_150:
	s_or_saveexec_b32 s4, s4
	v_mov_b32_e32 v13, v11
	s_xor_b32 exec_lo, exec_lo, s4
	s_cbranch_execz .LBB80_152
; %bb.151:
	s_waitcnt lgkmcnt(0)
	v_add_nc_u32_e32 v12, v0, v14
	ds_load_u8 v13, v12 offset:1
	v_mov_b32_e32 v12, v10
.LBB80_152:
	s_or_b32 exec_lo, exec_lo, s4
	v_add_nc_u32_e32 v16, 1, v15
	v_add_nc_u32_e32 v18, 1, v14
	s_waitcnt lgkmcnt(0)
	v_bfe_i32 v19, v12, 0, 8
	s_delay_alu instid0(VALU_DEP_3) | instskip(SKIP_2) | instid1(VALU_DEP_3)
	v_cndmask_b32_e64 v17, v16, v15, s3
	v_bfe_i32 v15, v13, 0, 8
	v_cndmask_b32_e64 v16, v14, v18, s3
	v_cmp_le_i32_e64 s4, 0x80, v17
	s_delay_alu instid0(VALU_DEP_3) | instskip(NEXT) | instid1(VALU_DEP_3)
	v_cmp_lt_i16_e64 s5, v15, v19
	v_cmp_gt_i32_e64 s6, 0x100, v16
                                        ; implicit-def: $vgpr15
	s_delay_alu instid0(VALU_DEP_2)
	s_or_b32 s4, s4, s5
	s_delay_alu instid0(VALU_DEP_1) | instid1(SALU_CYCLE_1)
	s_and_b32 s4, s6, s4
	s_delay_alu instid0(SALU_CYCLE_1) | instskip(NEXT) | instid1(SALU_CYCLE_1)
	s_xor_b32 s5, s4, -1
	s_and_saveexec_b32 s6, s5
	s_delay_alu instid0(SALU_CYCLE_1)
	s_xor_b32 s5, exec_lo, s6
	s_cbranch_execz .LBB80_154
; %bb.153:
	v_add_nc_u32_e32 v14, v0, v17
	ds_load_u8 v15, v14 offset:1
.LBB80_154:
	s_or_saveexec_b32 s5, s5
	v_mov_b32_e32 v14, v13
	s_xor_b32 exec_lo, exec_lo, s5
	s_cbranch_execz .LBB80_156
; %bb.155:
	v_add_nc_u32_e32 v14, v0, v16
	s_waitcnt lgkmcnt(0)
	v_mov_b32_e32 v15, v12
	ds_load_u8 v14, v14 offset:1
.LBB80_156:
	s_or_b32 exec_lo, exec_lo, s5
	v_add_nc_u32_e32 v18, 1, v17
	v_add_nc_u32_e32 v19, 1, v16
	s_waitcnt lgkmcnt(0)
	v_bfe_i32 v21, v15, 0, 8
	s_delay_alu instid0(VALU_DEP_3) | instskip(SKIP_2) | instid1(VALU_DEP_3)
	v_cndmask_b32_e64 v20, v18, v17, s4
	v_bfe_i32 v17, v14, 0, 8
	v_cndmask_b32_e64 v16, v16, v19, s4
                                        ; implicit-def: $vgpr19
	v_cmp_gt_i32_e64 s5, 0x80, v20
	s_delay_alu instid0(VALU_DEP_3) | instskip(NEXT) | instid1(VALU_DEP_3)
	v_cmp_ge_i16_e64 s6, v17, v21
	v_cmp_le_i32_e64 s7, 0x100, v16
                                        ; implicit-def: $vgpr17
	s_delay_alu instid0(VALU_DEP_2)
	s_and_b32 s5, s5, s6
	s_delay_alu instid0(VALU_DEP_1) | instid1(SALU_CYCLE_1)
	s_or_b32 s5, s7, s5
	s_delay_alu instid0(SALU_CYCLE_1) | instskip(NEXT) | instid1(SALU_CYCLE_1)
	s_and_saveexec_b32 s6, s5
	s_xor_b32 s5, exec_lo, s6
	s_cbranch_execz .LBB80_158
; %bb.157:
	v_add_nc_u32_e32 v0, v0, v20
	v_add_nc_u32_e32 v19, 1, v20
                                        ; implicit-def: $vgpr20
	ds_load_u8 v17, v0 offset:1
                                        ; implicit-def: $vgpr0
.LBB80_158:
	s_or_saveexec_b32 s5, s5
	v_mov_b32_e32 v18, v15
	s_xor_b32 exec_lo, exec_lo, s5
	s_cbranch_execz .LBB80_160
; %bb.159:
	s_waitcnt lgkmcnt(0)
	v_dual_mov_b32 v17, v15 :: v_dual_add_nc_u32 v0, v0, v16
	v_dual_mov_b32 v19, v20 :: v_dual_add_nc_u32 v16, 1, v16
	v_mov_b32_e32 v18, v14
	ds_load_u8 v0, v0 offset:1
	s_waitcnt lgkmcnt(0)
	v_mov_b32_e32 v14, v0
.LBB80_160:
	s_or_b32 exec_lo, exec_lo, s5
	s_waitcnt lgkmcnt(0)
	v_bfe_i32 v0, v17, 0, 8
	s_delay_alu instid0(VALU_DEP_2)
	v_bfe_i32 v15, v14, 0, 8
	v_cndmask_b32_e64 v12, v12, v13, s4
	v_cndmask_b32_e64 v10, v10, v11, s3
	v_cmp_le_i32_e64 s3, 0x80, v19
	v_cndmask_b32_e64 v4, v4, v5, s0
	v_cmp_lt_i16_e64 s4, v15, v0
	v_cndmask_b32_e64 v0, v8, v9, s2
	v_cmp_gt_i32_e64 s2, 0x100, v16
	v_cndmask_b32_e32 v2, v2, v3, vcc_lo
	v_cndmask_b32_e64 v3, v6, v7, s1
	s_or_b32 s0, s3, s4
	v_lshlrev_b16 v4, 8, v4
	s_and_b32 vcc_lo, s2, s0
	v_lshlrev_b16 v0, 8, v0
	v_cndmask_b32_e32 v5, v17, v14, vcc_lo
	v_and_b32_e32 v2, 0xff, v2
	v_and_b32_e32 v3, 0xff, v3
	v_lshlrev_b16 v6, 8, v12
	v_and_b32_e32 v7, 0xff, v10
	v_lshlrev_b16 v5, 8, v5
	v_and_b32_e32 v8, 0xff, v18
	v_or_b32_e32 v2, v2, v4
	v_or_b32_e32 v0, v3, v0
	;; [unrolled: 1-line block ×3, first 2 shown]
	s_add_u32 s0, s10, s12
	v_or_b32_e32 v4, v8, v5
	v_and_b32_e32 v2, 0xffff, v2
	v_lshlrev_b32_e32 v5, 16, v0
	v_and_b32_e32 v3, 0xffff, v3
	s_addc_u32 s1, s11, 0
	v_lshlrev_b32_e32 v4, 16, v4
	v_add_co_u32 v0, s0, s0, v1
	s_delay_alu instid0(VALU_DEP_1) | instskip(SKIP_1) | instid1(VALU_DEP_4)
	v_add_co_ci_u32_e64 v1, null, s1, 0, s0
	v_or_b32_e32 v2, v2, v5
	v_or_b32_e32 v3, v3, v4
	global_store_b64 v[0:1], v[2:3], off
	s_nop 0
	s_sendmsg sendmsg(MSG_DEALLOC_VGPRS)
	s_endpgm
	.section	.rodata,"a",@progbits
	.p2align	6, 0x0
	.amdhsa_kernel _Z9sort_keysILj256ELj32ELj8EaN10test_utils4lessEEvPKT2_PS2_T3_
		.amdhsa_group_segment_fixed_size 2056
		.amdhsa_private_segment_fixed_size 0
		.amdhsa_kernarg_size 20
		.amdhsa_user_sgpr_count 15
		.amdhsa_user_sgpr_dispatch_ptr 0
		.amdhsa_user_sgpr_queue_ptr 0
		.amdhsa_user_sgpr_kernarg_segment_ptr 1
		.amdhsa_user_sgpr_dispatch_id 0
		.amdhsa_user_sgpr_private_segment_size 0
		.amdhsa_wavefront_size32 1
		.amdhsa_uses_dynamic_stack 0
		.amdhsa_enable_private_segment 0
		.amdhsa_system_sgpr_workgroup_id_x 1
		.amdhsa_system_sgpr_workgroup_id_y 0
		.amdhsa_system_sgpr_workgroup_id_z 0
		.amdhsa_system_sgpr_workgroup_info 0
		.amdhsa_system_vgpr_workitem_id 0
		.amdhsa_next_free_vgpr 30
		.amdhsa_next_free_sgpr 16
		.amdhsa_reserve_vcc 1
		.amdhsa_float_round_mode_32 0
		.amdhsa_float_round_mode_16_64 0
		.amdhsa_float_denorm_mode_32 3
		.amdhsa_float_denorm_mode_16_64 3
		.amdhsa_dx10_clamp 1
		.amdhsa_ieee_mode 1
		.amdhsa_fp16_overflow 0
		.amdhsa_workgroup_processor_mode 1
		.amdhsa_memory_ordered 1
		.amdhsa_forward_progress 0
		.amdhsa_shared_vgpr_count 0
		.amdhsa_exception_fp_ieee_invalid_op 0
		.amdhsa_exception_fp_denorm_src 0
		.amdhsa_exception_fp_ieee_div_zero 0
		.amdhsa_exception_fp_ieee_overflow 0
		.amdhsa_exception_fp_ieee_underflow 0
		.amdhsa_exception_fp_ieee_inexact 0
		.amdhsa_exception_int_div_zero 0
	.end_amdhsa_kernel
	.section	.text._Z9sort_keysILj256ELj32ELj8EaN10test_utils4lessEEvPKT2_PS2_T3_,"axG",@progbits,_Z9sort_keysILj256ELj32ELj8EaN10test_utils4lessEEvPKT2_PS2_T3_,comdat
.Lfunc_end80:
	.size	_Z9sort_keysILj256ELj32ELj8EaN10test_utils4lessEEvPKT2_PS2_T3_, .Lfunc_end80-_Z9sort_keysILj256ELj32ELj8EaN10test_utils4lessEEvPKT2_PS2_T3_
                                        ; -- End function
	.section	.AMDGPU.csdata,"",@progbits
; Kernel info:
; codeLenInByte = 10380
; NumSgprs: 18
; NumVgprs: 30
; ScratchSize: 0
; MemoryBound: 0
; FloatMode: 240
; IeeeMode: 1
; LDSByteSize: 2056 bytes/workgroup (compile time only)
; SGPRBlocks: 2
; VGPRBlocks: 3
; NumSGPRsForWavesPerEU: 18
; NumVGPRsForWavesPerEU: 30
; Occupancy: 16
; WaveLimiterHint : 0
; COMPUTE_PGM_RSRC2:SCRATCH_EN: 0
; COMPUTE_PGM_RSRC2:USER_SGPR: 15
; COMPUTE_PGM_RSRC2:TRAP_HANDLER: 0
; COMPUTE_PGM_RSRC2:TGID_X_EN: 1
; COMPUTE_PGM_RSRC2:TGID_Y_EN: 0
; COMPUTE_PGM_RSRC2:TGID_Z_EN: 0
; COMPUTE_PGM_RSRC2:TIDIG_COMP_CNT: 0
	.section	.text._Z10sort_pairsILj256ELj32ELj8EaN10test_utils4lessEEvPKT2_PS2_T3_,"axG",@progbits,_Z10sort_pairsILj256ELj32ELj8EaN10test_utils4lessEEvPKT2_PS2_T3_,comdat
	.protected	_Z10sort_pairsILj256ELj32ELj8EaN10test_utils4lessEEvPKT2_PS2_T3_ ; -- Begin function _Z10sort_pairsILj256ELj32ELj8EaN10test_utils4lessEEvPKT2_PS2_T3_
	.globl	_Z10sort_pairsILj256ELj32ELj8EaN10test_utils4lessEEvPKT2_PS2_T3_
	.p2align	8
	.type	_Z10sort_pairsILj256ELj32ELj8EaN10test_utils4lessEEvPKT2_PS2_T3_,@function
_Z10sort_pairsILj256ELj32ELj8EaN10test_utils4lessEEvPKT2_PS2_T3_: ; @_Z10sort_pairsILj256ELj32ELj8EaN10test_utils4lessEEvPKT2_PS2_T3_
; %bb.0:
	s_load_b128 s[36:39], s[0:1], 0x0
	s_lshl_b32 s40, s15, 11
	v_lshlrev_b32_e32 v3, 3, v0
	v_lshrrev_b32_e32 v0, 5, v0
	s_mov_b32 s28, 0
	s_mov_b32 s29, exec_lo
	s_waitcnt lgkmcnt(0)
	s_add_u32 s0, s36, s40
	s_addc_u32 s1, s37, 0
	global_load_b64 v[1:2], v3, s[0:1]
	; wave barrier
	s_waitcnt vmcnt(0)
	v_lshrrev_b32_e32 v4, 8, v1
	v_bfe_i32 v5, v1, 0, 8
	v_bfe_i32 v11, v2, 0, 8
	v_perm_b32 v13, v2, v2, 0x7060405
	s_delay_alu instid0(VALU_DEP_4) | instskip(SKIP_1) | instid1(VALU_DEP_2)
	v_bfe_i32 v6, v4, 0, 8
	v_perm_b32 v4, v1, v1, 0x3020405
	v_cmp_lt_i16_e32 vcc_lo, v6, v5
	s_delay_alu instid0(VALU_DEP_2) | instskip(NEXT) | instid1(VALU_DEP_1)
	v_cndmask_b32_e32 v4, v1, v4, vcc_lo
	v_lshrrev_b32_e32 v8, 16, v4
	v_lshrrev_b32_e32 v9, 24, v4
	s_delay_alu instid0(VALU_DEP_2) | instskip(NEXT) | instid1(VALU_DEP_2)
	v_perm_b32 v7, 0, v8, 0xc0c0001
	v_bfe_i32 v9, v9, 0, 8
	v_bfe_i32 v8, v8, 0, 8
	s_delay_alu instid0(VALU_DEP_3) | instskip(SKIP_1) | instid1(VALU_DEP_3)
	v_lshlrev_b32_e32 v10, 16, v7
	v_lshrrev_b32_e32 v7, 8, v2
	v_cmp_lt_i16_e64 s0, v9, v8
	s_delay_alu instid0(VALU_DEP_3) | instskip(NEXT) | instid1(VALU_DEP_3)
	v_and_or_b32 v10, 0xffff, v4, v10
	v_bfe_i32 v12, v7, 0, 8
	s_delay_alu instid0(VALU_DEP_2) | instskip(NEXT) | instid1(VALU_DEP_2)
	v_cndmask_b32_e64 v4, v4, v10, s0
	v_cmp_lt_i16_e64 s1, v12, v11
	s_delay_alu instid0(VALU_DEP_2) | instskip(NEXT) | instid1(VALU_DEP_2)
	v_lshrrev_b32_e32 v9, 16, v4
	v_cndmask_b32_e64 v8, v2, v13, s1
	v_lshrrev_b32_e32 v10, 8, v4
	v_perm_b32 v13, v4, v4, 0x7050604
	s_delay_alu instid0(VALU_DEP_4) | instskip(NEXT) | instid1(VALU_DEP_4)
	v_bfe_i32 v9, v9, 0, 8
	v_lshrrev_b32_e32 v11, 24, v8
	v_lshrrev_b32_e32 v12, 16, v8
	v_bfe_i32 v10, v10, 0, 8
	v_perm_b32 v14, v8, v8, 0x6070504
	s_delay_alu instid0(VALU_DEP_4) | instskip(NEXT) | instid1(VALU_DEP_4)
	v_bfe_i32 v11, v11, 0, 8
	v_bfe_i32 v12, v12, 0, 8
	s_delay_alu instid0(VALU_DEP_4) | instskip(NEXT) | instid1(VALU_DEP_2)
	v_cmp_lt_i16_e64 s3, v9, v10
	v_cmp_lt_i16_e64 s4, v11, v12
	s_delay_alu instid0(VALU_DEP_2) | instskip(NEXT) | instid1(VALU_DEP_2)
	v_cndmask_b32_e64 v4, v4, v13, s3
	v_cndmask_b32_e64 v8, v8, v14, s4
	s_delay_alu instid0(VALU_DEP_2) | instskip(NEXT) | instid1(VALU_DEP_2)
	v_lshrrev_b32_e32 v9, 16, v4
	v_lshlrev_b16 v10, 8, v8
	s_delay_alu instid0(VALU_DEP_2) | instskip(SKIP_1) | instid1(VALU_DEP_2)
	v_and_b32_e32 v9, 0xff, v9
	v_bfe_i32 v11, v8, 0, 8
	v_or_b32_e32 v9, v9, v10
	v_lshrrev_b32_e32 v10, 24, v4
	s_delay_alu instid0(VALU_DEP_2) | instskip(NEXT) | instid1(VALU_DEP_2)
	v_lshlrev_b32_e32 v9, 16, v9
	v_bfe_i32 v10, v10, 0, 8
	s_delay_alu instid0(VALU_DEP_2) | instskip(NEXT) | instid1(VALU_DEP_2)
	v_and_or_b32 v9, 0xffff, v4, v9
	v_cmp_lt_i16_e64 s2, v11, v10
	s_delay_alu instid0(VALU_DEP_1) | instskip(SKIP_1) | instid1(VALU_DEP_2)
	v_cndmask_b32_e64 v9, v4, v9, s2
	v_perm_b32 v4, v4, v8, 0x3020107
	v_lshrrev_b32_e32 v10, 8, v9
	v_perm_b32 v11, 0, v9, 0xc0c0001
	s_delay_alu instid0(VALU_DEP_3) | instskip(SKIP_1) | instid1(VALU_DEP_4)
	v_cndmask_b32_e64 v4, v8, v4, s2
	v_bfe_i32 v8, v9, 0, 8
	v_bfe_i32 v10, v10, 0, 8
	s_delay_alu instid0(VALU_DEP_4) | instskip(NEXT) | instid1(VALU_DEP_4)
	v_and_or_b32 v11, 0xffff0000, v9, v11
	v_lshrrev_b32_e32 v12, 16, v4
	s_delay_alu instid0(VALU_DEP_3) | instskip(NEXT) | instid1(VALU_DEP_2)
	v_cmp_lt_i16_e64 s5, v10, v8
	v_bfe_i32 v10, v12, 0, 8
	v_perm_b32 v12, v4, v4, 0x7050604
	s_delay_alu instid0(VALU_DEP_3) | instskip(SKIP_1) | instid1(VALU_DEP_2)
	v_cndmask_b32_e64 v8, v9, v11, s5
	v_lshrrev_b32_e32 v9, 8, v4
	v_lshrrev_b32_e32 v11, 16, v8
	s_delay_alu instid0(VALU_DEP_2) | instskip(NEXT) | instid1(VALU_DEP_2)
	v_bfe_i32 v9, v9, 0, 8
	v_perm_b32 v13, 0, v11, 0xc0c0001
	s_delay_alu instid0(VALU_DEP_2) | instskip(SKIP_2) | instid1(VALU_DEP_4)
	v_cmp_lt_i16_e64 s6, v10, v9
	v_lshrrev_b32_e32 v9, 24, v8
	v_bfe_i32 v11, v11, 0, 8
	v_lshlrev_b32_e32 v10, 16, v13
	s_delay_alu instid0(VALU_DEP_4) | instskip(NEXT) | instid1(VALU_DEP_4)
	v_cndmask_b32_e64 v4, v4, v12, s6
	v_bfe_i32 v9, v9, 0, 8
	s_delay_alu instid0(VALU_DEP_3) | instskip(NEXT) | instid1(VALU_DEP_3)
	v_and_or_b32 v10, 0xffff, v8, v10
	v_lshrrev_b32_e32 v12, 8, v4
	v_bfe_i32 v13, v4, 0, 8
	s_delay_alu instid0(VALU_DEP_4) | instskip(SKIP_1) | instid1(VALU_DEP_4)
	v_cmp_lt_i16_e64 s8, v9, v11
	v_perm_b32 v14, v4, v4, 0x7060405
	v_bfe_i32 v12, v12, 0, 8
	s_delay_alu instid0(VALU_DEP_3) | instskip(NEXT) | instid1(VALU_DEP_2)
	v_cndmask_b32_e64 v8, v8, v10, s8
	v_cmp_lt_i16_e64 s9, v12, v13
	s_delay_alu instid0(VALU_DEP_2) | instskip(SKIP_2) | instid1(VALU_DEP_4)
	v_lshrrev_b32_e32 v9, 16, v8
	v_lshrrev_b32_e32 v10, 8, v8
	v_perm_b32 v13, v8, v8, 0x7050604
	v_cndmask_b32_e64 v4, v4, v14, s9
	s_delay_alu instid0(VALU_DEP_4) | instskip(NEXT) | instid1(VALU_DEP_4)
	v_bfe_i32 v9, v9, 0, 8
	v_bfe_i32 v10, v10, 0, 8
	s_delay_alu instid0(VALU_DEP_3) | instskip(SKIP_2) | instid1(VALU_DEP_4)
	v_lshrrev_b32_e32 v11, 24, v4
	v_lshrrev_b32_e32 v12, 16, v4
	v_perm_b32 v14, v4, v4, 0x6070504
	v_cmp_lt_i16_e64 s13, v9, v10
	s_delay_alu instid0(VALU_DEP_4) | instskip(NEXT) | instid1(VALU_DEP_4)
	v_bfe_i32 v11, v11, 0, 8
	v_bfe_i32 v12, v12, 0, 8
	s_delay_alu instid0(VALU_DEP_3) | instskip(NEXT) | instid1(VALU_DEP_2)
	v_cndmask_b32_e64 v8, v8, v13, s13
	v_cmp_lt_i16_e64 s14, v11, v12
	s_delay_alu instid0(VALU_DEP_2) | instskip(NEXT) | instid1(VALU_DEP_2)
	v_lshrrev_b32_e32 v9, 16, v8
	v_cndmask_b32_e64 v4, v4, v14, s14
	s_delay_alu instid0(VALU_DEP_2) | instskip(NEXT) | instid1(VALU_DEP_2)
	v_and_b32_e32 v9, 0xff, v9
	v_lshlrev_b16 v10, 8, v4
	v_bfe_i32 v11, v4, 0, 8
	s_delay_alu instid0(VALU_DEP_2) | instskip(SKIP_1) | instid1(VALU_DEP_2)
	v_or_b32_e32 v9, v9, v10
	v_lshrrev_b32_e32 v10, 24, v8
	v_lshlrev_b32_e32 v9, 16, v9
	s_delay_alu instid0(VALU_DEP_2) | instskip(NEXT) | instid1(VALU_DEP_2)
	v_bfe_i32 v10, v10, 0, 8
	v_and_or_b32 v9, 0xffff, v8, v9
	s_delay_alu instid0(VALU_DEP_2) | instskip(NEXT) | instid1(VALU_DEP_1)
	v_cmp_lt_i16_e64 s12, v11, v10
	v_cndmask_b32_e64 v9, v8, v9, s12
	v_perm_b32 v8, v8, v4, 0x3020107
	s_delay_alu instid0(VALU_DEP_2) | instskip(SKIP_1) | instid1(VALU_DEP_3)
	v_lshrrev_b32_e32 v10, 8, v9
	v_perm_b32 v11, 0, v9, 0xc0c0001
	v_cndmask_b32_e64 v4, v4, v8, s12
	v_bfe_i32 v8, v9, 0, 8
	s_delay_alu instid0(VALU_DEP_4) | instskip(NEXT) | instid1(VALU_DEP_4)
	v_bfe_i32 v10, v10, 0, 8
	v_and_or_b32 v11, 0xffff0000, v9, v11
	s_delay_alu instid0(VALU_DEP_4) | instskip(NEXT) | instid1(VALU_DEP_3)
	v_lshrrev_b32_e32 v12, 16, v4
	v_cmp_lt_i16_e64 s18, v10, v8
	s_delay_alu instid0(VALU_DEP_2) | instskip(SKIP_1) | instid1(VALU_DEP_3)
	v_bfe_i32 v10, v12, 0, 8
	v_perm_b32 v12, v4, v4, 0x7050604
	v_cndmask_b32_e64 v8, v9, v11, s18
	v_lshrrev_b32_e32 v9, 8, v4
	s_delay_alu instid0(VALU_DEP_2) | instskip(NEXT) | instid1(VALU_DEP_2)
	v_lshrrev_b32_e32 v11, 16, v8
	v_bfe_i32 v9, v9, 0, 8
	s_delay_alu instid0(VALU_DEP_2) | instskip(NEXT) | instid1(VALU_DEP_2)
	v_perm_b32 v13, 0, v11, 0xc0c0001
	v_cmp_lt_i16_e64 s19, v10, v9
	v_lshrrev_b32_e32 v9, 24, v8
	v_bfe_i32 v11, v11, 0, 8
	s_delay_alu instid0(VALU_DEP_4) | instskip(NEXT) | instid1(VALU_DEP_4)
	v_lshlrev_b32_e32 v10, 16, v13
	v_cndmask_b32_e64 v4, v4, v12, s19
	s_delay_alu instid0(VALU_DEP_4) | instskip(NEXT) | instid1(VALU_DEP_3)
	v_bfe_i32 v9, v9, 0, 8
	v_and_or_b32 v10, 0xffff, v8, v10
	s_delay_alu instid0(VALU_DEP_3) | instskip(SKIP_1) | instid1(VALU_DEP_4)
	v_lshrrev_b32_e32 v12, 8, v4
	v_bfe_i32 v13, v4, 0, 8
	v_cmp_lt_i16_e64 s20, v9, v11
	v_perm_b32 v14, v4, v4, 0x7060405
	s_delay_alu instid0(VALU_DEP_4) | instskip(NEXT) | instid1(VALU_DEP_3)
	v_bfe_i32 v12, v12, 0, 8
	v_cndmask_b32_e64 v8, v8, v10, s20
	s_delay_alu instid0(VALU_DEP_2) | instskip(NEXT) | instid1(VALU_DEP_2)
	v_cmp_lt_i16_e64 s22, v12, v13
	v_lshrrev_b32_e32 v9, 16, v8
	v_lshrrev_b32_e32 v10, 8, v8
	v_perm_b32 v13, v8, v8, 0x7050604
	s_delay_alu instid0(VALU_DEP_4) | instskip(NEXT) | instid1(VALU_DEP_4)
	v_cndmask_b32_e64 v4, v4, v14, s22
	v_bfe_i32 v9, v9, 0, 8
	s_delay_alu instid0(VALU_DEP_4) | instskip(NEXT) | instid1(VALU_DEP_3)
	v_bfe_i32 v10, v10, 0, 8
	v_lshrrev_b32_e32 v11, 24, v4
	v_lshrrev_b32_e32 v12, 16, v4
	v_perm_b32 v14, v4, v4, 0x6070504
	s_delay_alu instid0(VALU_DEP_4) | instskip(NEXT) | instid1(VALU_DEP_4)
	v_cmp_lt_i16_e64 s24, v9, v10
	v_bfe_i32 v11, v11, 0, 8
	s_delay_alu instid0(VALU_DEP_4) | instskip(NEXT) | instid1(VALU_DEP_3)
	v_bfe_i32 v12, v12, 0, 8
	v_cndmask_b32_e64 v8, v8, v13, s24
	s_delay_alu instid0(VALU_DEP_2) | instskip(NEXT) | instid1(VALU_DEP_2)
	v_cmp_lt_i16_e64 s25, v11, v12
	v_lshrrev_b32_e32 v9, 16, v8
	s_delay_alu instid0(VALU_DEP_2) | instskip(NEXT) | instid1(VALU_DEP_2)
	v_cndmask_b32_e64 v4, v4, v14, s25
	v_and_b32_e32 v9, 0xff, v9
	s_delay_alu instid0(VALU_DEP_2) | instskip(SKIP_1) | instid1(VALU_DEP_2)
	v_lshlrev_b16 v10, 8, v4
	v_bfe_i32 v11, v4, 0, 8
	v_or_b32_e32 v9, v9, v10
	v_lshrrev_b32_e32 v10, 24, v8
	s_delay_alu instid0(VALU_DEP_2) | instskip(NEXT) | instid1(VALU_DEP_2)
	v_lshlrev_b32_e32 v9, 16, v9
	v_bfe_i32 v10, v10, 0, 8
	s_delay_alu instid0(VALU_DEP_2) | instskip(NEXT) | instid1(VALU_DEP_2)
	v_and_or_b32 v9, 0xffff, v8, v9
	v_cmp_lt_i16_e64 s21, v11, v10
	s_delay_alu instid0(VALU_DEP_1) | instskip(SKIP_1) | instid1(VALU_DEP_2)
	v_cndmask_b32_e64 v9, v8, v9, s21
	v_perm_b32 v8, v8, v4, 0x3020107
	v_lshrrev_b32_e32 v10, 8, v9
	v_perm_b32 v11, 0, v9, 0xc0c0001
	s_delay_alu instid0(VALU_DEP_3) | instskip(SKIP_1) | instid1(VALU_DEP_4)
	v_cndmask_b32_e64 v4, v4, v8, s21
	v_bfe_i32 v8, v9, 0, 8
	v_bfe_i32 v10, v10, 0, 8
	s_delay_alu instid0(VALU_DEP_4) | instskip(NEXT) | instid1(VALU_DEP_4)
	v_and_or_b32 v11, 0xffff0000, v9, v11
	v_lshrrev_b32_e32 v12, 16, v4
	s_delay_alu instid0(VALU_DEP_3) | instskip(NEXT) | instid1(VALU_DEP_2)
	v_cmp_lt_i16_e64 s26, v10, v8
	v_bfe_i32 v10, v12, 0, 8
	v_perm_b32 v12, v4, v4, 0x7050604
	s_delay_alu instid0(VALU_DEP_3) | instskip(SKIP_1) | instid1(VALU_DEP_2)
	v_cndmask_b32_e64 v8, v9, v11, s26
	v_lshrrev_b32_e32 v9, 8, v4
	v_lshrrev_b32_e32 v11, 16, v8
	s_delay_alu instid0(VALU_DEP_2) | instskip(NEXT) | instid1(VALU_DEP_2)
	v_bfe_i32 v9, v9, 0, 8
	v_perm_b32 v13, 0, v11, 0xc0c0001
	s_delay_alu instid0(VALU_DEP_2) | instskip(SKIP_2) | instid1(VALU_DEP_4)
	v_cmp_lt_i16_e64 s7, v10, v9
	v_lshrrev_b32_e32 v9, 24, v8
	v_bfe_i32 v11, v11, 0, 8
	v_lshlrev_b32_e32 v10, 16, v13
	s_delay_alu instid0(VALU_DEP_4) | instskip(NEXT) | instid1(VALU_DEP_4)
	v_cndmask_b32_e64 v4, v4, v12, s7
	v_bfe_i32 v9, v9, 0, 8
	s_delay_alu instid0(VALU_DEP_3) | instskip(NEXT) | instid1(VALU_DEP_3)
	v_and_or_b32 v10, 0xffff, v8, v10
	v_lshrrev_b32_e32 v12, 8, v4
	v_bfe_i32 v13, v4, 0, 8
	s_delay_alu instid0(VALU_DEP_4) | instskip(SKIP_1) | instid1(VALU_DEP_4)
	v_cmp_lt_i16_e64 s11, v9, v11
	v_perm_b32 v14, v4, v4, 0x7060405
	v_bfe_i32 v12, v12, 0, 8
	s_delay_alu instid0(VALU_DEP_3) | instskip(NEXT) | instid1(VALU_DEP_2)
	v_cndmask_b32_e64 v8, v8, v10, s11
	v_cmp_lt_i16_e64 s10, v12, v13
	s_delay_alu instid0(VALU_DEP_2) | instskip(SKIP_2) | instid1(VALU_DEP_4)
	v_lshrrev_b32_e32 v9, 16, v8
	v_lshrrev_b32_e32 v10, 8, v8
	v_perm_b32 v13, v8, v8, 0x7050604
	v_cndmask_b32_e64 v4, v4, v14, s10
	s_delay_alu instid0(VALU_DEP_4) | instskip(NEXT) | instid1(VALU_DEP_4)
	v_bfe_i32 v9, v9, 0, 8
	v_bfe_i32 v10, v10, 0, 8
	s_delay_alu instid0(VALU_DEP_3) | instskip(SKIP_2) | instid1(VALU_DEP_4)
	v_lshrrev_b32_e32 v11, 24, v4
	v_lshrrev_b32_e32 v12, 16, v4
	v_perm_b32 v14, v4, v4, 0x6070504
	v_cmp_lt_i16_e64 s16, v9, v10
	v_mbcnt_lo_u32_b32 v9, -1, 0
	v_bfe_i32 v11, v11, 0, 8
	v_bfe_i32 v12, v12, 0, 8
	s_delay_alu instid0(VALU_DEP_4) | instskip(NEXT) | instid1(VALU_DEP_2)
	v_cndmask_b32_e64 v13, v8, v13, s16
	v_cmp_lt_i16_e64 s15, v11, v12
	s_delay_alu instid0(VALU_DEP_2) | instskip(NEXT) | instid1(VALU_DEP_2)
	v_lshrrev_b32_e32 v10, 24, v13
	v_cndmask_b32_e64 v11, v4, v14, s15
	v_lshrrev_b32_e32 v4, 16, v13
	s_delay_alu instid0(VALU_DEP_3) | instskip(NEXT) | instid1(VALU_DEP_3)
	v_bfe_i32 v12, v10, 0, 8
	v_lshlrev_b16 v8, 8, v11
	s_delay_alu instid0(VALU_DEP_3) | instskip(SKIP_1) | instid1(VALU_DEP_2)
	v_and_b32_e32 v4, 0xff, v4
	v_perm_b32 v15, v13, v11, 0x3020107
	v_or_b32_e32 v8, v4, v8
	v_lshlrev_b32_e32 v4, 3, v9
	v_bfe_i32 v9, v11, 0, 8
	s_delay_alu instid0(VALU_DEP_3) | instskip(NEXT) | instid1(VALU_DEP_3)
	v_lshlrev_b32_e32 v8, 16, v8
	v_and_b32_e32 v10, 0xf0, v4
	s_delay_alu instid0(VALU_DEP_3)
	v_cmp_lt_i16_e64 s17, v9, v12
	v_mad_u32_u24 v17, 0x101, v0, v4
	v_mul_u32_u24_e32 v0, 0x101, v0
	v_and_or_b32 v14, 0xffff, v13, v8
	v_or_b32_e32 v9, 8, v10
	v_add_nc_u32_e32 v8, 16, v10
	v_cndmask_b32_e64 v15, v11, v15, s17
	v_and_b32_e32 v11, 8, v4
	v_cndmask_b32_e64 v14, v13, v14, s17
	v_sub_nc_u32_e32 v18, v9, v10
	v_sub_nc_u32_e32 v12, v8, v9
	v_lshrrev_b32_e32 v13, 16, v15
	v_lshrrev_b32_e32 v16, 8, v15
	v_perm_b32 v21, v15, v15, 0x7050604
	s_delay_alu instid0(VALU_DEP_4) | instskip(NEXT) | instid1(VALU_DEP_4)
	v_sub_nc_u32_e32 v19, v11, v12
	v_bfe_i32 v20, v13, 0, 8
	s_delay_alu instid0(VALU_DEP_4) | instskip(SKIP_2) | instid1(VALU_DEP_2)
	v_bfe_i32 v16, v16, 0, 8
	v_cmp_ge_i32_e64 s23, v11, v12
	v_min_i32_e32 v13, v11, v18
	v_cndmask_b32_e64 v12, 0, v19, s23
	s_delay_alu instid0(VALU_DEP_4) | instskip(NEXT) | instid1(VALU_DEP_1)
	v_cmp_lt_i16_e64 s23, v20, v16
	v_cndmask_b32_e64 v15, v15, v21, s23
	ds_store_b64 v17, v[14:15]
	; wave barrier
	v_cmpx_lt_i32_e64 v12, v13
	s_cbranch_execz .LBB81_4
; %bb.1:
	v_add_nc_u32_e32 v14, v0, v10
	v_add3_u32 v15, v0, v9, v11
	.p2align	6
.LBB81_2:                               ; =>This Inner Loop Header: Depth=1
	v_sub_nc_u32_e32 v16, v13, v12
	s_delay_alu instid0(VALU_DEP_1) | instskip(NEXT) | instid1(VALU_DEP_1)
	v_lshrrev_b32_e32 v17, 31, v16
	v_add_nc_u32_e32 v16, v16, v17
	s_delay_alu instid0(VALU_DEP_1) | instskip(NEXT) | instid1(VALU_DEP_1)
	v_ashrrev_i32_e32 v16, 1, v16
	v_add_nc_u32_e32 v16, v16, v12
	s_delay_alu instid0(VALU_DEP_1)
	v_add_nc_u32_e32 v17, v14, v16
	v_xad_u32 v18, v16, -1, v15
	v_add_nc_u32_e32 v19, 1, v16
	ds_load_i8 v17, v17
	ds_load_i8 v18, v18
	s_waitcnt lgkmcnt(0)
	v_cmp_lt_i16_e64 s27, v18, v17
	s_delay_alu instid0(VALU_DEP_1) | instskip(SKIP_1) | instid1(VALU_DEP_1)
	v_cndmask_b32_e64 v13, v13, v16, s27
	v_cndmask_b32_e64 v12, v19, v12, s27
	v_cmp_ge_i32_e64 s27, v12, v13
	s_delay_alu instid0(VALU_DEP_1) | instskip(NEXT) | instid1(SALU_CYCLE_1)
	s_or_b32 s28, s27, s28
	s_and_not1_b32 exec_lo, exec_lo, s28
	s_cbranch_execnz .LBB81_2
; %bb.3:
	s_or_b32 exec_lo, exec_lo, s28
.LBB81_4:
	s_delay_alu instid0(SALU_CYCLE_1)
	s_or_b32 exec_lo, exec_lo, s29
	v_add_nc_u32_e32 v11, v9, v11
	v_lshrrev_b32_e32 v24, 16, v1
	v_lshrrev_b32_e32 v25, 24, v1
	v_add_nc_u32_e32 v1, v12, v10
	v_lshrrev_b32_e32 v22, 16, v2
	v_sub_nc_u32_e32 v10, v11, v12
	v_lshrrev_b32_e32 v23, 24, v2
                                        ; implicit-def: $vgpr13
	s_delay_alu instid0(VALU_DEP_4) | instskip(SKIP_1) | instid1(VALU_DEP_4)
	v_add_nc_u32_e32 v14, v0, v1
	v_cmp_le_i32_e64 s27, v9, v1
	v_add_nc_u32_e32 v15, v0, v10
	v_cmp_gt_i32_e64 s29, v8, v10
	ds_load_u8 v11, v14
	ds_load_u8 v12, v15
	s_waitcnt lgkmcnt(1)
	v_bfe_i32 v11, v11, 0, 8
	s_waitcnt lgkmcnt(0)
	v_bfe_i32 v12, v12, 0, 8
	s_delay_alu instid0(VALU_DEP_1) | instskip(NEXT) | instid1(VALU_DEP_1)
	v_cmp_lt_i16_e64 s28, v12, v11
	s_or_b32 s27, s27, s28
	s_delay_alu instid0(SALU_CYCLE_1) | instskip(NEXT) | instid1(SALU_CYCLE_1)
	s_and_b32 s27, s29, s27
	s_xor_b32 s28, s27, -1
	s_delay_alu instid0(SALU_CYCLE_1) | instskip(NEXT) | instid1(SALU_CYCLE_1)
	s_and_saveexec_b32 s29, s28
	s_xor_b32 s28, exec_lo, s29
	s_cbranch_execz .LBB81_6
; %bb.5:
	ds_load_u8 v13, v14 offset:1
                                        ; implicit-def: $vgpr15
.LBB81_6:
	s_or_saveexec_b32 s28, s28
	v_mov_b32_e32 v14, v12
	s_xor_b32 exec_lo, exec_lo, s28
	s_cbranch_execz .LBB81_8
; %bb.7:
	ds_load_u8 v14, v15 offset:1
	s_waitcnt lgkmcnt(1)
	v_mov_b32_e32 v13, v11
.LBB81_8:
	s_or_b32 exec_lo, exec_lo, s28
	v_add_nc_u32_e32 v15, 1, v1
	v_add_nc_u32_e32 v16, 1, v10
	s_waitcnt lgkmcnt(0)
	v_bfe_i32 v17, v13, 0, 8
	v_bfe_i32 v18, v14, 0, 8
	v_cndmask_b32_e64 v15, v15, v1, s27
	v_cndmask_b32_e64 v16, v10, v16, s27
	s_delay_alu instid0(VALU_DEP_3) | instskip(NEXT) | instid1(VALU_DEP_3)
	v_cmp_lt_i16_e64 s29, v18, v17
                                        ; implicit-def: $vgpr17
	v_cmp_ge_i32_e64 s28, v15, v9
	s_delay_alu instid0(VALU_DEP_3) | instskip(NEXT) | instid1(VALU_DEP_2)
	v_cmp_lt_i32_e64 s30, v16, v8
	s_or_b32 s28, s28, s29
	s_delay_alu instid0(VALU_DEP_1) | instid1(SALU_CYCLE_1)
	s_and_b32 s28, s30, s28
	s_delay_alu instid0(SALU_CYCLE_1) | instskip(NEXT) | instid1(SALU_CYCLE_1)
	s_xor_b32 s29, s28, -1
	s_and_saveexec_b32 s30, s29
	s_delay_alu instid0(SALU_CYCLE_1)
	s_xor_b32 s29, exec_lo, s30
	s_cbranch_execz .LBB81_10
; %bb.9:
	v_add_nc_u32_e32 v17, v0, v15
	ds_load_u8 v17, v17 offset:1
.LBB81_10:
	s_or_saveexec_b32 s29, s29
	v_mov_b32_e32 v18, v14
	s_xor_b32 exec_lo, exec_lo, s29
	s_cbranch_execz .LBB81_12
; %bb.11:
	s_waitcnt lgkmcnt(0)
	v_add_nc_u32_e32 v17, v0, v16
	ds_load_u8 v18, v17 offset:1
	v_mov_b32_e32 v17, v13
.LBB81_12:
	s_or_b32 exec_lo, exec_lo, s29
	v_add_nc_u32_e32 v19, 1, v15
	v_add_nc_u32_e32 v20, 1, v16
	s_waitcnt lgkmcnt(0)
	v_bfe_i32 v21, v17, 0, 8
	v_bfe_i32 v26, v18, 0, 8
	v_cndmask_b32_e64 v19, v19, v15, s28
	v_cndmask_b32_e64 v20, v16, v20, s28
	s_delay_alu instid0(VALU_DEP_3) | instskip(NEXT) | instid1(VALU_DEP_3)
	v_cmp_lt_i16_e64 s30, v26, v21
                                        ; implicit-def: $vgpr21
	v_cmp_ge_i32_e64 s29, v19, v9
	s_delay_alu instid0(VALU_DEP_3) | instskip(NEXT) | instid1(VALU_DEP_2)
	v_cmp_lt_i32_e64 s31, v20, v8
	s_or_b32 s29, s29, s30
	s_delay_alu instid0(VALU_DEP_1) | instid1(SALU_CYCLE_1)
	s_and_b32 s29, s31, s29
	s_delay_alu instid0(SALU_CYCLE_1) | instskip(NEXT) | instid1(SALU_CYCLE_1)
	s_xor_b32 s30, s29, -1
	s_and_saveexec_b32 s31, s30
	s_delay_alu instid0(SALU_CYCLE_1)
	s_xor_b32 s30, exec_lo, s31
	s_cbranch_execz .LBB81_14
; %bb.13:
	v_add_nc_u32_e32 v21, v0, v19
	ds_load_u8 v21, v21 offset:1
.LBB81_14:
	s_or_saveexec_b32 s30, s30
	v_mov_b32_e32 v26, v18
	s_xor_b32 exec_lo, exec_lo, s30
	s_cbranch_execz .LBB81_16
; %bb.15:
	s_waitcnt lgkmcnt(0)
	v_add_nc_u32_e32 v21, v0, v20
	ds_load_u8 v26, v21 offset:1
	v_mov_b32_e32 v21, v17
.LBB81_16:
	s_or_b32 exec_lo, exec_lo, s30
	v_add_nc_u32_e32 v27, 1, v19
	v_add_nc_u32_e32 v28, 1, v20
	s_waitcnt lgkmcnt(0)
	v_bfe_i32 v29, v21, 0, 8
	v_bfe_i32 v30, v26, 0, 8
	v_cndmask_b32_e64 v27, v27, v19, s29
	v_cndmask_b32_e64 v28, v20, v28, s29
	s_delay_alu instid0(VALU_DEP_3) | instskip(NEXT) | instid1(VALU_DEP_3)
	v_cmp_lt_i16_e64 s31, v30, v29
                                        ; implicit-def: $vgpr29
	v_cmp_ge_i32_e64 s30, v27, v9
	s_delay_alu instid0(VALU_DEP_3) | instskip(NEXT) | instid1(VALU_DEP_2)
	v_cmp_lt_i32_e64 s33, v28, v8
	s_or_b32 s30, s30, s31
	s_delay_alu instid0(VALU_DEP_1) | instid1(SALU_CYCLE_1)
	s_and_b32 s30, s33, s30
	s_delay_alu instid0(SALU_CYCLE_1) | instskip(NEXT) | instid1(SALU_CYCLE_1)
	s_xor_b32 s31, s30, -1
	s_and_saveexec_b32 s33, s31
	s_delay_alu instid0(SALU_CYCLE_1)
	s_xor_b32 s31, exec_lo, s33
	s_cbranch_execz .LBB81_18
; %bb.17:
	v_add_nc_u32_e32 v29, v0, v27
	ds_load_u8 v29, v29 offset:1
.LBB81_18:
	s_or_saveexec_b32 s31, s31
	v_mov_b32_e32 v31, v26
	s_xor_b32 exec_lo, exec_lo, s31
	s_cbranch_execz .LBB81_20
; %bb.19:
	s_waitcnt lgkmcnt(0)
	v_add_nc_u32_e32 v29, v0, v28
	ds_load_u8 v31, v29 offset:1
	v_mov_b32_e32 v29, v21
.LBB81_20:
	s_or_b32 exec_lo, exec_lo, s31
	v_add_nc_u32_e32 v30, 1, v27
	v_add_nc_u32_e32 v32, 1, v28
	s_waitcnt lgkmcnt(0)
	v_bfe_i32 v33, v29, 0, 8
                                        ; implicit-def: $vgpr37
	s_delay_alu instid0(VALU_DEP_3) | instskip(SKIP_2) | instid1(VALU_DEP_3)
	v_cndmask_b32_e64 v35, v30, v27, s30
	v_bfe_i32 v30, v31, 0, 8
	v_cndmask_b32_e64 v36, v28, v32, s30
	v_cmp_ge_i32_e64 s31, v35, v9
	s_delay_alu instid0(VALU_DEP_3) | instskip(NEXT) | instid1(VALU_DEP_3)
	v_cmp_lt_i16_e64 s33, v30, v33
	v_cmp_lt_i32_e64 s34, v36, v8
	s_delay_alu instid0(VALU_DEP_2)
	s_or_b32 s31, s31, s33
	s_delay_alu instid0(VALU_DEP_1) | instid1(SALU_CYCLE_1)
	s_and_b32 s33, s34, s31
	s_delay_alu instid0(SALU_CYCLE_1) | instskip(NEXT) | instid1(SALU_CYCLE_1)
	s_xor_b32 s31, s33, -1
	s_and_saveexec_b32 s34, s31
	s_delay_alu instid0(SALU_CYCLE_1)
	s_xor_b32 s31, exec_lo, s34
	s_cbranch_execz .LBB81_22
; %bb.21:
	v_add_nc_u32_e32 v30, v0, v35
	ds_load_u8 v37, v30 offset:1
.LBB81_22:
	s_or_saveexec_b32 s31, s31
	v_mov_b32_e32 v38, v31
	s_xor_b32 exec_lo, exec_lo, s31
	s_cbranch_execz .LBB81_24
; %bb.23:
	s_waitcnt lgkmcnt(0)
	v_dual_mov_b32 v37, v29 :: v_dual_add_nc_u32 v30, v0, v36
	ds_load_u8 v38, v30 offset:1
.LBB81_24:
	s_or_b32 exec_lo, exec_lo, s31
	v_add_nc_u32_e32 v30, 1, v35
	v_add_nc_u32_e32 v32, 1, v36
	s_waitcnt lgkmcnt(0)
	v_bfe_i32 v33, v37, 0, 8
                                        ; implicit-def: $vgpr41
	s_delay_alu instid0(VALU_DEP_3) | instskip(SKIP_2) | instid1(VALU_DEP_3)
	v_cndmask_b32_e64 v39, v30, v35, s33
	v_bfe_i32 v30, v38, 0, 8
	v_cndmask_b32_e64 v40, v36, v32, s33
	v_cmp_ge_i32_e64 s31, v39, v9
	s_delay_alu instid0(VALU_DEP_3) | instskip(NEXT) | instid1(VALU_DEP_3)
	v_cmp_lt_i16_e64 s34, v30, v33
	v_cmp_lt_i32_e64 s35, v40, v8
	s_delay_alu instid0(VALU_DEP_2)
	s_or_b32 s31, s31, s34
	s_delay_alu instid0(VALU_DEP_1) | instid1(SALU_CYCLE_1)
	s_and_b32 s34, s35, s31
	s_delay_alu instid0(SALU_CYCLE_1) | instskip(NEXT) | instid1(SALU_CYCLE_1)
	s_xor_b32 s31, s34, -1
	s_and_saveexec_b32 s35, s31
	s_delay_alu instid0(SALU_CYCLE_1)
	s_xor_b32 s31, exec_lo, s35
	s_cbranch_execz .LBB81_26
; %bb.25:
	v_add_nc_u32_e32 v30, v0, v39
	ds_load_u8 v41, v30 offset:1
.LBB81_26:
	s_or_saveexec_b32 s31, s31
	v_mov_b32_e32 v42, v38
	s_xor_b32 exec_lo, exec_lo, s31
	s_cbranch_execz .LBB81_28
; %bb.27:
	s_waitcnt lgkmcnt(0)
	v_dual_mov_b32 v41, v37 :: v_dual_add_nc_u32 v30, v0, v40
	ds_load_u8 v42, v30 offset:1
.LBB81_28:
	s_or_b32 exec_lo, exec_lo, s31
	v_add_nc_u32_e32 v30, 1, v39
	v_add_nc_u32_e32 v32, 1, v40
	s_waitcnt lgkmcnt(0)
	v_bfe_i32 v43, v41, 0, 8
	s_delay_alu instid0(VALU_DEP_3) | instskip(SKIP_2) | instid1(VALU_DEP_3)
	v_cndmask_b32_e64 v33, v30, v39, s34
	v_bfe_i32 v30, v42, 0, 8
	v_cndmask_b32_e64 v34, v40, v32, s34
	v_cmp_ge_i32_e64 s31, v33, v9
	s_delay_alu instid0(VALU_DEP_3) | instskip(NEXT) | instid1(VALU_DEP_3)
	v_cmp_lt_i16_e64 s35, v30, v43
	v_cmp_lt_i32_e64 s36, v34, v8
                                        ; implicit-def: $vgpr30
	s_delay_alu instid0(VALU_DEP_2)
	s_or_b32 s31, s31, s35
	s_delay_alu instid0(VALU_DEP_1) | instid1(SALU_CYCLE_1)
	s_and_b32 s31, s36, s31
	s_delay_alu instid0(SALU_CYCLE_1) | instskip(NEXT) | instid1(SALU_CYCLE_1)
	s_xor_b32 s35, s31, -1
	s_and_saveexec_b32 s36, s35
	s_delay_alu instid0(SALU_CYCLE_1)
	s_xor_b32 s35, exec_lo, s36
	s_cbranch_execz .LBB81_30
; %bb.29:
	v_add_nc_u32_e32 v30, v0, v33
	ds_load_u8 v30, v30 offset:1
.LBB81_30:
	s_or_saveexec_b32 s35, s35
	v_mov_b32_e32 v32, v42
	s_xor_b32 exec_lo, exec_lo, s35
	s_cbranch_execz .LBB81_32
; %bb.31:
	s_waitcnt lgkmcnt(0)
	v_add_nc_u32_e32 v30, v0, v34
	ds_load_u8 v32, v30 offset:1
	v_mov_b32_e32 v30, v41
.LBB81_32:
	s_or_b32 exec_lo, exec_lo, s35
	v_add_nc_u16 v5, v5, 1
	v_add_nc_u16 v6, v6, 1
	;; [unrolled: 1-line block ×4, first 2 shown]
	v_lshlrev_b16 v7, 8, v7
	v_and_b32_e32 v44, 0xff, v5
	v_lshlrev_b16 v43, 8, v6
	v_lshlrev_b16 v5, 8, v5
	v_and_b32_e32 v6, 0xff, v6
	v_and_b32_e32 v2, 0xff, v2
	v_lshlrev_b16 v25, 8, v25
	v_or_b32_e32 v43, v44, v43
	v_add_nc_u16 v22, v22, 1
	v_or_b32_e32 v5, v6, v5
	v_or_b32_e32 v2, v7, v2
	v_lshlrev_b16 v23, 8, v23
	v_and_b32_e32 v7, 0xffff, v43
	v_and_b32_e32 v22, 0xff, v22
	;; [unrolled: 1-line block ×4, first 2 shown]
	v_add_nc_u16 v2, v2, 0x100
	v_cndmask_b32_e64 v13, v13, v14, s28
	v_or_b32_e32 v6, v23, v22
	v_cndmask_b32_e32 v5, v7, v5, vcc_lo
	v_or_b32_e32 v24, v25, v24
	v_and_b32_e32 v2, 0xffff, v2
	v_cndmask_b32_e64 v10, v1, v10, s27
	v_add_nc_u16 v6, v6, 0x100
	v_cndmask_b32_e64 v17, v17, v18, s29
	v_add_nc_u16 v22, v24, 0x100
	v_cndmask_b32_e64 v18, v19, v20, s29
	v_cndmask_b32_e64 v16, v15, v16, s28
	v_lshlrev_b32_e32 v6, 16, v6
	v_cndmask_b32_e64 v11, v11, v12, s27
	v_lshlrev_b32_e32 v23, 16, v22
	v_perm_b32 v7, 0, v22, 0xc0c0001
	s_waitcnt lgkmcnt(0)
	v_bfe_i32 v12, v32, 0, 8
	v_or_b32_e32 v2, v2, v6
	v_add_nc_u32_e32 v22, 1, v34
	v_or_b32_e32 v5, v5, v23
	v_lshlrev_b32_e32 v7, 16, v7
	v_add_nc_u32_e32 v24, 1, v33
	v_cndmask_b32_e64 v29, v29, v31, s33
	v_cndmask_b32_e64 v21, v21, v26, s30
	;; [unrolled: 1-line block ×3, first 2 shown]
	v_and_or_b32 v6, 0xffff, v5, v7
	v_perm_b32 v7, v2, v2, 0x7060405
	v_cndmask_b32_e64 v20, v34, v22, s31
	v_cndmask_b32_e64 v22, v24, v33, s31
	v_and_b32_e32 v27, 0xff, v29
	v_cndmask_b32_e64 v5, v5, v6, s0
	v_cndmask_b32_e64 v2, v2, v7, s1
	v_cmp_lt_i32_e64 s1, v20, v8
	v_cmp_ge_i32_e64 s0, v22, v9
	v_lshlrev_b16 v13, 8, v13
	v_perm_b32 v6, v5, v5, 0x7050604
	v_perm_b32 v7, v2, v2, 0x6070504
	v_and_b32_e32 v11, 0xff, v11
	v_cndmask_b32_e64 v31, v35, v36, s33
	v_cndmask_b32_e64 v25, v33, v34, s31
	;; [unrolled: 1-line block ×6, first 2 shown]
	v_add_nc_u32_e32 v10, v0, v10
	v_lshrrev_b32_e32 v6, 16, v5
	v_lshlrev_b16 v7, 8, v2
	v_lshlrev_b16 v21, 8, v21
	v_and_b32_e32 v17, 0xff, v17
	s_delay_alu instid0(VALU_DEP_4) | instskip(SKIP_2) | instid1(VALU_DEP_4)
	v_and_b32_e32 v6, 0xff, v6
	; wave barrier
	v_add_nc_u32_e32 v24, v0, v38
	v_add_nc_u32_e32 v25, v0, v25
	v_or_b32_e32 v17, v17, v21
	s_delay_alu instid0(VALU_DEP_4) | instskip(NEXT) | instid1(VALU_DEP_1)
	v_or_b32_e32 v6, v6, v7
	v_lshlrev_b32_e32 v6, 16, v6
	s_delay_alu instid0(VALU_DEP_1) | instskip(NEXT) | instid1(VALU_DEP_1)
	v_and_or_b32 v6, 0xffff, v5, v6
	v_cndmask_b32_e64 v6, v5, v6, s2
	v_perm_b32 v5, v5, v2, 0x3020107
	s_delay_alu instid0(VALU_DEP_2) | instskip(NEXT) | instid1(VALU_DEP_2)
	v_perm_b32 v7, 0, v6, 0xc0c0001
	v_cndmask_b32_e64 v2, v2, v5, s2
	s_delay_alu instid0(VALU_DEP_2) | instskip(NEXT) | instid1(VALU_DEP_1)
	v_and_or_b32 v7, 0xffff0000, v6, v7
	v_cndmask_b32_e64 v6, v6, v7, s5
	s_delay_alu instid0(VALU_DEP_1) | instskip(NEXT) | instid1(VALU_DEP_1)
	v_lshrrev_b32_e32 v7, 16, v6
	v_perm_b32 v5, 0, v7, 0xc0c0001
	v_perm_b32 v7, v2, v2, 0x7050604
	s_delay_alu instid0(VALU_DEP_2) | instskip(NEXT) | instid1(VALU_DEP_2)
	v_lshlrev_b32_e32 v5, 16, v5
	v_cndmask_b32_e64 v2, v2, v7, s6
	s_delay_alu instid0(VALU_DEP_2) | instskip(NEXT) | instid1(VALU_DEP_2)
	v_and_or_b32 v5, 0xffff, v6, v5
	v_perm_b32 v7, v2, v2, 0x7060405
	s_delay_alu instid0(VALU_DEP_2) | instskip(NEXT) | instid1(VALU_DEP_2)
	v_cndmask_b32_e64 v5, v6, v5, s8
	v_cndmask_b32_e64 v2, v2, v7, s9
	s_delay_alu instid0(VALU_DEP_2) | instskip(NEXT) | instid1(VALU_DEP_2)
	v_perm_b32 v6, v5, v5, 0x7050604
	v_perm_b32 v7, v2, v2, 0x6070504
	s_delay_alu instid0(VALU_DEP_2) | instskip(NEXT) | instid1(VALU_DEP_2)
	v_cndmask_b32_e64 v5, v5, v6, s13
	v_cndmask_b32_e64 v2, v2, v7, s14
	s_delay_alu instid0(VALU_DEP_2) | instskip(NEXT) | instid1(VALU_DEP_2)
	v_lshrrev_b32_e32 v6, 16, v5
	v_lshlrev_b16 v7, 8, v2
	s_delay_alu instid0(VALU_DEP_2) | instskip(NEXT) | instid1(VALU_DEP_1)
	v_and_b32_e32 v6, 0xff, v6
	v_or_b32_e32 v6, v6, v7
	s_delay_alu instid0(VALU_DEP_1) | instskip(NEXT) | instid1(VALU_DEP_1)
	v_lshlrev_b32_e32 v6, 16, v6
	v_and_or_b32 v6, 0xffff, v5, v6
	s_delay_alu instid0(VALU_DEP_1) | instskip(SKIP_1) | instid1(VALU_DEP_2)
	v_cndmask_b32_e64 v6, v5, v6, s12
	v_perm_b32 v5, v5, v2, 0x3020107
	v_perm_b32 v7, 0, v6, 0xc0c0001
	s_delay_alu instid0(VALU_DEP_2) | instskip(NEXT) | instid1(VALU_DEP_2)
	v_cndmask_b32_e64 v2, v2, v5, s12
	v_and_or_b32 v7, 0xffff0000, v6, v7
	s_delay_alu instid0(VALU_DEP_1) | instskip(NEXT) | instid1(VALU_DEP_1)
	v_cndmask_b32_e64 v6, v6, v7, s18
	v_lshrrev_b32_e32 v7, 16, v6
	s_delay_alu instid0(VALU_DEP_1) | instskip(SKIP_1) | instid1(VALU_DEP_2)
	v_perm_b32 v5, 0, v7, 0xc0c0001
	v_perm_b32 v7, v2, v2, 0x7050604
	v_lshlrev_b32_e32 v5, 16, v5
	s_delay_alu instid0(VALU_DEP_2) | instskip(NEXT) | instid1(VALU_DEP_2)
	v_cndmask_b32_e64 v2, v2, v7, s19
	v_and_or_b32 v5, 0xffff, v6, v5
	s_delay_alu instid0(VALU_DEP_2) | instskip(NEXT) | instid1(VALU_DEP_2)
	v_perm_b32 v7, v2, v2, 0x7060405
	v_cndmask_b32_e64 v5, v6, v5, s20
	s_delay_alu instid0(VALU_DEP_2) | instskip(NEXT) | instid1(VALU_DEP_2)
	v_cndmask_b32_e64 v2, v2, v7, s22
	v_perm_b32 v6, v5, v5, 0x7050604
	s_delay_alu instid0(VALU_DEP_2) | instskip(NEXT) | instid1(VALU_DEP_2)
	v_perm_b32 v7, v2, v2, 0x6070504
	v_cndmask_b32_e64 v5, v5, v6, s24
	s_delay_alu instid0(VALU_DEP_2) | instskip(NEXT) | instid1(VALU_DEP_2)
	v_cndmask_b32_e64 v2, v2, v7, s25
	v_lshrrev_b32_e32 v6, 16, v5
	s_delay_alu instid0(VALU_DEP_2) | instskip(NEXT) | instid1(VALU_DEP_2)
	v_lshlrev_b16 v7, 8, v2
	v_and_b32_e32 v6, 0xff, v6
	s_delay_alu instid0(VALU_DEP_1) | instskip(SKIP_1) | instid1(VALU_DEP_2)
	v_or_b32_e32 v6, v6, v7
	v_cndmask_b32_e64 v7, v41, v42, s31
	v_lshlrev_b32_e32 v6, 16, v6
	s_delay_alu instid0(VALU_DEP_2) | instskip(NEXT) | instid1(VALU_DEP_2)
	v_and_b32_e32 v28, 0xff, v7
	v_and_or_b32 v6, 0xffff, v5, v6
	s_delay_alu instid0(VALU_DEP_1) | instskip(SKIP_1) | instid1(VALU_DEP_2)
	v_cndmask_b32_e64 v6, v5, v6, s21
	v_perm_b32 v5, v5, v2, 0x3020107
	v_perm_b32 v23, 0, v6, 0xc0c0001
	s_delay_alu instid0(VALU_DEP_2) | instskip(SKIP_1) | instid1(VALU_DEP_3)
	v_cndmask_b32_e64 v2, v2, v5, s21
	v_bfe_i32 v5, v30, 0, 8
	v_and_or_b32 v23, 0xffff0000, v6, v23
	s_delay_alu instid0(VALU_DEP_3) | instskip(NEXT) | instid1(VALU_DEP_3)
	v_perm_b32 v15, v2, v2, 0x7050604
	v_cmp_lt_i16_e32 vcc_lo, v12, v5
	v_add_nc_u32_e32 v12, v0, v16
	v_add_nc_u32_e32 v16, v0, v18
	v_cndmask_b32_e64 v6, v6, v23, s26
	v_cndmask_b32_e64 v2, v2, v15, s7
	s_or_b32 s0, s0, vcc_lo
	v_add_nc_u32_e32 v18, v0, v26
	s_and_b32 vcc_lo, s1, s0
	v_lshrrev_b32_e32 v14, 16, v6
	v_perm_b32 v23, v2, v2, 0x7060405
	v_lshlrev_b16 v26, 8, v37
	v_and_b32_e32 v15, 24, v4
	s_mov_b32 s0, 0
	v_perm_b32 v1, 0, v14, 0xc0c0001
	v_cndmask_b32_e64 v2, v2, v23, s10
	v_and_b32_e32 v14, 0xe0, v4
	s_mov_b32 s1, exec_lo
	s_delay_alu instid0(VALU_DEP_3) | instskip(NEXT) | instid1(VALU_DEP_3)
	v_lshlrev_b32_e32 v19, 16, v1
	v_perm_b32 v23, v2, v2, 0x6070504
	v_add_nc_u32_e32 v1, v0, v4
	s_delay_alu instid0(VALU_DEP_3) | instskip(NEXT) | instid1(VALU_DEP_3)
	v_and_or_b32 v19, 0xffff, v6, v19
	v_cndmask_b32_e64 v23, v2, v23, s15
	s_delay_alu instid0(VALU_DEP_2) | instskip(SKIP_1) | instid1(VALU_DEP_2)
	v_cndmask_b32_e64 v6, v6, v19, s11
	v_add_nc_u32_e32 v19, v0, v31
	v_perm_b32 v5, v6, v6, 0x7050604
	s_delay_alu instid0(VALU_DEP_1) | instskip(SKIP_1) | instid1(VALU_DEP_2)
	v_cndmask_b32_e64 v6, v6, v5, s16
	v_lshlrev_b16 v5, 8, v23
	v_lshrrev_b32_e32 v2, 16, v6
	v_perm_b32 v7, v6, v23, 0x3020107
	s_delay_alu instid0(VALU_DEP_2) | instskip(NEXT) | instid1(VALU_DEP_2)
	v_and_b32_e32 v2, 0xff, v2
	v_cndmask_b32_e64 v7, v23, v7, s17
	v_or_b32_e32 v23, v11, v13
	v_cndmask_b32_e32 v11, v30, v32, vcc_lo
	v_cndmask_b32_e32 v13, v22, v20, vcc_lo
	v_or_b32_e32 v29, v2, v5
	v_perm_b32 v8, v7, v7, 0x7050604
	v_or_b32_e32 v5, 16, v14
	v_lshlrev_b16 v21, 8, v11
	v_add_nc_u32_e32 v22, v0, v13
	v_lshlrev_b32_e32 v9, 16, v29
	v_cndmask_b32_e64 v7, v7, v8, s23
	v_add_nc_u32_e32 v2, 32, v14
	s_delay_alu instid0(VALU_DEP_3) | instskip(NEXT) | instid1(VALU_DEP_2)
	v_and_or_b32 v9, 0xffff, v6, v9
	v_sub_nc_u32_e32 v20, v2, v5
	s_delay_alu instid0(VALU_DEP_2) | instskip(NEXT) | instid1(VALU_DEP_2)
	v_cndmask_b32_e64 v6, v6, v9, s17
	v_cmp_ge_i32_e32 vcc_lo, v15, v20
	ds_store_b64 v1, v[6:7]
	; wave barrier
	ds_load_u8 v7, v10
	ds_load_u8 v9, v12
	;; [unrolled: 1-line block ×8, first 2 shown]
	v_or_b32_e32 v16, v27, v26
	v_or_b32_e32 v19, v28, v21
	v_and_b32_e32 v18, 0xffff, v23
	v_lshlrev_b32_e32 v21, 16, v17
	v_sub_nc_u32_e32 v17, v15, v20
	v_sub_nc_u32_e32 v22, v5, v14
	v_and_b32_e32 v23, 0xffff, v16
	v_lshlrev_b32_e32 v19, 16, v19
	v_or_b32_e32 v18, v18, v21
	v_cndmask_b32_e32 v16, 0, v17, vcc_lo
	v_min_i32_e32 v17, v15, v22
	s_delay_alu instid0(VALU_DEP_4)
	v_or_b32_e32 v19, v23, v19
	; wave barrier
	ds_store_b64 v1, v[18:19]
	; wave barrier
	v_cmpx_lt_i32_e64 v16, v17
	s_cbranch_execz .LBB81_36
; %bb.33:
	v_add_nc_u32_e32 v18, v0, v14
	v_add3_u32 v19, v0, v5, v15
	.p2align	6
.LBB81_34:                              ; =>This Inner Loop Header: Depth=1
	v_sub_nc_u32_e32 v20, v17, v16
	s_delay_alu instid0(VALU_DEP_1) | instskip(NEXT) | instid1(VALU_DEP_1)
	v_lshrrev_b32_e32 v21, 31, v20
	v_add_nc_u32_e32 v20, v20, v21
	s_delay_alu instid0(VALU_DEP_1) | instskip(NEXT) | instid1(VALU_DEP_1)
	v_ashrrev_i32_e32 v20, 1, v20
	v_add_nc_u32_e32 v20, v20, v16
	s_delay_alu instid0(VALU_DEP_1)
	v_add_nc_u32_e32 v21, v18, v20
	v_xad_u32 v22, v20, -1, v19
	v_add_nc_u32_e32 v23, 1, v20
	ds_load_i8 v21, v21
	ds_load_i8 v22, v22
	s_waitcnt lgkmcnt(0)
	v_cmp_lt_i16_e32 vcc_lo, v22, v21
	v_cndmask_b32_e32 v17, v17, v20, vcc_lo
	v_cndmask_b32_e32 v16, v23, v16, vcc_lo
	s_delay_alu instid0(VALU_DEP_1) | instskip(SKIP_1) | instid1(SALU_CYCLE_1)
	v_cmp_ge_i32_e32 vcc_lo, v16, v17
	s_or_b32 s0, vcc_lo, s0
	s_and_not1_b32 exec_lo, exec_lo, s0
	s_cbranch_execnz .LBB81_34
; %bb.35:
	s_or_b32 exec_lo, exec_lo, s0
.LBB81_36:
	s_delay_alu instid0(SALU_CYCLE_1) | instskip(SKIP_2) | instid1(VALU_DEP_2)
	s_or_b32 exec_lo, exec_lo, s1
	v_add_nc_u32_e32 v15, v5, v15
	v_add_nc_u32_e32 v14, v16, v14
                                        ; implicit-def: $vgpr18
	v_sub_nc_u32_e32 v15, v15, v16
	s_delay_alu instid0(VALU_DEP_2) | instskip(SKIP_1) | instid1(VALU_DEP_3)
	v_add_nc_u32_e32 v19, v0, v14
	v_cmp_le_i32_e32 vcc_lo, v5, v14
	v_add_nc_u32_e32 v20, v0, v15
	v_cmp_gt_i32_e64 s1, v2, v15
	ds_load_u8 v16, v19
	ds_load_u8 v17, v20
	s_waitcnt lgkmcnt(1)
	v_bfe_i32 v16, v16, 0, 8
	s_waitcnt lgkmcnt(0)
	v_bfe_i32 v17, v17, 0, 8
	s_delay_alu instid0(VALU_DEP_1) | instskip(NEXT) | instid1(VALU_DEP_1)
	v_cmp_lt_i16_e64 s0, v17, v16
	s_or_b32 s0, vcc_lo, s0
	s_delay_alu instid0(SALU_CYCLE_1) | instskip(NEXT) | instid1(SALU_CYCLE_1)
	s_and_b32 vcc_lo, s1, s0
	s_xor_b32 s0, vcc_lo, -1
	s_delay_alu instid0(SALU_CYCLE_1) | instskip(NEXT) | instid1(SALU_CYCLE_1)
	s_and_saveexec_b32 s1, s0
	s_xor_b32 s0, exec_lo, s1
	s_cbranch_execz .LBB81_38
; %bb.37:
	ds_load_u8 v18, v19 offset:1
                                        ; implicit-def: $vgpr20
.LBB81_38:
	s_or_saveexec_b32 s0, s0
	v_mov_b32_e32 v19, v17
	s_xor_b32 exec_lo, exec_lo, s0
	s_cbranch_execz .LBB81_40
; %bb.39:
	ds_load_u8 v19, v20 offset:1
	s_waitcnt lgkmcnt(1)
	v_mov_b32_e32 v18, v16
.LBB81_40:
	s_or_b32 exec_lo, exec_lo, s0
	v_add_nc_u32_e32 v21, 1, v15
	v_add_nc_u32_e32 v20, 1, v14
	s_waitcnt lgkmcnt(0)
	v_bfe_i32 v22, v18, 0, 8
	v_bfe_i32 v23, v19, 0, 8
	s_delay_alu instid0(VALU_DEP_3) | instskip(NEXT) | instid1(VALU_DEP_2)
	v_dual_cndmask_b32 v21, v15, v21 :: v_dual_cndmask_b32 v20, v20, v14
	v_cmp_lt_i16_e64 s1, v23, v22
                                        ; implicit-def: $vgpr22
	s_delay_alu instid0(VALU_DEP_2) | instskip(NEXT) | instid1(VALU_DEP_3)
	v_cmp_lt_i32_e64 s2, v21, v2
	v_cmp_ge_i32_e64 s0, v20, v5
	s_delay_alu instid0(VALU_DEP_1)
	s_or_b32 s0, s0, s1
	s_delay_alu instid0(VALU_DEP_2) | instid1(SALU_CYCLE_1)
	s_and_b32 s0, s2, s0
	s_delay_alu instid0(SALU_CYCLE_1) | instskip(NEXT) | instid1(SALU_CYCLE_1)
	s_xor_b32 s1, s0, -1
	s_and_saveexec_b32 s2, s1
	s_delay_alu instid0(SALU_CYCLE_1)
	s_xor_b32 s1, exec_lo, s2
	s_cbranch_execz .LBB81_42
; %bb.41:
	v_add_nc_u32_e32 v22, v0, v20
	ds_load_u8 v22, v22 offset:1
.LBB81_42:
	s_or_saveexec_b32 s1, s1
	v_mov_b32_e32 v23, v19
	s_xor_b32 exec_lo, exec_lo, s1
	s_cbranch_execz .LBB81_44
; %bb.43:
	s_waitcnt lgkmcnt(0)
	v_add_nc_u32_e32 v22, v0, v21
	ds_load_u8 v23, v22 offset:1
	v_mov_b32_e32 v22, v18
.LBB81_44:
	s_or_b32 exec_lo, exec_lo, s1
	v_add_nc_u32_e32 v24, 1, v20
	v_add_nc_u32_e32 v25, 1, v21
	s_waitcnt lgkmcnt(0)
	v_bfe_i32 v26, v22, 0, 8
	v_bfe_i32 v27, v23, 0, 8
	v_cndmask_b32_e64 v24, v24, v20, s0
	v_cndmask_b32_e64 v25, v21, v25, s0
	s_delay_alu instid0(VALU_DEP_3) | instskip(NEXT) | instid1(VALU_DEP_3)
	v_cmp_lt_i16_e64 s2, v27, v26
                                        ; implicit-def: $vgpr26
	v_cmp_ge_i32_e64 s1, v24, v5
	s_delay_alu instid0(VALU_DEP_3) | instskip(NEXT) | instid1(VALU_DEP_2)
	v_cmp_lt_i32_e64 s3, v25, v2
	s_or_b32 s1, s1, s2
	s_delay_alu instid0(VALU_DEP_1) | instid1(SALU_CYCLE_1)
	s_and_b32 s1, s3, s1
	s_delay_alu instid0(SALU_CYCLE_1) | instskip(NEXT) | instid1(SALU_CYCLE_1)
	s_xor_b32 s2, s1, -1
	s_and_saveexec_b32 s3, s2
	s_delay_alu instid0(SALU_CYCLE_1)
	s_xor_b32 s2, exec_lo, s3
	s_cbranch_execz .LBB81_46
; %bb.45:
	v_add_nc_u32_e32 v26, v0, v24
	ds_load_u8 v26, v26 offset:1
.LBB81_46:
	s_or_saveexec_b32 s2, s2
	v_mov_b32_e32 v27, v23
	s_xor_b32 exec_lo, exec_lo, s2
	s_cbranch_execz .LBB81_48
; %bb.47:
	s_waitcnt lgkmcnt(0)
	v_add_nc_u32_e32 v26, v0, v25
	ds_load_u8 v27, v26 offset:1
	v_mov_b32_e32 v26, v22
.LBB81_48:
	s_or_b32 exec_lo, exec_lo, s2
	v_add_nc_u32_e32 v28, 1, v24
	v_add_nc_u32_e32 v29, 1, v25
	s_waitcnt lgkmcnt(0)
	v_bfe_i32 v30, v26, 0, 8
	v_bfe_i32 v31, v27, 0, 8
	v_cndmask_b32_e64 v28, v28, v24, s1
	v_cndmask_b32_e64 v29, v25, v29, s1
	s_delay_alu instid0(VALU_DEP_3) | instskip(NEXT) | instid1(VALU_DEP_3)
	v_cmp_lt_i16_e64 s3, v31, v30
                                        ; implicit-def: $vgpr30
	v_cmp_ge_i32_e64 s2, v28, v5
	s_delay_alu instid0(VALU_DEP_3) | instskip(NEXT) | instid1(VALU_DEP_2)
	v_cmp_lt_i32_e64 s4, v29, v2
	s_or_b32 s2, s2, s3
	s_delay_alu instid0(VALU_DEP_1) | instid1(SALU_CYCLE_1)
	s_and_b32 s2, s4, s2
	s_delay_alu instid0(SALU_CYCLE_1) | instskip(NEXT) | instid1(SALU_CYCLE_1)
	s_xor_b32 s3, s2, -1
	s_and_saveexec_b32 s4, s3
	s_delay_alu instid0(SALU_CYCLE_1)
	s_xor_b32 s3, exec_lo, s4
	s_cbranch_execz .LBB81_50
; %bb.49:
	v_add_nc_u32_e32 v30, v0, v28
	ds_load_u8 v30, v30 offset:1
.LBB81_50:
	s_or_saveexec_b32 s3, s3
	v_mov_b32_e32 v31, v27
	s_xor_b32 exec_lo, exec_lo, s3
	s_cbranch_execz .LBB81_52
; %bb.51:
	s_waitcnt lgkmcnt(0)
	v_add_nc_u32_e32 v30, v0, v29
	ds_load_u8 v31, v30 offset:1
	v_mov_b32_e32 v30, v26
.LBB81_52:
	s_or_b32 exec_lo, exec_lo, s3
	v_add_nc_u32_e32 v32, 1, v28
	v_add_nc_u32_e32 v33, 1, v29
	s_waitcnt lgkmcnt(0)
	v_bfe_i32 v34, v30, 0, 8
	v_bfe_i32 v35, v31, 0, 8
	v_cndmask_b32_e64 v32, v32, v28, s2
	v_cndmask_b32_e64 v33, v29, v33, s2
	s_delay_alu instid0(VALU_DEP_3) | instskip(NEXT) | instid1(VALU_DEP_3)
	v_cmp_lt_i16_e64 s4, v35, v34
                                        ; implicit-def: $vgpr34
	v_cmp_ge_i32_e64 s3, v32, v5
	s_delay_alu instid0(VALU_DEP_3) | instskip(NEXT) | instid1(VALU_DEP_2)
	v_cmp_lt_i32_e64 s5, v33, v2
	s_or_b32 s3, s3, s4
	s_delay_alu instid0(VALU_DEP_1) | instid1(SALU_CYCLE_1)
	s_and_b32 s3, s5, s3
	s_delay_alu instid0(SALU_CYCLE_1) | instskip(NEXT) | instid1(SALU_CYCLE_1)
	s_xor_b32 s4, s3, -1
	s_and_saveexec_b32 s5, s4
	s_delay_alu instid0(SALU_CYCLE_1)
	s_xor_b32 s4, exec_lo, s5
	s_cbranch_execz .LBB81_54
; %bb.53:
	v_add_nc_u32_e32 v34, v0, v32
	ds_load_u8 v34, v34 offset:1
.LBB81_54:
	s_or_saveexec_b32 s4, s4
	v_mov_b32_e32 v35, v31
	s_xor_b32 exec_lo, exec_lo, s4
	s_cbranch_execz .LBB81_56
; %bb.55:
	s_waitcnt lgkmcnt(0)
	v_add_nc_u32_e32 v34, v0, v33
	ds_load_u8 v35, v34 offset:1
	v_mov_b32_e32 v34, v30
.LBB81_56:
	s_or_b32 exec_lo, exec_lo, s4
	v_add_nc_u32_e32 v36, 1, v32
	v_add_nc_u32_e32 v37, 1, v33
	s_waitcnt lgkmcnt(0)
	v_bfe_i32 v38, v34, 0, 8
	v_bfe_i32 v39, v35, 0, 8
	v_cndmask_b32_e64 v36, v36, v32, s3
	v_cndmask_b32_e64 v37, v33, v37, s3
	s_delay_alu instid0(VALU_DEP_3) | instskip(NEXT) | instid1(VALU_DEP_3)
	v_cmp_lt_i16_e64 s5, v39, v38
                                        ; implicit-def: $vgpr39
	v_cmp_ge_i32_e64 s4, v36, v5
	s_delay_alu instid0(VALU_DEP_3) | instskip(NEXT) | instid1(VALU_DEP_2)
	v_cmp_lt_i32_e64 s6, v37, v2
	s_or_b32 s4, s4, s5
	s_delay_alu instid0(VALU_DEP_1) | instid1(SALU_CYCLE_1)
	s_and_b32 s4, s6, s4
	s_delay_alu instid0(SALU_CYCLE_1) | instskip(NEXT) | instid1(SALU_CYCLE_1)
	s_xor_b32 s5, s4, -1
	s_and_saveexec_b32 s6, s5
	s_delay_alu instid0(SALU_CYCLE_1)
	s_xor_b32 s5, exec_lo, s6
	s_cbranch_execz .LBB81_58
; %bb.57:
	v_add_nc_u32_e32 v38, v0, v36
	ds_load_u8 v39, v38 offset:1
.LBB81_58:
	s_or_saveexec_b32 s5, s5
	v_mov_b32_e32 v41, v35
	s_xor_b32 exec_lo, exec_lo, s5
	s_cbranch_execz .LBB81_60
; %bb.59:
	s_waitcnt lgkmcnt(0)
	v_dual_mov_b32 v39, v34 :: v_dual_add_nc_u32 v38, v0, v37
	ds_load_u8 v41, v38 offset:1
.LBB81_60:
	s_or_b32 exec_lo, exec_lo, s5
	v_add_nc_u32_e32 v38, 1, v36
	v_add_nc_u32_e32 v40, 1, v37
	s_waitcnt lgkmcnt(0)
	v_bfe_i32 v44, v39, 0, 8
	s_delay_alu instid0(VALU_DEP_3) | instskip(SKIP_2) | instid1(VALU_DEP_3)
	v_cndmask_b32_e64 v42, v38, v36, s4
	v_bfe_i32 v38, v41, 0, 8
	v_cndmask_b32_e64 v43, v37, v40, s4
	v_cmp_ge_i32_e64 s5, v42, v5
	s_delay_alu instid0(VALU_DEP_3) | instskip(NEXT) | instid1(VALU_DEP_3)
	v_cmp_lt_i16_e64 s6, v38, v44
	v_cmp_lt_i32_e64 s7, v43, v2
                                        ; implicit-def: $vgpr38
	s_delay_alu instid0(VALU_DEP_2)
	s_or_b32 s5, s5, s6
	s_delay_alu instid0(VALU_DEP_1) | instid1(SALU_CYCLE_1)
	s_and_b32 s5, s7, s5
	s_delay_alu instid0(SALU_CYCLE_1) | instskip(NEXT) | instid1(SALU_CYCLE_1)
	s_xor_b32 s6, s5, -1
	s_and_saveexec_b32 s7, s6
	s_delay_alu instid0(SALU_CYCLE_1)
	s_xor_b32 s6, exec_lo, s7
	s_cbranch_execz .LBB81_62
; %bb.61:
	v_add_nc_u32_e32 v38, v0, v42
	ds_load_u8 v38, v38 offset:1
.LBB81_62:
	s_or_saveexec_b32 s6, s6
	v_mov_b32_e32 v40, v41
	s_xor_b32 exec_lo, exec_lo, s6
	s_cbranch_execz .LBB81_64
; %bb.63:
	s_waitcnt lgkmcnt(0)
	v_add_nc_u32_e32 v38, v0, v43
	ds_load_u8 v40, v38 offset:1
	v_mov_b32_e32 v38, v39
.LBB81_64:
	s_or_b32 exec_lo, exec_lo, s6
	v_dual_cndmask_b32 v16, v16, v17 :: v_dual_add_nc_u32 v45, 1, v42
	v_cndmask_b32_e64 v39, v39, v41, s5
	v_cndmask_b32_e64 v41, v42, v43, s5
	v_add_nc_u32_e32 v44, 1, v43
	s_delay_alu instid0(VALU_DEP_4)
	v_cndmask_b32_e64 v42, v45, v42, s5
	v_cndmask_b32_e64 v18, v18, v19, s0
	;; [unrolled: 1-line block ×3, first 2 shown]
	s_waitcnt lgkmcnt(0)
	v_bfe_i32 v17, v40, 0, 8
	v_cndmask_b32_e64 v43, v43, v44, s5
	v_cmp_ge_i32_e64 s0, v42, v5
	v_bfe_i32 v5, v38, 0, 8
	v_lshlrev_b16 v8, 8, v8
	v_and_b32_e32 v6, 0xff, v6
	v_cndmask_b32_e64 v22, v22, v23, s1
	v_cndmask_b32_e64 v23, v24, v25, s1
	v_cmp_lt_i16_e64 s1, v17, v5
	v_cndmask_b32_e64 v26, v26, v27, s2
	v_cndmask_b32_e64 v27, v28, v29, s2
	v_lshlrev_b16 v9, 8, v9
	v_and_b32_e32 v7, 0xff, v7
	v_or_b32_e32 v6, v6, v8
	v_cmp_lt_i32_e64 s2, v43, v2
	s_or_b32 s0, s0, s1
	v_lshlrev_b16 v13, 8, v13
	v_and_b32_e32 v11, 0xff, v11
	v_lshlrev_b16 v12, 8, v12
	v_or_b32_e32 v7, v7, v9
	v_dual_cndmask_b32 v2, v14, v15 :: v_dual_lshlrev_b32 v9, 16, v6
	s_and_b32 vcc_lo, s2, s0
	v_and_b32_e32 v10, 0xff, v10
	v_or_b32_e32 v11, v11, v13
	v_and_b32_e32 v7, 0xffff, v7
	v_cndmask_b32_e64 v34, v34, v35, s4
	v_cndmask_b32_e64 v35, v36, v37, s4
	v_or_b32_e32 v10, v10, v12
	v_and_b32_e32 v5, 0xffff, v11
	v_cndmask_b32_e64 v30, v30, v31, s3
	v_cndmask_b32_e64 v31, v32, v33, s3
	v_add_nc_u32_e32 v2, v0, v2
	v_lshlrev_b32_e32 v8, 16, v10
	; wave barrier
	s_delay_alu instid0(VALU_DEP_3) | instskip(SKIP_1) | instid1(VALU_DEP_3)
	v_add_nc_u32_e32 v10, v0, v31
	v_add_nc_u32_e32 v11, v0, v35
	v_or_b32_e32 v6, v5, v8
	v_or_b32_e32 v5, v7, v9
	v_cndmask_b32_e32 v7, v42, v43, vcc_lo
	v_add_nc_u32_e32 v8, v0, v23
	v_add_nc_u32_e32 v9, v0, v27
	;; [unrolled: 1-line block ×3, first 2 shown]
	ds_store_b64 v1, v[5:6]
	v_add_nc_u32_e32 v6, v0, v19
	; wave barrier
	v_add_nc_u32_e32 v13, v0, v7
	ds_load_u8 v5, v2
	ds_load_u8 v7, v6
	;; [unrolled: 1-line block ×8, first 2 shown]
	v_cndmask_b32_e32 v15, v38, v40, vcc_lo
	v_lshlrev_b16 v17, 8, v18
	v_and_b32_e32 v16, 0xff, v16
	v_lshlrev_b16 v18, 8, v26
	v_and_b32_e32 v19, 0xff, v22
	v_and_b32_e32 v14, 0xc0, v4
	v_and_b32_e32 v20, 0xff, v39
	v_or_b32_e32 v16, v16, v17
	v_lshlrev_b16 v21, 8, v15
	v_or_b32_e32 v17, v19, v18
	v_lshlrev_b16 v18, 8, v34
	v_and_b32_e32 v19, 0xff, v30
	v_or_b32_e32 v13, 32, v14
	v_add_nc_u32_e32 v12, 64, v14
	v_and_b32_e32 v15, 56, v4
	v_or_b32_e32 v20, v20, v21
	v_or_b32_e32 v18, v19, v18
	v_and_b32_e32 v16, 0xffff, v16
	v_sub_nc_u32_e32 v19, v12, v13
	v_lshlrev_b32_e32 v17, 16, v17
	v_sub_nc_u32_e32 v23, v13, v14
	v_and_b32_e32 v21, 0xffff, v18
	v_lshlrev_b32_e32 v20, 16, v20
	v_sub_nc_u32_e32 v22, v15, v19
	v_cmp_ge_i32_e32 vcc_lo, v15, v19
	v_or_b32_e32 v18, v16, v17
	v_min_i32_e32 v17, v15, v23
	v_or_b32_e32 v19, v21, v20
	s_mov_b32 s1, 0
	v_cndmask_b32_e32 v16, 0, v22, vcc_lo
	s_mov_b32 s0, exec_lo
	; wave barrier
	ds_store_b64 v1, v[18:19]
	; wave barrier
	v_cmpx_lt_i32_e64 v16, v17
	s_cbranch_execz .LBB81_68
; %bb.65:
	v_add_nc_u32_e32 v18, v0, v14
	v_add3_u32 v19, v0, v13, v15
	.p2align	6
.LBB81_66:                              ; =>This Inner Loop Header: Depth=1
	v_sub_nc_u32_e32 v20, v17, v16
	s_delay_alu instid0(VALU_DEP_1) | instskip(NEXT) | instid1(VALU_DEP_1)
	v_lshrrev_b32_e32 v21, 31, v20
	v_add_nc_u32_e32 v20, v20, v21
	s_delay_alu instid0(VALU_DEP_1) | instskip(NEXT) | instid1(VALU_DEP_1)
	v_ashrrev_i32_e32 v20, 1, v20
	v_add_nc_u32_e32 v20, v20, v16
	s_delay_alu instid0(VALU_DEP_1)
	v_add_nc_u32_e32 v21, v18, v20
	v_xad_u32 v22, v20, -1, v19
	v_add_nc_u32_e32 v23, 1, v20
	ds_load_i8 v21, v21
	ds_load_i8 v22, v22
	s_waitcnt lgkmcnt(0)
	v_cmp_lt_i16_e32 vcc_lo, v22, v21
	v_cndmask_b32_e32 v17, v17, v20, vcc_lo
	v_cndmask_b32_e32 v16, v23, v16, vcc_lo
	s_delay_alu instid0(VALU_DEP_1) | instskip(SKIP_1) | instid1(SALU_CYCLE_1)
	v_cmp_ge_i32_e32 vcc_lo, v16, v17
	s_or_b32 s1, vcc_lo, s1
	s_and_not1_b32 exec_lo, exec_lo, s1
	s_cbranch_execnz .LBB81_66
; %bb.67:
	s_or_b32 exec_lo, exec_lo, s1
.LBB81_68:
	s_delay_alu instid0(SALU_CYCLE_1) | instskip(SKIP_2) | instid1(VALU_DEP_2)
	s_or_b32 exec_lo, exec_lo, s0
	v_add_nc_u32_e32 v15, v13, v15
	v_add_nc_u32_e32 v14, v16, v14
                                        ; implicit-def: $vgpr18
	v_sub_nc_u32_e32 v15, v15, v16
	s_delay_alu instid0(VALU_DEP_2) | instskip(SKIP_1) | instid1(VALU_DEP_3)
	v_add_nc_u32_e32 v19, v0, v14
	v_cmp_le_i32_e32 vcc_lo, v13, v14
	v_add_nc_u32_e32 v20, v0, v15
	v_cmp_gt_i32_e64 s1, v12, v15
	ds_load_u8 v16, v19
	ds_load_u8 v17, v20
	s_waitcnt lgkmcnt(1)
	v_bfe_i32 v16, v16, 0, 8
	s_waitcnt lgkmcnt(0)
	v_bfe_i32 v17, v17, 0, 8
	s_delay_alu instid0(VALU_DEP_1) | instskip(NEXT) | instid1(VALU_DEP_1)
	v_cmp_lt_i16_e64 s0, v17, v16
	s_or_b32 s0, vcc_lo, s0
	s_delay_alu instid0(SALU_CYCLE_1) | instskip(NEXT) | instid1(SALU_CYCLE_1)
	s_and_b32 vcc_lo, s1, s0
	s_xor_b32 s0, vcc_lo, -1
	s_delay_alu instid0(SALU_CYCLE_1) | instskip(NEXT) | instid1(SALU_CYCLE_1)
	s_and_saveexec_b32 s1, s0
	s_xor_b32 s0, exec_lo, s1
	s_cbranch_execz .LBB81_70
; %bb.69:
	ds_load_u8 v18, v19 offset:1
                                        ; implicit-def: $vgpr20
.LBB81_70:
	s_or_saveexec_b32 s0, s0
	v_mov_b32_e32 v19, v17
	s_xor_b32 exec_lo, exec_lo, s0
	s_cbranch_execz .LBB81_72
; %bb.71:
	ds_load_u8 v19, v20 offset:1
	s_waitcnt lgkmcnt(1)
	v_mov_b32_e32 v18, v16
.LBB81_72:
	s_or_b32 exec_lo, exec_lo, s0
	v_add_nc_u32_e32 v21, 1, v15
	v_add_nc_u32_e32 v20, 1, v14
	s_waitcnt lgkmcnt(0)
	v_bfe_i32 v22, v18, 0, 8
	v_bfe_i32 v23, v19, 0, 8
	s_delay_alu instid0(VALU_DEP_3) | instskip(NEXT) | instid1(VALU_DEP_2)
	v_dual_cndmask_b32 v21, v15, v21 :: v_dual_cndmask_b32 v20, v20, v14
	v_cmp_lt_i16_e64 s1, v23, v22
                                        ; implicit-def: $vgpr22
	s_delay_alu instid0(VALU_DEP_2) | instskip(NEXT) | instid1(VALU_DEP_3)
	v_cmp_lt_i32_e64 s2, v21, v12
	v_cmp_ge_i32_e64 s0, v20, v13
	s_delay_alu instid0(VALU_DEP_1)
	s_or_b32 s0, s0, s1
	s_delay_alu instid0(VALU_DEP_2) | instid1(SALU_CYCLE_1)
	s_and_b32 s0, s2, s0
	s_delay_alu instid0(SALU_CYCLE_1) | instskip(NEXT) | instid1(SALU_CYCLE_1)
	s_xor_b32 s1, s0, -1
	s_and_saveexec_b32 s2, s1
	s_delay_alu instid0(SALU_CYCLE_1)
	s_xor_b32 s1, exec_lo, s2
	s_cbranch_execz .LBB81_74
; %bb.73:
	v_add_nc_u32_e32 v22, v0, v20
	ds_load_u8 v22, v22 offset:1
.LBB81_74:
	s_or_saveexec_b32 s1, s1
	v_mov_b32_e32 v23, v19
	s_xor_b32 exec_lo, exec_lo, s1
	s_cbranch_execz .LBB81_76
; %bb.75:
	s_waitcnt lgkmcnt(0)
	v_add_nc_u32_e32 v22, v0, v21
	ds_load_u8 v23, v22 offset:1
	v_mov_b32_e32 v22, v18
.LBB81_76:
	s_or_b32 exec_lo, exec_lo, s1
	v_add_nc_u32_e32 v24, 1, v20
	v_add_nc_u32_e32 v25, 1, v21
	s_waitcnt lgkmcnt(0)
	v_bfe_i32 v26, v22, 0, 8
	v_bfe_i32 v27, v23, 0, 8
	v_cndmask_b32_e64 v24, v24, v20, s0
	v_cndmask_b32_e64 v25, v21, v25, s0
	s_delay_alu instid0(VALU_DEP_3) | instskip(NEXT) | instid1(VALU_DEP_3)
	v_cmp_lt_i16_e64 s2, v27, v26
                                        ; implicit-def: $vgpr26
	v_cmp_ge_i32_e64 s1, v24, v13
	s_delay_alu instid0(VALU_DEP_3) | instskip(NEXT) | instid1(VALU_DEP_2)
	v_cmp_lt_i32_e64 s3, v25, v12
	s_or_b32 s1, s1, s2
	s_delay_alu instid0(VALU_DEP_1) | instid1(SALU_CYCLE_1)
	s_and_b32 s1, s3, s1
	s_delay_alu instid0(SALU_CYCLE_1) | instskip(NEXT) | instid1(SALU_CYCLE_1)
	s_xor_b32 s2, s1, -1
	s_and_saveexec_b32 s3, s2
	s_delay_alu instid0(SALU_CYCLE_1)
	s_xor_b32 s2, exec_lo, s3
	s_cbranch_execz .LBB81_78
; %bb.77:
	v_add_nc_u32_e32 v26, v0, v24
	ds_load_u8 v26, v26 offset:1
.LBB81_78:
	s_or_saveexec_b32 s2, s2
	v_mov_b32_e32 v27, v23
	s_xor_b32 exec_lo, exec_lo, s2
	s_cbranch_execz .LBB81_80
; %bb.79:
	s_waitcnt lgkmcnt(0)
	v_add_nc_u32_e32 v26, v0, v25
	ds_load_u8 v27, v26 offset:1
	v_mov_b32_e32 v26, v22
.LBB81_80:
	s_or_b32 exec_lo, exec_lo, s2
	v_add_nc_u32_e32 v28, 1, v24
	v_add_nc_u32_e32 v29, 1, v25
	s_waitcnt lgkmcnt(0)
	v_bfe_i32 v30, v26, 0, 8
	v_bfe_i32 v31, v27, 0, 8
	v_cndmask_b32_e64 v28, v28, v24, s1
	v_cndmask_b32_e64 v29, v25, v29, s1
	s_delay_alu instid0(VALU_DEP_3) | instskip(NEXT) | instid1(VALU_DEP_3)
	v_cmp_lt_i16_e64 s3, v31, v30
                                        ; implicit-def: $vgpr30
	v_cmp_ge_i32_e64 s2, v28, v13
	s_delay_alu instid0(VALU_DEP_3) | instskip(NEXT) | instid1(VALU_DEP_2)
	v_cmp_lt_i32_e64 s4, v29, v12
	s_or_b32 s2, s2, s3
	s_delay_alu instid0(VALU_DEP_1) | instid1(SALU_CYCLE_1)
	s_and_b32 s2, s4, s2
	s_delay_alu instid0(SALU_CYCLE_1) | instskip(NEXT) | instid1(SALU_CYCLE_1)
	s_xor_b32 s3, s2, -1
	s_and_saveexec_b32 s4, s3
	s_delay_alu instid0(SALU_CYCLE_1)
	s_xor_b32 s3, exec_lo, s4
	s_cbranch_execz .LBB81_82
; %bb.81:
	v_add_nc_u32_e32 v30, v0, v28
	ds_load_u8 v30, v30 offset:1
.LBB81_82:
	s_or_saveexec_b32 s3, s3
	v_mov_b32_e32 v31, v27
	s_xor_b32 exec_lo, exec_lo, s3
	s_cbranch_execz .LBB81_84
; %bb.83:
	s_waitcnt lgkmcnt(0)
	v_add_nc_u32_e32 v30, v0, v29
	ds_load_u8 v31, v30 offset:1
	v_mov_b32_e32 v30, v26
.LBB81_84:
	s_or_b32 exec_lo, exec_lo, s3
	v_add_nc_u32_e32 v32, 1, v28
	v_add_nc_u32_e32 v33, 1, v29
	s_waitcnt lgkmcnt(0)
	v_bfe_i32 v34, v30, 0, 8
	v_bfe_i32 v35, v31, 0, 8
	v_cndmask_b32_e64 v32, v32, v28, s2
	v_cndmask_b32_e64 v33, v29, v33, s2
	s_delay_alu instid0(VALU_DEP_3) | instskip(NEXT) | instid1(VALU_DEP_3)
	v_cmp_lt_i16_e64 s4, v35, v34
                                        ; implicit-def: $vgpr34
	v_cmp_ge_i32_e64 s3, v32, v13
	s_delay_alu instid0(VALU_DEP_3) | instskip(NEXT) | instid1(VALU_DEP_2)
	v_cmp_lt_i32_e64 s5, v33, v12
	s_or_b32 s3, s3, s4
	s_delay_alu instid0(VALU_DEP_1) | instid1(SALU_CYCLE_1)
	s_and_b32 s3, s5, s3
	s_delay_alu instid0(SALU_CYCLE_1) | instskip(NEXT) | instid1(SALU_CYCLE_1)
	s_xor_b32 s4, s3, -1
	s_and_saveexec_b32 s5, s4
	s_delay_alu instid0(SALU_CYCLE_1)
	s_xor_b32 s4, exec_lo, s5
	s_cbranch_execz .LBB81_86
; %bb.85:
	v_add_nc_u32_e32 v34, v0, v32
	ds_load_u8 v34, v34 offset:1
.LBB81_86:
	s_or_saveexec_b32 s4, s4
	v_mov_b32_e32 v35, v31
	s_xor_b32 exec_lo, exec_lo, s4
	s_cbranch_execz .LBB81_88
; %bb.87:
	s_waitcnt lgkmcnt(0)
	v_add_nc_u32_e32 v34, v0, v33
	ds_load_u8 v35, v34 offset:1
	v_mov_b32_e32 v34, v30
.LBB81_88:
	s_or_b32 exec_lo, exec_lo, s4
	v_add_nc_u32_e32 v36, 1, v32
	v_add_nc_u32_e32 v37, 1, v33
	s_waitcnt lgkmcnt(0)
	v_bfe_i32 v38, v34, 0, 8
	v_bfe_i32 v39, v35, 0, 8
	v_cndmask_b32_e64 v36, v36, v32, s3
	v_cndmask_b32_e64 v37, v33, v37, s3
	s_delay_alu instid0(VALU_DEP_3) | instskip(NEXT) | instid1(VALU_DEP_3)
	v_cmp_lt_i16_e64 s5, v39, v38
                                        ; implicit-def: $vgpr39
	v_cmp_ge_i32_e64 s4, v36, v13
	s_delay_alu instid0(VALU_DEP_3) | instskip(NEXT) | instid1(VALU_DEP_2)
	v_cmp_lt_i32_e64 s6, v37, v12
	s_or_b32 s4, s4, s5
	s_delay_alu instid0(VALU_DEP_1) | instid1(SALU_CYCLE_1)
	s_and_b32 s4, s6, s4
	s_delay_alu instid0(SALU_CYCLE_1) | instskip(NEXT) | instid1(SALU_CYCLE_1)
	s_xor_b32 s5, s4, -1
	s_and_saveexec_b32 s6, s5
	s_delay_alu instid0(SALU_CYCLE_1)
	s_xor_b32 s5, exec_lo, s6
	s_cbranch_execz .LBB81_90
; %bb.89:
	v_add_nc_u32_e32 v38, v0, v36
	ds_load_u8 v39, v38 offset:1
.LBB81_90:
	s_or_saveexec_b32 s5, s5
	v_mov_b32_e32 v41, v35
	s_xor_b32 exec_lo, exec_lo, s5
	s_cbranch_execz .LBB81_92
; %bb.91:
	s_waitcnt lgkmcnt(0)
	v_dual_mov_b32 v39, v34 :: v_dual_add_nc_u32 v38, v0, v37
	ds_load_u8 v41, v38 offset:1
.LBB81_92:
	s_or_b32 exec_lo, exec_lo, s5
	v_add_nc_u32_e32 v38, 1, v36
	v_add_nc_u32_e32 v40, 1, v37
	s_waitcnt lgkmcnt(0)
	v_bfe_i32 v44, v39, 0, 8
	s_delay_alu instid0(VALU_DEP_3) | instskip(SKIP_2) | instid1(VALU_DEP_3)
	v_cndmask_b32_e64 v42, v38, v36, s4
	v_bfe_i32 v38, v41, 0, 8
	v_cndmask_b32_e64 v43, v37, v40, s4
	v_cmp_ge_i32_e64 s5, v42, v13
	s_delay_alu instid0(VALU_DEP_3) | instskip(NEXT) | instid1(VALU_DEP_3)
	v_cmp_lt_i16_e64 s6, v38, v44
	v_cmp_lt_i32_e64 s7, v43, v12
                                        ; implicit-def: $vgpr38
	s_delay_alu instid0(VALU_DEP_2)
	s_or_b32 s5, s5, s6
	s_delay_alu instid0(VALU_DEP_1) | instid1(SALU_CYCLE_1)
	s_and_b32 s5, s7, s5
	s_delay_alu instid0(SALU_CYCLE_1) | instskip(NEXT) | instid1(SALU_CYCLE_1)
	s_xor_b32 s6, s5, -1
	s_and_saveexec_b32 s7, s6
	s_delay_alu instid0(SALU_CYCLE_1)
	s_xor_b32 s6, exec_lo, s7
	s_cbranch_execz .LBB81_94
; %bb.93:
	v_add_nc_u32_e32 v38, v0, v42
	ds_load_u8 v38, v38 offset:1
.LBB81_94:
	s_or_saveexec_b32 s6, s6
	v_mov_b32_e32 v40, v41
	s_xor_b32 exec_lo, exec_lo, s6
	s_cbranch_execz .LBB81_96
; %bb.95:
	s_waitcnt lgkmcnt(0)
	v_add_nc_u32_e32 v38, v0, v43
	ds_load_u8 v40, v38 offset:1
	v_mov_b32_e32 v38, v39
.LBB81_96:
	s_or_b32 exec_lo, exec_lo, s6
	v_add_nc_u32_e32 v44, 1, v43
	v_dual_cndmask_b32 v16, v16, v17 :: v_dual_add_nc_u32 v45, 1, v42
	v_lshlrev_b16 v10, 8, v10
	v_and_b32_e32 v8, 0xff, v8
	v_cndmask_b32_e64 v39, v39, v41, s5
	v_cndmask_b32_e64 v41, v42, v43, s5
	;; [unrolled: 1-line block ×4, first 2 shown]
	v_lshlrev_b16 v11, 8, v11
	v_and_b32_e32 v9, 0xff, v9
	v_lshlrev_b16 v7, 8, v7
	v_and_b32_e32 v5, 0xff, v5
	;; [unrolled: 2-line block ×3, first 2 shown]
	v_or_b32_e32 v8, v8, v10
	v_cndmask_b32_e64 v18, v18, v19, s0
	v_or_b32_e32 v5, v5, v7
	v_cndmask_b32_e64 v19, v20, v21, s0
	v_or_b32_e32 v2, v2, v6
	v_dual_cndmask_b32 v8, v14, v15 :: v_dual_lshlrev_b32 v7, 16, v8
	v_or_b32_e32 v9, v9, v11
	v_cmp_ge_i32_e64 s0, v42, v13
	s_waitcnt lgkmcnt(0)
	v_bfe_i32 v13, v38, 0, 8
	v_bfe_i32 v17, v40, 0, 8
	v_and_b32_e32 v5, 0xffff, v5
	v_and_b32_e32 v6, 0xffff, v9
	v_lshlrev_b32_e32 v2, 16, v2
	v_cndmask_b32_e64 v22, v22, v23, s1
	v_cndmask_b32_e64 v23, v24, v25, s1
	v_cmp_lt_i16_e64 s1, v17, v13
	v_cndmask_b32_e64 v26, v26, v27, s2
	v_cndmask_b32_e64 v27, v28, v29, s2
	v_cmp_lt_i32_e64 s2, v43, v12
	v_or_b32_e32 v6, v6, v7
	v_or_b32_e32 v5, v5, v2
	s_or_b32 s0, s0, s1
	v_cndmask_b32_e64 v34, v34, v35, s4
	s_and_b32 vcc_lo, s2, s0
	v_cndmask_b32_e64 v35, v36, v37, s4
	v_cndmask_b32_e64 v30, v30, v31, s3
	;; [unrolled: 1-line block ×3, first 2 shown]
	v_cndmask_b32_e32 v2, v42, v43, vcc_lo
	; wave barrier
	ds_store_b64 v1, v[5:6]
	v_add_nc_u32_e32 v5, v0, v8
	v_add_nc_u32_e32 v6, v0, v19
	;; [unrolled: 1-line block ×6, first 2 shown]
	; wave barrier
	v_add_nc_u32_e32 v12, v0, v41
	v_add_nc_u32_e32 v13, v0, v2
	ds_load_u8 v5, v5
	ds_load_u8 v7, v6
	;; [unrolled: 1-line block ×8, first 2 shown]
	v_cndmask_b32_e32 v15, v38, v40, vcc_lo
	v_lshlrev_b16 v17, 8, v18
	v_and_b32_e32 v16, 0xff, v16
	v_lshlrev_b16 v18, 8, v26
	v_and_b32_e32 v19, 0xff, v22
	v_and_b32_e32 v14, 0x80, v4
	;; [unrolled: 1-line block ×3, first 2 shown]
	v_or_b32_e32 v16, v16, v17
	v_lshlrev_b16 v21, 8, v15
	v_or_b32_e32 v17, v19, v18
	v_lshlrev_b16 v18, 8, v34
	v_and_b32_e32 v19, 0xff, v30
	v_or_b32_e32 v13, 64, v14
	v_add_nc_u32_e32 v12, 0x80, v14
	v_and_b32_e32 v15, 0x78, v4
	v_or_b32_e32 v20, v20, v21
	v_or_b32_e32 v18, v19, v18
	v_and_b32_e32 v16, 0xffff, v16
	v_sub_nc_u32_e32 v19, v12, v13
	v_lshlrev_b32_e32 v17, 16, v17
	v_sub_nc_u32_e32 v23, v13, v14
	v_and_b32_e32 v21, 0xffff, v18
	v_lshlrev_b32_e32 v20, 16, v20
	v_sub_nc_u32_e32 v22, v15, v19
	v_cmp_ge_i32_e32 vcc_lo, v15, v19
	v_or_b32_e32 v18, v16, v17
	v_min_i32_e32 v17, v15, v23
	v_or_b32_e32 v19, v21, v20
	s_mov_b32 s1, 0
	v_cndmask_b32_e32 v16, 0, v22, vcc_lo
	s_mov_b32 s0, exec_lo
	; wave barrier
	ds_store_b64 v1, v[18:19]
	; wave barrier
	v_cmpx_lt_i32_e64 v16, v17
	s_cbranch_execz .LBB81_100
; %bb.97:
	v_add_nc_u32_e32 v18, v0, v14
	v_add3_u32 v19, v0, v13, v15
	.p2align	6
.LBB81_98:                              ; =>This Inner Loop Header: Depth=1
	v_sub_nc_u32_e32 v20, v17, v16
	s_delay_alu instid0(VALU_DEP_1) | instskip(NEXT) | instid1(VALU_DEP_1)
	v_lshrrev_b32_e32 v21, 31, v20
	v_add_nc_u32_e32 v20, v20, v21
	s_delay_alu instid0(VALU_DEP_1) | instskip(NEXT) | instid1(VALU_DEP_1)
	v_ashrrev_i32_e32 v20, 1, v20
	v_add_nc_u32_e32 v20, v20, v16
	s_delay_alu instid0(VALU_DEP_1)
	v_add_nc_u32_e32 v21, v18, v20
	v_xad_u32 v22, v20, -1, v19
	v_add_nc_u32_e32 v23, 1, v20
	ds_load_i8 v21, v21
	ds_load_i8 v22, v22
	s_waitcnt lgkmcnt(0)
	v_cmp_lt_i16_e32 vcc_lo, v22, v21
	v_cndmask_b32_e32 v17, v17, v20, vcc_lo
	v_cndmask_b32_e32 v16, v23, v16, vcc_lo
	s_delay_alu instid0(VALU_DEP_1) | instskip(SKIP_1) | instid1(SALU_CYCLE_1)
	v_cmp_ge_i32_e32 vcc_lo, v16, v17
	s_or_b32 s1, vcc_lo, s1
	s_and_not1_b32 exec_lo, exec_lo, s1
	s_cbranch_execnz .LBB81_98
; %bb.99:
	s_or_b32 exec_lo, exec_lo, s1
.LBB81_100:
	s_delay_alu instid0(SALU_CYCLE_1) | instskip(SKIP_2) | instid1(VALU_DEP_2)
	s_or_b32 exec_lo, exec_lo, s0
	v_add_nc_u32_e32 v15, v13, v15
	v_add_nc_u32_e32 v14, v16, v14
                                        ; implicit-def: $vgpr18
	v_sub_nc_u32_e32 v15, v15, v16
	s_delay_alu instid0(VALU_DEP_2) | instskip(SKIP_1) | instid1(VALU_DEP_3)
	v_add_nc_u32_e32 v19, v0, v14
	v_cmp_le_i32_e32 vcc_lo, v13, v14
	v_add_nc_u32_e32 v20, v0, v15
	v_cmp_gt_i32_e64 s1, v12, v15
	ds_load_u8 v16, v19
	ds_load_u8 v17, v20
	s_waitcnt lgkmcnt(1)
	v_bfe_i32 v16, v16, 0, 8
	s_waitcnt lgkmcnt(0)
	v_bfe_i32 v17, v17, 0, 8
	s_delay_alu instid0(VALU_DEP_1) | instskip(NEXT) | instid1(VALU_DEP_1)
	v_cmp_lt_i16_e64 s0, v17, v16
	s_or_b32 s0, vcc_lo, s0
	s_delay_alu instid0(SALU_CYCLE_1) | instskip(NEXT) | instid1(SALU_CYCLE_1)
	s_and_b32 vcc_lo, s1, s0
	s_xor_b32 s0, vcc_lo, -1
	s_delay_alu instid0(SALU_CYCLE_1) | instskip(NEXT) | instid1(SALU_CYCLE_1)
	s_and_saveexec_b32 s1, s0
	s_xor_b32 s0, exec_lo, s1
	s_cbranch_execz .LBB81_102
; %bb.101:
	ds_load_u8 v18, v19 offset:1
                                        ; implicit-def: $vgpr20
.LBB81_102:
	s_or_saveexec_b32 s0, s0
	v_mov_b32_e32 v19, v17
	s_xor_b32 exec_lo, exec_lo, s0
	s_cbranch_execz .LBB81_104
; %bb.103:
	ds_load_u8 v19, v20 offset:1
	s_waitcnt lgkmcnt(1)
	v_mov_b32_e32 v18, v16
.LBB81_104:
	s_or_b32 exec_lo, exec_lo, s0
	v_add_nc_u32_e32 v21, 1, v15
	v_add_nc_u32_e32 v20, 1, v14
	s_waitcnt lgkmcnt(0)
	v_bfe_i32 v22, v18, 0, 8
	v_bfe_i32 v23, v19, 0, 8
	s_delay_alu instid0(VALU_DEP_3) | instskip(NEXT) | instid1(VALU_DEP_2)
	v_dual_cndmask_b32 v21, v15, v21 :: v_dual_cndmask_b32 v20, v20, v14
	v_cmp_lt_i16_e64 s1, v23, v22
                                        ; implicit-def: $vgpr22
	s_delay_alu instid0(VALU_DEP_2) | instskip(NEXT) | instid1(VALU_DEP_3)
	v_cmp_lt_i32_e64 s2, v21, v12
	v_cmp_ge_i32_e64 s0, v20, v13
	s_delay_alu instid0(VALU_DEP_1)
	s_or_b32 s0, s0, s1
	s_delay_alu instid0(VALU_DEP_2) | instid1(SALU_CYCLE_1)
	s_and_b32 s0, s2, s0
	s_delay_alu instid0(SALU_CYCLE_1) | instskip(NEXT) | instid1(SALU_CYCLE_1)
	s_xor_b32 s1, s0, -1
	s_and_saveexec_b32 s2, s1
	s_delay_alu instid0(SALU_CYCLE_1)
	s_xor_b32 s1, exec_lo, s2
	s_cbranch_execz .LBB81_106
; %bb.105:
	v_add_nc_u32_e32 v22, v0, v20
	ds_load_u8 v22, v22 offset:1
.LBB81_106:
	s_or_saveexec_b32 s1, s1
	v_mov_b32_e32 v23, v19
	s_xor_b32 exec_lo, exec_lo, s1
	s_cbranch_execz .LBB81_108
; %bb.107:
	s_waitcnt lgkmcnt(0)
	v_add_nc_u32_e32 v22, v0, v21
	ds_load_u8 v23, v22 offset:1
	v_mov_b32_e32 v22, v18
.LBB81_108:
	s_or_b32 exec_lo, exec_lo, s1
	v_add_nc_u32_e32 v24, 1, v20
	v_add_nc_u32_e32 v25, 1, v21
	s_waitcnt lgkmcnt(0)
	v_bfe_i32 v26, v22, 0, 8
	v_bfe_i32 v27, v23, 0, 8
	v_cndmask_b32_e64 v24, v24, v20, s0
	v_cndmask_b32_e64 v25, v21, v25, s0
	s_delay_alu instid0(VALU_DEP_3) | instskip(NEXT) | instid1(VALU_DEP_3)
	v_cmp_lt_i16_e64 s2, v27, v26
                                        ; implicit-def: $vgpr26
	v_cmp_ge_i32_e64 s1, v24, v13
	s_delay_alu instid0(VALU_DEP_3) | instskip(NEXT) | instid1(VALU_DEP_2)
	v_cmp_lt_i32_e64 s3, v25, v12
	s_or_b32 s1, s1, s2
	s_delay_alu instid0(VALU_DEP_1) | instid1(SALU_CYCLE_1)
	s_and_b32 s1, s3, s1
	s_delay_alu instid0(SALU_CYCLE_1) | instskip(NEXT) | instid1(SALU_CYCLE_1)
	s_xor_b32 s2, s1, -1
	s_and_saveexec_b32 s3, s2
	s_delay_alu instid0(SALU_CYCLE_1)
	s_xor_b32 s2, exec_lo, s3
	s_cbranch_execz .LBB81_110
; %bb.109:
	v_add_nc_u32_e32 v26, v0, v24
	ds_load_u8 v26, v26 offset:1
.LBB81_110:
	s_or_saveexec_b32 s2, s2
	v_mov_b32_e32 v27, v23
	s_xor_b32 exec_lo, exec_lo, s2
	s_cbranch_execz .LBB81_112
; %bb.111:
	s_waitcnt lgkmcnt(0)
	v_add_nc_u32_e32 v26, v0, v25
	ds_load_u8 v27, v26 offset:1
	v_mov_b32_e32 v26, v22
.LBB81_112:
	s_or_b32 exec_lo, exec_lo, s2
	v_add_nc_u32_e32 v28, 1, v24
	v_add_nc_u32_e32 v29, 1, v25
	s_waitcnt lgkmcnt(0)
	v_bfe_i32 v30, v26, 0, 8
	v_bfe_i32 v31, v27, 0, 8
	v_cndmask_b32_e64 v28, v28, v24, s1
	v_cndmask_b32_e64 v29, v25, v29, s1
	s_delay_alu instid0(VALU_DEP_3) | instskip(NEXT) | instid1(VALU_DEP_3)
	v_cmp_lt_i16_e64 s3, v31, v30
                                        ; implicit-def: $vgpr30
	v_cmp_ge_i32_e64 s2, v28, v13
	s_delay_alu instid0(VALU_DEP_3) | instskip(NEXT) | instid1(VALU_DEP_2)
	v_cmp_lt_i32_e64 s4, v29, v12
	s_or_b32 s2, s2, s3
	s_delay_alu instid0(VALU_DEP_1) | instid1(SALU_CYCLE_1)
	s_and_b32 s2, s4, s2
	s_delay_alu instid0(SALU_CYCLE_1) | instskip(NEXT) | instid1(SALU_CYCLE_1)
	s_xor_b32 s3, s2, -1
	s_and_saveexec_b32 s4, s3
	s_delay_alu instid0(SALU_CYCLE_1)
	s_xor_b32 s3, exec_lo, s4
	s_cbranch_execz .LBB81_114
; %bb.113:
	v_add_nc_u32_e32 v30, v0, v28
	ds_load_u8 v30, v30 offset:1
.LBB81_114:
	s_or_saveexec_b32 s3, s3
	v_mov_b32_e32 v31, v27
	s_xor_b32 exec_lo, exec_lo, s3
	s_cbranch_execz .LBB81_116
; %bb.115:
	s_waitcnt lgkmcnt(0)
	v_add_nc_u32_e32 v30, v0, v29
	ds_load_u8 v31, v30 offset:1
	v_mov_b32_e32 v30, v26
.LBB81_116:
	s_or_b32 exec_lo, exec_lo, s3
	v_add_nc_u32_e32 v32, 1, v28
	v_add_nc_u32_e32 v33, 1, v29
	s_waitcnt lgkmcnt(0)
	v_bfe_i32 v34, v30, 0, 8
	v_bfe_i32 v35, v31, 0, 8
	v_cndmask_b32_e64 v32, v32, v28, s2
	v_cndmask_b32_e64 v33, v29, v33, s2
	s_delay_alu instid0(VALU_DEP_3) | instskip(NEXT) | instid1(VALU_DEP_3)
	v_cmp_lt_i16_e64 s4, v35, v34
                                        ; implicit-def: $vgpr34
	v_cmp_ge_i32_e64 s3, v32, v13
	s_delay_alu instid0(VALU_DEP_3) | instskip(NEXT) | instid1(VALU_DEP_2)
	v_cmp_lt_i32_e64 s5, v33, v12
	s_or_b32 s3, s3, s4
	s_delay_alu instid0(VALU_DEP_1) | instid1(SALU_CYCLE_1)
	s_and_b32 s3, s5, s3
	s_delay_alu instid0(SALU_CYCLE_1) | instskip(NEXT) | instid1(SALU_CYCLE_1)
	s_xor_b32 s4, s3, -1
	s_and_saveexec_b32 s5, s4
	s_delay_alu instid0(SALU_CYCLE_1)
	s_xor_b32 s4, exec_lo, s5
	s_cbranch_execz .LBB81_118
; %bb.117:
	v_add_nc_u32_e32 v34, v0, v32
	ds_load_u8 v34, v34 offset:1
.LBB81_118:
	s_or_saveexec_b32 s4, s4
	v_mov_b32_e32 v35, v31
	s_xor_b32 exec_lo, exec_lo, s4
	s_cbranch_execz .LBB81_120
; %bb.119:
	s_waitcnt lgkmcnt(0)
	v_add_nc_u32_e32 v34, v0, v33
	ds_load_u8 v35, v34 offset:1
	v_mov_b32_e32 v34, v30
.LBB81_120:
	s_or_b32 exec_lo, exec_lo, s4
	v_add_nc_u32_e32 v36, 1, v32
	v_add_nc_u32_e32 v37, 1, v33
	s_waitcnt lgkmcnt(0)
	v_bfe_i32 v38, v34, 0, 8
	v_bfe_i32 v39, v35, 0, 8
	v_cndmask_b32_e64 v36, v36, v32, s3
	v_cndmask_b32_e64 v37, v33, v37, s3
	s_delay_alu instid0(VALU_DEP_3) | instskip(NEXT) | instid1(VALU_DEP_3)
	v_cmp_lt_i16_e64 s5, v39, v38
                                        ; implicit-def: $vgpr39
	v_cmp_ge_i32_e64 s4, v36, v13
	s_delay_alu instid0(VALU_DEP_3) | instskip(NEXT) | instid1(VALU_DEP_2)
	v_cmp_lt_i32_e64 s6, v37, v12
	s_or_b32 s4, s4, s5
	s_delay_alu instid0(VALU_DEP_1) | instid1(SALU_CYCLE_1)
	s_and_b32 s4, s6, s4
	s_delay_alu instid0(SALU_CYCLE_1) | instskip(NEXT) | instid1(SALU_CYCLE_1)
	s_xor_b32 s5, s4, -1
	s_and_saveexec_b32 s6, s5
	s_delay_alu instid0(SALU_CYCLE_1)
	s_xor_b32 s5, exec_lo, s6
	s_cbranch_execz .LBB81_122
; %bb.121:
	v_add_nc_u32_e32 v38, v0, v36
	ds_load_u8 v39, v38 offset:1
.LBB81_122:
	s_or_saveexec_b32 s5, s5
	v_mov_b32_e32 v41, v35
	s_xor_b32 exec_lo, exec_lo, s5
	s_cbranch_execz .LBB81_124
; %bb.123:
	s_waitcnt lgkmcnt(0)
	v_dual_mov_b32 v39, v34 :: v_dual_add_nc_u32 v38, v0, v37
	ds_load_u8 v41, v38 offset:1
.LBB81_124:
	s_or_b32 exec_lo, exec_lo, s5
	v_add_nc_u32_e32 v38, 1, v36
	v_add_nc_u32_e32 v40, 1, v37
	s_waitcnt lgkmcnt(0)
	v_bfe_i32 v44, v39, 0, 8
	s_delay_alu instid0(VALU_DEP_3) | instskip(SKIP_2) | instid1(VALU_DEP_3)
	v_cndmask_b32_e64 v42, v38, v36, s4
	v_bfe_i32 v38, v41, 0, 8
	v_cndmask_b32_e64 v43, v37, v40, s4
	v_cmp_ge_i32_e64 s5, v42, v13
	s_delay_alu instid0(VALU_DEP_3) | instskip(NEXT) | instid1(VALU_DEP_3)
	v_cmp_lt_i16_e64 s6, v38, v44
	v_cmp_lt_i32_e64 s7, v43, v12
                                        ; implicit-def: $vgpr38
	s_delay_alu instid0(VALU_DEP_2)
	s_or_b32 s5, s5, s6
	s_delay_alu instid0(VALU_DEP_1) | instid1(SALU_CYCLE_1)
	s_and_b32 s5, s7, s5
	s_delay_alu instid0(SALU_CYCLE_1) | instskip(NEXT) | instid1(SALU_CYCLE_1)
	s_xor_b32 s6, s5, -1
	s_and_saveexec_b32 s7, s6
	s_delay_alu instid0(SALU_CYCLE_1)
	s_xor_b32 s6, exec_lo, s7
	s_cbranch_execz .LBB81_126
; %bb.125:
	v_add_nc_u32_e32 v38, v0, v42
	ds_load_u8 v38, v38 offset:1
.LBB81_126:
	s_or_saveexec_b32 s6, s6
	v_mov_b32_e32 v40, v41
	s_xor_b32 exec_lo, exec_lo, s6
	s_cbranch_execz .LBB81_128
; %bb.127:
	s_waitcnt lgkmcnt(0)
	v_add_nc_u32_e32 v38, v0, v43
	ds_load_u8 v40, v38 offset:1
	v_mov_b32_e32 v38, v39
.LBB81_128:
	s_or_b32 exec_lo, exec_lo, s6
	v_dual_cndmask_b32 v16, v16, v17 :: v_dual_add_nc_u32 v45, 1, v42
	v_cndmask_b32_e64 v39, v39, v41, s5
	v_cndmask_b32_e64 v41, v42, v43, s5
	v_add_nc_u32_e32 v44, 1, v43
	s_delay_alu instid0(VALU_DEP_4)
	v_cndmask_b32_e64 v42, v45, v42, s5
	v_lshlrev_b16 v10, 8, v10
	v_and_b32_e32 v8, 0xff, v8
	v_cndmask_b32_e64 v18, v18, v19, s0
	v_cndmask_b32_e64 v19, v20, v21, s0
	v_cmp_ge_i32_e64 s0, v42, v13
	s_waitcnt lgkmcnt(0)
	v_bfe_i32 v13, v38, 0, 8
	v_bfe_i32 v17, v40, 0, 8
	v_cndmask_b32_e64 v43, v43, v44, s5
	v_lshlrev_b16 v11, 8, v11
	v_and_b32_e32 v9, 0xff, v9
	v_lshlrev_b16 v7, 8, v7
	v_and_b32_e32 v5, 0xff, v5
	v_lshlrev_b16 v6, 8, v6
	v_and_b32_e32 v2, 0xff, v2
	v_or_b32_e32 v8, v8, v10
	v_cndmask_b32_e64 v22, v22, v23, s1
	v_cndmask_b32_e64 v23, v24, v25, s1
	v_cmp_lt_i16_e64 s1, v17, v13
	v_cndmask_b32_e64 v26, v26, v27, s2
	v_cndmask_b32_e64 v27, v28, v29, s2
	v_cmp_lt_i32_e64 s2, v43, v12
	v_or_b32_e32 v5, v5, v7
	v_or_b32_e32 v2, v2, v6
	v_dual_cndmask_b32 v8, v14, v15 :: v_dual_lshlrev_b32 v7, 16, v8
	v_or_b32_e32 v9, v9, v11
	s_or_b32 s0, s0, s1
	v_and_b32_e32 v5, 0xffff, v5
	s_and_b32 vcc_lo, s2, s0
	v_lshlrev_b32_e32 v2, 16, v2
	v_and_b32_e32 v6, 0xffff, v9
	v_cndmask_b32_e32 v12, v38, v40, vcc_lo
	v_cndmask_b32_e64 v34, v34, v35, s4
	v_cndmask_b32_e64 v35, v36, v37, s4
	v_or_b32_e32 v5, v5, v2
	v_cndmask_b32_e32 v2, v42, v43, vcc_lo
	v_or_b32_e32 v6, v6, v7
	v_lshlrev_b16 v20, 8, v12
	v_and_b32_e32 v12, 0xf8, v4
	v_cndmask_b32_e64 v30, v30, v31, s3
	v_cndmask_b32_e64 v31, v32, v33, s3
	; wave barrier
	ds_store_b64 v1, v[5:6]
	v_cmp_lt_i32_e32 vcc_lo, 0x7f, v12
	v_add_nc_u32_e32 v5, v0, v8
	v_add_nc_u32_e32 v6, v0, v19
	;; [unrolled: 1-line block ×6, first 2 shown]
	; wave barrier
	v_add_nc_u32_e32 v13, v0, v41
	v_add_nc_u32_e32 v14, v0, v2
	ds_load_u8 v5, v5
	ds_load_u8 v7, v6
	;; [unrolled: 1-line block ×8, first 2 shown]
	v_lshlrev_b16 v13, 8, v18
	v_and_b32_e32 v14, 0xff, v16
	v_lshlrev_b16 v15, 8, v26
	v_and_b32_e32 v16, 0xff, v22
	;; [unrolled: 2-line block ×3, first 2 shown]
	v_and_b32_e32 v19, 0xff, v39
	v_or_b32_e32 v13, v14, v13
	v_or_b32_e32 v4, v16, v15
	s_mov_b32 s0, exec_lo
	v_or_b32_e32 v14, v18, v17
	v_or_b32_e32 v15, v19, v20
	v_and_b32_e32 v16, 0xffff, v13
	v_add_nc_u32_e32 v13, 0xffffff80, v12
	v_lshlrev_b32_e32 v17, 16, v4
	v_and_b32_e32 v18, 0xffff, v14
	v_lshlrev_b32_e32 v15, 16, v15
	s_delay_alu instid0(VALU_DEP_4) | instskip(SKIP_2) | instid1(VALU_DEP_4)
	v_cndmask_b32_e32 v4, 0, v13, vcc_lo
	v_min_i32_e32 v13, 0x80, v12
	v_or_b32_e32 v14, v16, v17
	v_or_b32_e32 v15, v18, v15
	; wave barrier
	ds_store_b64 v1, v[14:15]
	; wave barrier
	v_cmpx_lt_i32_e64 v4, v13
	s_cbranch_execz .LBB81_132
; %bb.129:
	v_add3_u32 v14, 0x80, v0, v12
	s_mov_b32 s1, 0
	.p2align	6
.LBB81_130:                             ; =>This Inner Loop Header: Depth=1
	v_sub_nc_u32_e32 v15, v13, v4
	s_delay_alu instid0(VALU_DEP_1) | instskip(NEXT) | instid1(VALU_DEP_1)
	v_lshrrev_b32_e32 v16, 31, v15
	v_add_nc_u32_e32 v15, v15, v16
	s_delay_alu instid0(VALU_DEP_1) | instskip(NEXT) | instid1(VALU_DEP_1)
	v_ashrrev_i32_e32 v15, 1, v15
	v_add_nc_u32_e32 v15, v15, v4
	s_delay_alu instid0(VALU_DEP_1)
	v_add_nc_u32_e32 v16, v0, v15
	v_xad_u32 v17, v15, -1, v14
	v_add_nc_u32_e32 v18, 1, v15
	ds_load_i8 v16, v16
	ds_load_i8 v17, v17
	s_waitcnt lgkmcnt(0)
	v_cmp_lt_i16_e32 vcc_lo, v17, v16
	v_dual_cndmask_b32 v13, v13, v15 :: v_dual_cndmask_b32 v4, v18, v4
	s_delay_alu instid0(VALU_DEP_1) | instskip(SKIP_1) | instid1(SALU_CYCLE_1)
	v_cmp_ge_i32_e32 vcc_lo, v4, v13
	s_or_b32 s1, vcc_lo, s1
	s_and_not1_b32 exec_lo, exec_lo, s1
	s_cbranch_execnz .LBB81_130
; %bb.131:
	s_or_b32 exec_lo, exec_lo, s1
.LBB81_132:
	s_delay_alu instid0(SALU_CYCLE_1) | instskip(SKIP_3) | instid1(VALU_DEP_3)
	s_or_b32 exec_lo, exec_lo, s0
	v_add_nc_u32_e32 v12, 0x80, v12
	v_add_nc_u32_e32 v15, v0, v4
	v_cmp_le_i32_e32 vcc_lo, 0x80, v4
                                        ; implicit-def: $vgpr14
	v_sub_nc_u32_e32 v16, v12, v4
	s_delay_alu instid0(VALU_DEP_1)
	v_add_nc_u32_e32 v17, v0, v16
	v_cmp_gt_i32_e64 s1, 0x100, v16
	ds_load_u8 v12, v15
	ds_load_u8 v13, v17
	s_waitcnt lgkmcnt(1)
	v_bfe_i32 v12, v12, 0, 8
	s_waitcnt lgkmcnt(0)
	v_bfe_i32 v13, v13, 0, 8
	s_delay_alu instid0(VALU_DEP_1) | instskip(NEXT) | instid1(VALU_DEP_1)
	v_cmp_lt_i16_e64 s0, v13, v12
	s_or_b32 s0, vcc_lo, s0
	s_delay_alu instid0(SALU_CYCLE_1) | instskip(NEXT) | instid1(SALU_CYCLE_1)
	s_and_b32 vcc_lo, s1, s0
	s_xor_b32 s0, vcc_lo, -1
	s_delay_alu instid0(SALU_CYCLE_1) | instskip(NEXT) | instid1(SALU_CYCLE_1)
	s_and_saveexec_b32 s1, s0
	s_xor_b32 s0, exec_lo, s1
	s_cbranch_execz .LBB81_134
; %bb.133:
	ds_load_u8 v14, v15 offset:1
                                        ; implicit-def: $vgpr17
.LBB81_134:
	s_or_saveexec_b32 s0, s0
	v_mov_b32_e32 v15, v13
	s_xor_b32 exec_lo, exec_lo, s0
	s_cbranch_execz .LBB81_136
; %bb.135:
	ds_load_u8 v15, v17 offset:1
	s_waitcnt lgkmcnt(1)
	v_mov_b32_e32 v14, v12
.LBB81_136:
	s_or_b32 exec_lo, exec_lo, s0
	v_add_nc_u32_e32 v18, 1, v16
	v_add_nc_u32_e32 v17, 1, v4
	s_waitcnt lgkmcnt(0)
	v_bfe_i32 v19, v14, 0, 8
	s_delay_alu instid0(VALU_DEP_2) | instskip(SKIP_1) | instid1(VALU_DEP_2)
	v_dual_cndmask_b32 v22, v16, v18 :: v_dual_cndmask_b32 v21, v17, v4
	v_bfe_i32 v17, v15, 0, 8
	v_cmp_gt_i32_e64 s2, 0x100, v22
	s_delay_alu instid0(VALU_DEP_3) | instskip(NEXT) | instid1(VALU_DEP_3)
	v_cmp_le_i32_e64 s0, 0x80, v21
	v_cmp_lt_i16_e64 s1, v17, v19
                                        ; implicit-def: $vgpr17
	s_delay_alu instid0(VALU_DEP_1)
	s_or_b32 s0, s0, s1
	s_delay_alu instid0(VALU_DEP_3) | instid1(SALU_CYCLE_1)
	s_and_b32 s0, s2, s0
	s_delay_alu instid0(SALU_CYCLE_1) | instskip(NEXT) | instid1(SALU_CYCLE_1)
	s_xor_b32 s1, s0, -1
	s_and_saveexec_b32 s2, s1
	s_delay_alu instid0(SALU_CYCLE_1)
	s_xor_b32 s1, exec_lo, s2
	s_cbranch_execz .LBB81_138
; %bb.137:
	v_add_nc_u32_e32 v17, v0, v21
	ds_load_u8 v17, v17 offset:1
.LBB81_138:
	s_or_saveexec_b32 s1, s1
	v_mov_b32_e32 v18, v15
	s_xor_b32 exec_lo, exec_lo, s1
	s_cbranch_execz .LBB81_140
; %bb.139:
	s_waitcnt lgkmcnt(0)
	v_add_nc_u32_e32 v17, v0, v22
	ds_load_u8 v18, v17 offset:1
	v_mov_b32_e32 v17, v14
.LBB81_140:
	s_or_b32 exec_lo, exec_lo, s1
	v_add_nc_u32_e32 v19, 1, v21
	v_add_nc_u32_e32 v20, 1, v22
	s_waitcnt lgkmcnt(0)
	v_bfe_i32 v23, v17, 0, 8
	s_delay_alu instid0(VALU_DEP_3) | instskip(SKIP_2) | instid1(VALU_DEP_3)
	v_cndmask_b32_e64 v25, v19, v21, s0
	v_bfe_i32 v19, v18, 0, 8
	v_cndmask_b32_e64 v26, v22, v20, s0
	v_cmp_le_i32_e64 s1, 0x80, v25
	s_delay_alu instid0(VALU_DEP_3) | instskip(NEXT) | instid1(VALU_DEP_3)
	v_cmp_lt_i16_e64 s2, v19, v23
	v_cmp_gt_i32_e64 s3, 0x100, v26
                                        ; implicit-def: $vgpr19
	s_delay_alu instid0(VALU_DEP_2)
	s_or_b32 s1, s1, s2
	s_delay_alu instid0(VALU_DEP_1) | instid1(SALU_CYCLE_1)
	s_and_b32 s1, s3, s1
	s_delay_alu instid0(SALU_CYCLE_1) | instskip(NEXT) | instid1(SALU_CYCLE_1)
	s_xor_b32 s2, s1, -1
	s_and_saveexec_b32 s3, s2
	s_delay_alu instid0(SALU_CYCLE_1)
	s_xor_b32 s2, exec_lo, s3
	s_cbranch_execz .LBB81_142
; %bb.141:
	v_add_nc_u32_e32 v19, v0, v25
	ds_load_u8 v19, v19 offset:1
.LBB81_142:
	s_or_saveexec_b32 s2, s2
	v_mov_b32_e32 v20, v18
	s_xor_b32 exec_lo, exec_lo, s2
	s_cbranch_execz .LBB81_144
; %bb.143:
	s_waitcnt lgkmcnt(0)
	v_add_nc_u32_e32 v19, v0, v26
	ds_load_u8 v20, v19 offset:1
	v_mov_b32_e32 v19, v17
.LBB81_144:
	s_or_b32 exec_lo, exec_lo, s2
	v_add_nc_u32_e32 v23, 1, v25
	v_add_nc_u32_e32 v24, 1, v26
	s_waitcnt lgkmcnt(0)
	v_bfe_i32 v27, v19, 0, 8
	s_delay_alu instid0(VALU_DEP_3) | instskip(SKIP_2) | instid1(VALU_DEP_3)
	v_cndmask_b32_e64 v29, v23, v25, s1
	v_bfe_i32 v23, v20, 0, 8
	v_cndmask_b32_e64 v30, v26, v24, s1
	v_cmp_le_i32_e64 s2, 0x80, v29
	s_delay_alu instid0(VALU_DEP_3) | instskip(NEXT) | instid1(VALU_DEP_3)
	v_cmp_lt_i16_e64 s3, v23, v27
	v_cmp_gt_i32_e64 s4, 0x100, v30
                                        ; implicit-def: $vgpr23
	s_delay_alu instid0(VALU_DEP_2)
	s_or_b32 s2, s2, s3
	s_delay_alu instid0(VALU_DEP_1) | instid1(SALU_CYCLE_1)
	s_and_b32 s2, s4, s2
	s_delay_alu instid0(SALU_CYCLE_1) | instskip(NEXT) | instid1(SALU_CYCLE_1)
	s_xor_b32 s3, s2, -1
	s_and_saveexec_b32 s4, s3
	s_delay_alu instid0(SALU_CYCLE_1)
	s_xor_b32 s3, exec_lo, s4
	s_cbranch_execz .LBB81_146
; %bb.145:
	v_add_nc_u32_e32 v23, v0, v29
	ds_load_u8 v23, v23 offset:1
.LBB81_146:
	s_or_saveexec_b32 s3, s3
	v_mov_b32_e32 v24, v20
	s_xor_b32 exec_lo, exec_lo, s3
	s_cbranch_execz .LBB81_148
; %bb.147:
	s_waitcnt lgkmcnt(0)
	v_add_nc_u32_e32 v23, v0, v30
	ds_load_u8 v24, v23 offset:1
	v_mov_b32_e32 v23, v19
.LBB81_148:
	s_or_b32 exec_lo, exec_lo, s3
	v_add_nc_u32_e32 v27, 1, v29
	v_add_nc_u32_e32 v28, 1, v30
	s_waitcnt lgkmcnt(0)
	v_bfe_i32 v33, v23, 0, 8
	s_delay_alu instid0(VALU_DEP_3) | instskip(SKIP_2) | instid1(VALU_DEP_3)
	v_cndmask_b32_e64 v31, v27, v29, s2
	v_bfe_i32 v27, v24, 0, 8
	v_cndmask_b32_e64 v32, v30, v28, s2
	v_cmp_le_i32_e64 s3, 0x80, v31
	s_delay_alu instid0(VALU_DEP_3) | instskip(NEXT) | instid1(VALU_DEP_3)
	v_cmp_lt_i16_e64 s4, v27, v33
	v_cmp_gt_i32_e64 s5, 0x100, v32
                                        ; implicit-def: $vgpr27
	s_delay_alu instid0(VALU_DEP_2)
	s_or_b32 s3, s3, s4
	s_delay_alu instid0(VALU_DEP_1) | instid1(SALU_CYCLE_1)
	s_and_b32 s3, s5, s3
	s_delay_alu instid0(SALU_CYCLE_1) | instskip(NEXT) | instid1(SALU_CYCLE_1)
	s_xor_b32 s4, s3, -1
	s_and_saveexec_b32 s5, s4
	s_delay_alu instid0(SALU_CYCLE_1)
	s_xor_b32 s4, exec_lo, s5
	s_cbranch_execz .LBB81_150
; %bb.149:
	v_add_nc_u32_e32 v27, v0, v31
	ds_load_u8 v27, v27 offset:1
.LBB81_150:
	s_or_saveexec_b32 s4, s4
	v_mov_b32_e32 v28, v24
	s_xor_b32 exec_lo, exec_lo, s4
	s_cbranch_execz .LBB81_152
; %bb.151:
	s_waitcnt lgkmcnt(0)
	v_add_nc_u32_e32 v27, v0, v32
	ds_load_u8 v28, v27 offset:1
	v_mov_b32_e32 v27, v23
.LBB81_152:
	s_or_b32 exec_lo, exec_lo, s4
	v_add_nc_u32_e32 v33, 1, v31
	v_add_nc_u32_e32 v34, 1, v32
	s_waitcnt lgkmcnt(0)
	v_bfe_i32 v37, v27, 0, 8
                                        ; implicit-def: $vgpr41
	s_delay_alu instid0(VALU_DEP_3) | instskip(SKIP_2) | instid1(VALU_DEP_3)
	v_cndmask_b32_e64 v35, v33, v31, s3
	v_bfe_i32 v33, v28, 0, 8
	v_cndmask_b32_e64 v36, v32, v34, s3
	v_cmp_le_i32_e64 s4, 0x80, v35
	s_delay_alu instid0(VALU_DEP_3) | instskip(NEXT) | instid1(VALU_DEP_3)
	v_cmp_lt_i16_e64 s5, v33, v37
	v_cmp_gt_i32_e64 s6, 0x100, v36
	s_delay_alu instid0(VALU_DEP_2)
	s_or_b32 s4, s4, s5
	s_delay_alu instid0(VALU_DEP_1) | instid1(SALU_CYCLE_1)
	s_and_b32 s4, s6, s4
	s_delay_alu instid0(SALU_CYCLE_1) | instskip(NEXT) | instid1(SALU_CYCLE_1)
	s_xor_b32 s5, s4, -1
	s_and_saveexec_b32 s6, s5
	s_delay_alu instid0(SALU_CYCLE_1)
	s_xor_b32 s5, exec_lo, s6
	s_cbranch_execz .LBB81_154
; %bb.153:
	v_add_nc_u32_e32 v33, v0, v35
	ds_load_u8 v41, v33 offset:1
.LBB81_154:
	s_or_saveexec_b32 s5, s5
	v_mov_b32_e32 v33, v28
	s_xor_b32 exec_lo, exec_lo, s5
	s_cbranch_execz .LBB81_156
; %bb.155:
	v_add_nc_u32_e32 v33, v0, v36
	s_waitcnt lgkmcnt(0)
	v_mov_b32_e32 v41, v27
	ds_load_u8 v33, v33 offset:1
.LBB81_156:
	s_or_b32 exec_lo, exec_lo, s5
	v_add_nc_u32_e32 v34, 1, v35
	v_add_nc_u32_e32 v37, 1, v36
	s_waitcnt lgkmcnt(0)
	v_bfe_i32 v38, v41, 0, 8
                                        ; implicit-def: $vgpr39
	s_delay_alu instid0(VALU_DEP_3) | instskip(SKIP_2) | instid1(VALU_DEP_3)
	v_cndmask_b32_e64 v42, v34, v35, s4
	v_bfe_i32 v34, v33, 0, 8
	v_cndmask_b32_e64 v37, v36, v37, s4
	v_cmp_gt_i32_e64 s5, 0x80, v42
	s_delay_alu instid0(VALU_DEP_3) | instskip(NEXT) | instid1(VALU_DEP_3)
	v_cmp_ge_i16_e64 s6, v34, v38
	v_cmp_le_i32_e64 s7, 0x100, v37
                                        ; implicit-def: $vgpr38
	s_delay_alu instid0(VALU_DEP_2)
	s_and_b32 s5, s5, s6
	s_delay_alu instid0(VALU_DEP_1) | instid1(SALU_CYCLE_1)
	s_or_b32 s5, s7, s5
	s_delay_alu instid0(SALU_CYCLE_1) | instskip(NEXT) | instid1(SALU_CYCLE_1)
	s_and_saveexec_b32 s6, s5
	s_xor_b32 s5, exec_lo, s6
	s_cbranch_execz .LBB81_158
; %bb.157:
	v_add_nc_u32_e32 v34, v0, v42
	v_add_nc_u32_e32 v38, 1, v42
	ds_load_u8 v39, v34 offset:1
.LBB81_158:
	s_or_saveexec_b32 s5, s5
	v_mov_b32_e32 v34, v41
	v_mov_b32_e32 v40, v42
	s_xor_b32 exec_lo, exec_lo, s5
	s_cbranch_execz .LBB81_160
; %bb.159:
	s_waitcnt lgkmcnt(0)
	v_add_nc_u32_e32 v39, 1, v37
	v_add_nc_u32_e32 v34, v0, v37
	v_mov_b32_e32 v40, v37
	s_delay_alu instid0(VALU_DEP_3)
	v_dual_mov_b32 v38, v42 :: v_dual_mov_b32 v37, v39
	v_mov_b32_e32 v39, v41
	ds_load_u8 v43, v34 offset:1
	s_waitcnt lgkmcnt(0)
	v_dual_mov_b32 v34, v33 :: v_dual_mov_b32 v33, v43
.LBB81_160:
	s_or_b32 exec_lo, exec_lo, s5
	v_lshlrev_b16 v11, 8, v11
	v_and_b32_e32 v9, 0xff, v9
	v_lshlrev_b16 v10, 8, v10
	v_and_b32_e32 v8, 0xff, v8
	;; [unrolled: 2-line block ×4, first 2 shown]
	v_cndmask_b32_e64 v25, v25, v26, s1
	v_cndmask_b32_e64 v21, v21, v22, s0
	s_waitcnt lgkmcnt(0)
	v_bfe_i32 v22, v39, 0, 8
	v_bfe_i32 v26, v33, 0, 8
	v_or_b32_e32 v9, v9, v11
	v_or_b32_e32 v5, v5, v7
	;; [unrolled: 1-line block ×3, first 2 shown]
	v_cndmask_b32_e32 v11, v12, v13, vcc_lo
	v_or_b32_e32 v8, v8, v10
	v_cmp_le_i32_e64 s5, 0x80, v38
	v_cmp_lt_i16_e64 s6, v26, v22
	v_dual_cndmask_b32 v9, v4, v16 :: v_dual_and_b32 v6, 0xffff, v9
	s_delay_alu instid0(VALU_DEP_4)
	v_lshlrev_b32_e32 v7, 16, v8
	v_and_b32_e32 v8, 0xffff, v5
	v_lshlrev_b32_e32 v2, 16, v2
	v_cmp_gt_i32_e64 s7, 0x100, v37
	s_or_b32 s5, s5, s6
	v_or_b32_e32 v5, v6, v7
	v_cndmask_b32_e64 v29, v29, v30, s2
	v_or_b32_e32 v4, v8, v2
	s_and_b32 s5, s7, s5
	v_cndmask_b32_e64 v35, v35, v36, s4
	v_cndmask_b32_e64 v31, v31, v32, s3
	;; [unrolled: 1-line block ×3, first 2 shown]
	; wave barrier
	ds_store_b64 v1, v[4:5]
	v_add_nc_u32_e32 v1, v0, v9
	v_add_nc_u32_e32 v4, v0, v21
	;; [unrolled: 1-line block ×8, first 2 shown]
	; wave barrier
	ds_load_u8 v1, v1
	ds_load_u8 v4, v4
	;; [unrolled: 1-line block ×8, first 2 shown]
	v_cndmask_b32_e64 v2, v39, v33, s5
	v_cndmask_b32_e64 v10, v27, v28, s4
	;; [unrolled: 1-line block ×6, first 2 shown]
	s_add_u32 s0, s38, s40
	s_addc_u32 s1, s39, 0
	s_waitcnt lgkmcnt(7)
	v_add_nc_u16 v1, v1, v11
	s_waitcnt lgkmcnt(6)
	v_add_nc_u16 v4, v4, v12
	;; [unrolled: 2-line block ×8, first 2 shown]
	v_lshlrev_b16 v2, 8, v4
	v_and_b32_e32 v1, 0xff, v1
	v_lshlrev_b16 v4, 8, v6
	v_and_b32_e32 v5, 0xff, v5
	;; [unrolled: 2-line block ×4, first 2 shown]
	v_or_b32_e32 v1, v1, v2
	v_or_b32_e32 v2, v5, v4
	v_or_b32_e32 v4, v7, v6
	s_delay_alu instid0(VALU_DEP_4) | instskip(NEXT) | instid1(VALU_DEP_4)
	v_or_b32_e32 v0, v8, v0
	v_and_b32_e32 v5, 0xffff, v1
	s_delay_alu instid0(VALU_DEP_4) | instskip(NEXT) | instid1(VALU_DEP_4)
	v_lshlrev_b32_e32 v2, 16, v2
	v_and_b32_e32 v4, 0xffff, v4
	s_delay_alu instid0(VALU_DEP_4) | instskip(SKIP_1) | instid1(VALU_DEP_1)
	v_lshlrev_b32_e32 v6, 16, v0
	v_add_co_u32 v0, s0, s0, v3
	v_add_co_ci_u32_e64 v1, null, s1, 0, s0
	v_or_b32_e32 v2, v5, v2
	s_delay_alu instid0(VALU_DEP_4)
	v_or_b32_e32 v3, v4, v6
	global_store_b64 v[0:1], v[2:3], off
	s_nop 0
	s_sendmsg sendmsg(MSG_DEALLOC_VGPRS)
	s_endpgm
	.section	.rodata,"a",@progbits
	.p2align	6, 0x0
	.amdhsa_kernel _Z10sort_pairsILj256ELj32ELj8EaN10test_utils4lessEEvPKT2_PS2_T3_
		.amdhsa_group_segment_fixed_size 2056
		.amdhsa_private_segment_fixed_size 0
		.amdhsa_kernarg_size 20
		.amdhsa_user_sgpr_count 15
		.amdhsa_user_sgpr_dispatch_ptr 0
		.amdhsa_user_sgpr_queue_ptr 0
		.amdhsa_user_sgpr_kernarg_segment_ptr 1
		.amdhsa_user_sgpr_dispatch_id 0
		.amdhsa_user_sgpr_private_segment_size 0
		.amdhsa_wavefront_size32 1
		.amdhsa_uses_dynamic_stack 0
		.amdhsa_enable_private_segment 0
		.amdhsa_system_sgpr_workgroup_id_x 1
		.amdhsa_system_sgpr_workgroup_id_y 0
		.amdhsa_system_sgpr_workgroup_id_z 0
		.amdhsa_system_sgpr_workgroup_info 0
		.amdhsa_system_vgpr_workitem_id 0
		.amdhsa_next_free_vgpr 46
		.amdhsa_next_free_sgpr 41
		.amdhsa_reserve_vcc 1
		.amdhsa_float_round_mode_32 0
		.amdhsa_float_round_mode_16_64 0
		.amdhsa_float_denorm_mode_32 3
		.amdhsa_float_denorm_mode_16_64 3
		.amdhsa_dx10_clamp 1
		.amdhsa_ieee_mode 1
		.amdhsa_fp16_overflow 0
		.amdhsa_workgroup_processor_mode 1
		.amdhsa_memory_ordered 1
		.amdhsa_forward_progress 0
		.amdhsa_shared_vgpr_count 0
		.amdhsa_exception_fp_ieee_invalid_op 0
		.amdhsa_exception_fp_denorm_src 0
		.amdhsa_exception_fp_ieee_div_zero 0
		.amdhsa_exception_fp_ieee_overflow 0
		.amdhsa_exception_fp_ieee_underflow 0
		.amdhsa_exception_fp_ieee_inexact 0
		.amdhsa_exception_int_div_zero 0
	.end_amdhsa_kernel
	.section	.text._Z10sort_pairsILj256ELj32ELj8EaN10test_utils4lessEEvPKT2_PS2_T3_,"axG",@progbits,_Z10sort_pairsILj256ELj32ELj8EaN10test_utils4lessEEvPKT2_PS2_T3_,comdat
.Lfunc_end81:
	.size	_Z10sort_pairsILj256ELj32ELj8EaN10test_utils4lessEEvPKT2_PS2_T3_, .Lfunc_end81-_Z10sort_pairsILj256ELj32ELj8EaN10test_utils4lessEEvPKT2_PS2_T3_
                                        ; -- End function
	.section	.AMDGPU.csdata,"",@progbits
; Kernel info:
; codeLenInByte = 12808
; NumSgprs: 43
; NumVgprs: 46
; ScratchSize: 0
; MemoryBound: 0
; FloatMode: 240
; IeeeMode: 1
; LDSByteSize: 2056 bytes/workgroup (compile time only)
; SGPRBlocks: 5
; VGPRBlocks: 5
; NumSGPRsForWavesPerEU: 43
; NumVGPRsForWavesPerEU: 46
; Occupancy: 16
; WaveLimiterHint : 0
; COMPUTE_PGM_RSRC2:SCRATCH_EN: 0
; COMPUTE_PGM_RSRC2:USER_SGPR: 15
; COMPUTE_PGM_RSRC2:TRAP_HANDLER: 0
; COMPUTE_PGM_RSRC2:TGID_X_EN: 1
; COMPUTE_PGM_RSRC2:TGID_Y_EN: 0
; COMPUTE_PGM_RSRC2:TGID_Z_EN: 0
; COMPUTE_PGM_RSRC2:TIDIG_COMP_CNT: 0
	.section	.text._Z19sort_keys_segmentedILj256ELj32ELj8EaN10test_utils4lessEEvPKT2_PS2_PKjT3_,"axG",@progbits,_Z19sort_keys_segmentedILj256ELj32ELj8EaN10test_utils4lessEEvPKT2_PS2_PKjT3_,comdat
	.protected	_Z19sort_keys_segmentedILj256ELj32ELj8EaN10test_utils4lessEEvPKT2_PS2_PKjT3_ ; -- Begin function _Z19sort_keys_segmentedILj256ELj32ELj8EaN10test_utils4lessEEvPKT2_PS2_PKjT3_
	.globl	_Z19sort_keys_segmentedILj256ELj32ELj8EaN10test_utils4lessEEvPKT2_PS2_PKjT3_
	.p2align	8
	.type	_Z19sort_keys_segmentedILj256ELj32ELj8EaN10test_utils4lessEEvPKT2_PS2_PKjT3_,@function
_Z19sort_keys_segmentedILj256ELj32ELj8EaN10test_utils4lessEEvPKT2_PS2_PKjT3_: ; @_Z19sort_keys_segmentedILj256ELj32ELj8EaN10test_utils4lessEEvPKT2_PS2_PKjT3_
; %bb.0:
	s_clause 0x1
	s_load_b64 s[2:3], s[0:1], 0x10
	s_load_b128 s[16:19], s[0:1], 0x0
	v_lshrrev_b32_e32 v5, 5, v0
                                        ; implicit-def: $vgpr9
	s_delay_alu instid0(VALU_DEP_1) | instskip(SKIP_1) | instid1(VALU_DEP_1)
	v_lshl_or_b32 v0, s15, 3, v5
	v_mov_b32_e32 v1, 0
	v_lshlrev_b64 v[1:2], 2, v[0:1]
	s_waitcnt lgkmcnt(0)
	s_delay_alu instid0(VALU_DEP_1) | instskip(NEXT) | instid1(VALU_DEP_2)
	v_add_co_u32 v1, vcc_lo, s2, v1
	v_add_co_ci_u32_e32 v2, vcc_lo, s3, v2, vcc_lo
	global_load_b32 v4, v[1:2], off
	v_lshlrev_b32_e32 v2, 8, v0
	v_mbcnt_lo_u32_b32 v1, -1, 0
	s_delay_alu instid0(VALU_DEP_2) | instskip(NEXT) | instid1(VALU_DEP_2)
	v_add_co_u32 v0, s0, s16, v2
	v_lshlrev_b32_e32 v3, 3, v1
	v_add_co_ci_u32_e64 v1, null, s17, 0, s0
	s_delay_alu instid0(VALU_DEP_2) | instskip(NEXT) | instid1(VALU_DEP_2)
	v_add_co_u32 v0, vcc_lo, v0, v3
	v_add_co_ci_u32_e32 v1, vcc_lo, 0, v1, vcc_lo
	s_waitcnt vmcnt(0)
	v_cmp_lt_u32_e32 vcc_lo, v3, v4
	s_and_saveexec_b32 s0, vcc_lo
	s_cbranch_execz .LBB82_2
; %bb.1:
	global_load_u8 v9, v[0:1], off
.LBB82_2:
	s_or_b32 exec_lo, exec_lo, s0
	v_or_b32_e32 v8, 1, v3
                                        ; implicit-def: $vgpr10
	s_delay_alu instid0(VALU_DEP_1) | instskip(NEXT) | instid1(VALU_DEP_1)
	v_cmp_lt_u32_e64 s0, v8, v4
	s_and_saveexec_b32 s1, s0
	s_cbranch_execz .LBB82_4
; %bb.3:
	global_load_u8 v10, v[0:1], off offset:1
.LBB82_4:
	s_or_b32 exec_lo, exec_lo, s1
	v_or_b32_e32 v6, 2, v3
                                        ; implicit-def: $vgpr12
	s_delay_alu instid0(VALU_DEP_1) | instskip(NEXT) | instid1(VALU_DEP_1)
	v_cmp_lt_u32_e64 s1, v6, v4
	s_and_saveexec_b32 s2, s1
	s_cbranch_execz .LBB82_6
; %bb.5:
	global_load_u8 v12, v[0:1], off offset:2
.LBB82_6:
	s_or_b32 exec_lo, exec_lo, s2
	v_or_b32_e32 v7, 3, v3
                                        ; implicit-def: $vgpr14
	s_delay_alu instid0(VALU_DEP_1) | instskip(NEXT) | instid1(VALU_DEP_1)
	v_cmp_lt_u32_e64 s2, v7, v4
	s_and_saveexec_b32 s3, s2
	s_cbranch_execz .LBB82_8
; %bb.7:
	global_load_u8 v14, v[0:1], off offset:3
.LBB82_8:
	s_or_b32 exec_lo, exec_lo, s3
	v_or_b32_e32 v11, 4, v3
                                        ; implicit-def: $vgpr15
	s_delay_alu instid0(VALU_DEP_1) | instskip(NEXT) | instid1(VALU_DEP_1)
	v_cmp_lt_u32_e64 s3, v11, v4
	s_and_saveexec_b32 s4, s3
	s_cbranch_execz .LBB82_10
; %bb.9:
	global_load_u8 v15, v[0:1], off offset:4
.LBB82_10:
	s_or_b32 exec_lo, exec_lo, s4
	v_or_b32_e32 v13, 5, v3
                                        ; implicit-def: $vgpr17
	s_delay_alu instid0(VALU_DEP_1) | instskip(NEXT) | instid1(VALU_DEP_1)
	v_cmp_lt_u32_e64 s4, v13, v4
	s_and_saveexec_b32 s5, s4
	s_cbranch_execz .LBB82_12
; %bb.11:
	global_load_u8 v17, v[0:1], off offset:5
.LBB82_12:
	s_or_b32 exec_lo, exec_lo, s5
	v_or_b32_e32 v16, 6, v3
                                        ; implicit-def: $vgpr19
	s_delay_alu instid0(VALU_DEP_1) | instskip(NEXT) | instid1(VALU_DEP_1)
	v_cmp_lt_u32_e64 s5, v16, v4
	s_and_saveexec_b32 s6, s5
	s_cbranch_execz .LBB82_14
; %bb.13:
	global_load_u8 v19, v[0:1], off offset:6
.LBB82_14:
	s_or_b32 exec_lo, exec_lo, s6
	v_or_b32_e32 v18, 7, v3
                                        ; implicit-def: $vgpr20
	s_delay_alu instid0(VALU_DEP_1) | instskip(NEXT) | instid1(VALU_DEP_1)
	v_cmp_lt_u32_e64 s6, v18, v4
	s_and_saveexec_b32 s7, s6
	s_cbranch_execz .LBB82_16
; %bb.15:
	global_load_u8 v20, v[0:1], off offset:7
.LBB82_16:
	s_or_b32 exec_lo, exec_lo, s7
	s_waitcnt vmcnt(0)
	v_and_b32_e32 v0, 0xff, v9
	v_lshlrev_b16 v1, 8, v10
	v_and_b32_e32 v9, 0xff, v12
	v_lshlrev_b16 v10, 8, v14
	v_cmp_lt_i32_e64 s7, v8, v4
	v_and_b32_e32 v8, 0xff, v15
	v_or_b32_e32 v1, v0, v1
	v_or_b32_e32 v0, 0x7f00, v0
	;; [unrolled: 1-line block ×3, first 2 shown]
	v_and_b32_e32 v12, 0xff, v19
	v_lshlrev_b16 v14, 8, v20
	v_and_b32_e32 v1, 0xffff, v1
	v_and_b32_e32 v0, 0xffff, v0
	v_lshlrev_b32_e32 v9, 16, v9
	v_cmp_lt_i32_e64 s8, v7, v4
	s_mov_b32 s10, exec_lo
	s_delay_alu instid0(VALU_DEP_2) | instskip(SKIP_2) | instid1(VALU_DEP_2)
	v_or_b32_e32 v10, v1, v9
	v_or_b32_e32 v0, v0, v9
	v_lshlrev_b16 v9, 8, v17
	v_cndmask_b32_e64 v0, v0, v10, s7
	s_delay_alu instid0(VALU_DEP_2) | instskip(SKIP_2) | instid1(VALU_DEP_4)
	v_or_b32_e32 v8, v8, v9
	v_or_b32_e32 v9, v12, v14
	v_cmp_lt_i32_e64 s7, v6, v4
	v_lshrrev_b32_e32 v1, 16, v0
	s_delay_alu instid0(VALU_DEP_4) | instskip(NEXT) | instid1(VALU_DEP_2)
	v_and_b32_e32 v12, 0xffffff00, v8
	v_and_b32_e32 v1, 0xffffff00, v1
	s_delay_alu instid0(VALU_DEP_1) | instskip(NEXT) | instid1(VALU_DEP_1)
	v_or_b32_e32 v1, 0x7f, v1
	v_lshlrev_b32_e32 v1, 16, v1
	s_delay_alu instid0(VALU_DEP_1) | instskip(SKIP_3) | instid1(VALU_DEP_4)
	v_and_or_b32 v0, 0xffff, v0, v1
	v_and_b32_e32 v1, 0xffff, v8
	v_lshlrev_b32_e32 v8, 16, v9
	v_or_b32_e32 v9, 0x7f, v12
	v_cndmask_b32_e64 v0, v0, v10, s7
	v_cmp_lt_i32_e64 s7, v11, v4
	s_delay_alu instid0(VALU_DEP_4) | instskip(NEXT) | instid1(VALU_DEP_4)
	v_or_b32_e32 v1, v1, v8
	v_and_b32_e32 v6, 0xffff, v9
	s_delay_alu instid0(VALU_DEP_4) | instskip(NEXT) | instid1(VALU_DEP_2)
	v_lshrrev_b32_e32 v8, 16, v0
	v_and_or_b32 v6, 0xffff0000, v1, v6
	s_delay_alu instid0(VALU_DEP_2) | instskip(NEXT) | instid1(VALU_DEP_2)
	v_and_b32_e32 v8, 0xff, v8
	v_cndmask_b32_e64 v6, v6, v1, s7
	s_delay_alu instid0(VALU_DEP_2) | instskip(NEXT) | instid1(VALU_DEP_2)
	v_or_b32_e32 v8, 0x7f00, v8
	v_and_b32_e32 v9, 0xff, v6
	s_delay_alu instid0(VALU_DEP_2) | instskip(NEXT) | instid1(VALU_DEP_2)
	v_lshlrev_b32_e32 v8, 16, v8
	v_or_b32_e32 v9, 0x7f00, v9
	s_delay_alu instid0(VALU_DEP_2) | instskip(NEXT) | instid1(VALU_DEP_2)
	v_and_or_b32 v0, 0xffff, v0, v8
	v_and_b32_e32 v8, 0xffff, v9
	s_delay_alu instid0(VALU_DEP_2) | instskip(NEXT) | instid1(VALU_DEP_2)
	v_cndmask_b32_e64 v0, v0, v10, s8
	v_and_or_b32 v6, 0xffff0000, v6, v8
	s_delay_alu instid0(VALU_DEP_2) | instskip(SKIP_1) | instid1(VALU_DEP_1)
	v_cndmask_b32_e64 v0, v0, v10, s7
	v_cmp_lt_i32_e64 s7, v13, v4
	v_cndmask_b32_e64 v6, v6, v1, s7
	s_delay_alu instid0(VALU_DEP_3) | instskip(SKIP_1) | instid1(VALU_DEP_3)
	v_cndmask_b32_e64 v0, v0, v10, s7
	v_cmp_lt_i32_e64 s7, v16, v4
	v_lshrrev_b32_e32 v7, 16, v6
	s_delay_alu instid0(VALU_DEP_2) | instskip(NEXT) | instid1(VALU_DEP_2)
	v_cndmask_b32_e64 v0, v0, v10, s7
	v_and_b32_e32 v7, 0xffffff00, v7
	s_delay_alu instid0(VALU_DEP_1) | instskip(NEXT) | instid1(VALU_DEP_1)
	v_or_b32_e32 v7, 0x7f, v7
	v_lshlrev_b32_e32 v7, 16, v7
	s_delay_alu instid0(VALU_DEP_1) | instskip(NEXT) | instid1(VALU_DEP_1)
	v_and_or_b32 v6, 0xffff, v6, v7
	v_cndmask_b32_e64 v6, v6, v1, s7
	v_cmp_lt_i32_e64 s7, v18, v4
	s_delay_alu instid0(VALU_DEP_2) | instskip(NEXT) | instid1(VALU_DEP_2)
	v_lshrrev_b32_e32 v7, 16, v6
	v_cndmask_b32_e64 v0, v0, v10, s7
	s_delay_alu instid0(VALU_DEP_2) | instskip(NEXT) | instid1(VALU_DEP_1)
	v_and_b32_e32 v7, 0xff, v7
	v_or_b32_e32 v7, 0x7f00, v7
	s_delay_alu instid0(VALU_DEP_1) | instskip(NEXT) | instid1(VALU_DEP_1)
	v_lshlrev_b32_e32 v7, 16, v7
	v_and_or_b32 v6, 0xffff, v6, v7
	s_delay_alu instid0(VALU_DEP_1)
	v_cndmask_b32_e64 v1, v6, v1, s7
	v_cmpx_lt_i32_e64 v3, v4
	s_cbranch_execz .LBB82_18
; %bb.17:
	v_lshrrev_b32_e32 v6, 8, v0
	v_perm_b32 v7, 0, v0, 0xc0c0001
	v_bfe_i32 v8, v0, 0, 8
	s_delay_alu instid0(VALU_DEP_3) | instskip(NEXT) | instid1(VALU_DEP_3)
	v_bfe_i32 v6, v6, 0, 8
	v_and_or_b32 v7, 0xffff0000, v0, v7
	s_delay_alu instid0(VALU_DEP_2) | instskip(NEXT) | instid1(VALU_DEP_1)
	v_cmp_lt_i16_e64 s7, v6, v8
	v_cndmask_b32_e64 v0, v0, v7, s7
	s_delay_alu instid0(VALU_DEP_1) | instskip(SKIP_1) | instid1(VALU_DEP_2)
	v_lshrrev_b32_e32 v7, 16, v0
	v_lshrrev_b32_e32 v10, 24, v0
	v_perm_b32 v9, 0, v7, 0xc0c0001
	s_delay_alu instid0(VALU_DEP_2) | instskip(SKIP_1) | instid1(VALU_DEP_3)
	v_bfe_i32 v10, v10, 0, 8
	v_bfe_i32 v7, v7, 0, 8
	v_lshlrev_b32_e32 v9, 16, v9
	s_delay_alu instid0(VALU_DEP_2) | instskip(SKIP_2) | instid1(VALU_DEP_4)
	v_cmp_lt_i16_e64 s7, v10, v7
	v_min_i16 v11, v10, v7
	v_max_i16 v7, v10, v7
	v_and_or_b32 v9, 0xffff, v0, v9
	s_delay_alu instid0(VALU_DEP_3) | instskip(NEXT) | instid1(VALU_DEP_2)
	v_lshlrev_b16 v14, 8, v11
	v_cndmask_b32_e64 v0, v0, v9, s7
	v_max_i16 v9, v6, v8
	v_min_i16 v6, v6, v8
	s_delay_alu instid0(VALU_DEP_3) | instskip(NEXT) | instid1(VALU_DEP_3)
	v_lshrrev_b32_e32 v12, 16, v0
	v_and_b32_e32 v13, 0xff, v9
	v_and_b32_e32 v15, 0xff, v0
	v_cmp_lt_i16_e64 s7, v11, v9
	v_min_i16 v8, v11, v9
	v_and_b32_e32 v12, 0xffffff00, v12
	v_lshlrev_b16 v10, 8, v6
	v_or_b32_e32 v14, v15, v14
	v_max_i16 v9, v11, v9
	s_delay_alu instid0(VALU_DEP_4) | instskip(NEXT) | instid1(VALU_DEP_3)
	v_or_b32_e32 v12, v13, v12
	v_and_b32_e32 v13, 0xffff, v14
	v_lshrrev_b32_e32 v14, 8, v1
	s_delay_alu instid0(VALU_DEP_4) | instskip(NEXT) | instid1(VALU_DEP_4)
	v_lshlrev_b16 v19, 8, v9
	v_lshlrev_b32_e32 v12, 16, v12
	s_delay_alu instid0(VALU_DEP_3) | instskip(NEXT) | instid1(VALU_DEP_2)
	v_bfe_i32 v14, v14, 0, 8
	v_or_b32_e32 v12, v13, v12
	v_bfe_i32 v13, v1, 0, 8
	s_delay_alu instid0(VALU_DEP_2) | instskip(NEXT) | instid1(VALU_DEP_2)
	v_cndmask_b32_e64 v0, v0, v12, s7
	v_min_i16 v12, v14, v13
	v_cmp_lt_i16_e64 s8, v14, v13
	v_max_i16 v13, v14, v13
	s_delay_alu instid0(VALU_DEP_4) | instskip(NEXT) | instid1(VALU_DEP_4)
	v_lshrrev_b32_e32 v15, 16, v0
	v_lshlrev_b16 v16, 8, v12
	v_cmp_lt_i16_e64 s7, v12, v7
	v_min_i16 v17, v12, v7
	s_delay_alu instid0(VALU_DEP_4) | instskip(NEXT) | instid1(VALU_DEP_2)
	v_and_b32_e32 v15, 0xff, v15
	v_and_b32_e32 v18, 0xff, v17
	s_delay_alu instid0(VALU_DEP_2) | instskip(SKIP_1) | instid1(VALU_DEP_2)
	v_or_b32_e32 v15, v15, v16
	v_and_b32_e32 v16, 0xff, v8
	v_lshlrev_b32_e32 v15, 16, v15
	s_delay_alu instid0(VALU_DEP_2) | instskip(SKIP_1) | instid1(VALU_DEP_3)
	v_or_b32_e32 v10, v16, v10
	v_perm_b32 v16, v1, v1, 0x7060405
	v_and_or_b32 v15, 0xffff, v0, v15
	s_delay_alu instid0(VALU_DEP_3) | instskip(NEXT) | instid1(VALU_DEP_3)
	v_and_b32_e32 v10, 0xffff, v10
	v_cndmask_b32_e64 v1, v1, v16, s8
	v_cmp_lt_i16_e64 s8, v11, v6
	s_delay_alu instid0(VALU_DEP_4) | instskip(SKIP_1) | instid1(VALU_DEP_4)
	v_cndmask_b32_e64 v0, v0, v15, s7
	v_or_b32_e32 v15, v18, v19
	v_lshrrev_b32_e32 v14, 24, v1
	v_lshrrev_b32_e32 v16, 16, v1
	v_cndmask_b32_e64 v18, v8, v6, s8
	v_and_or_b32 v10, 0xffff0000, v0, v10
	v_lshlrev_b32_e32 v15, 16, v15
	v_cndmask_b32_e64 v6, v6, v8, s8
	v_bfe_i32 v11, v16, 0, 8
	v_and_b32_e32 v21, 0xff, v18
	v_cndmask_b32_e64 v0, v0, v10, s8
	v_bfe_i32 v10, v14, 0, 8
	v_perm_b32 v14, v1, v1, 0x6070504
	v_and_b32_e32 v16, 0xff, v13
	s_delay_alu instid0(VALU_DEP_4) | instskip(NEXT) | instid1(VALU_DEP_4)
	v_and_or_b32 v15, 0xffff, v0, v15
	v_cmp_lt_i16_e64 s9, v10, v11
	s_delay_alu instid0(VALU_DEP_1) | instskip(SKIP_3) | instid1(VALU_DEP_4)
	v_cndmask_b32_e64 v1, v1, v14, s9
	v_cmp_lt_i16_e64 s9, v17, v9
	v_max_i16 v14, v10, v11
	v_min_i16 v10, v10, v11
	v_perm_b32 v19, v7, v1, 0x3020104
	s_delay_alu instid0(VALU_DEP_4)
	v_cndmask_b32_e64 v0, v0, v15, s9
	v_min_i16 v15, v17, v9
	v_max_i16 v7, v12, v7
	v_min_i16 v23, v10, v13
	v_cndmask_b32_e64 v1, v1, v19, s7
	v_lshrrev_b32_e32 v11, 16, v0
	v_lshlrev_b16 v20, 8, v15
	v_and_b32_e32 v22, 0xff, v0
	v_cmp_lt_i16_e64 s9, v15, v18
	v_lshrrev_b32_e32 v29, 16, v1
	v_and_b32_e32 v11, 0xffffff00, v11
	v_lshlrev_b16 v12, 8, v10
	v_or_b32_e32 v20, v22, v20
	v_min_i16 v8, v15, v18
	v_and_b32_e32 v30, 0xff, v1
	v_or_b32_e32 v11, v21, v11
	v_and_b32_e32 v24, 0xff, v23
	v_and_b32_e32 v20, 0xffff, v20
	v_lshlrev_b16 v25, 8, v7
	v_max_i16 v9, v17, v9
	v_lshlrev_b32_e32 v11, 16, v11
	v_and_b32_e32 v31, 0xff, v8
	v_or_b32_e32 v12, v30, v12
	v_or_b32_e32 v24, v24, v25
	v_max_i16 v15, v15, v18
	v_or_b32_e32 v11, v20, v11
	v_min_i16 v20, v23, v7
	v_and_b32_e32 v12, 0xffff, v12
	v_max_i16 v21, v10, v13
	v_and_b32_e32 v19, 0xffff, v24
	v_cndmask_b32_e64 v0, v0, v11, s9
	v_lshlrev_b16 v11, 8, v20
	v_min_i16 v27, v20, v9
	v_cmp_lt_i16_e64 s7, v20, v9
	v_cmp_lt_i16_e64 s8, v10, v13
	v_lshrrev_b32_e32 v28, 16, v0
	v_and_b32_e32 v22, 0xff, v14
	v_and_b32_e32 v24, 0xff, v27
	v_lshlrev_b16 v17, 8, v21
	v_max_i16 v25, v20, v9
	v_and_b32_e32 v28, 0xff, v28
	v_min_i16 v20, v8, v6
	v_max_i16 v26, v23, v7
	v_or_b32_e32 v17, v22, v17
	s_delay_alu instid0(VALU_DEP_4) | instskip(SKIP_2) | instid1(VALU_DEP_4)
	v_or_b32_e32 v11, v28, v11
	v_and_b32_e32 v28, 0xffffff00, v29
	v_lshlrev_b16 v29, 8, v6
	v_lshlrev_b32_e32 v17, 16, v17
	v_and_b32_e32 v22, 0xff, v26
	v_lshlrev_b32_e32 v11, 16, v11
	v_or_b32_e32 v16, v16, v28
	v_or_b32_e32 v18, v31, v29
	v_lshlrev_b16 v28, 8, v15
	s_delay_alu instid0(VALU_DEP_4) | instskip(NEXT) | instid1(VALU_DEP_4)
	v_and_or_b32 v11, 0xffff, v0, v11
	v_lshlrev_b32_e32 v16, 16, v16
	s_delay_alu instid0(VALU_DEP_4) | instskip(NEXT) | instid1(VALU_DEP_3)
	v_and_b32_e32 v18, 0xffff, v18
	v_cndmask_b32_e64 v0, v0, v11, s7
	s_delay_alu instid0(VALU_DEP_3) | instskip(SKIP_2) | instid1(VALU_DEP_4)
	v_or_b32_e32 v12, v12, v16
	v_or_b32_e32 v16, v24, v28
	v_lshlrev_b16 v11, 8, v25
	v_and_or_b32 v18, 0xffff0000, v0, v18
	s_delay_alu instid0(VALU_DEP_4)
	v_cndmask_b32_e64 v1, v1, v12, s8
	v_cmp_lt_i16_e64 s8, v8, v6
	v_lshlrev_b32_e32 v10, 16, v16
	v_max_i16 v6, v8, v6
	v_min_i16 v16, v27, v15
	v_and_or_b32 v8, 0xffff0000, v1, v19
	v_cndmask_b32_e64 v0, v0, v18, s8
	v_cmp_lt_i16_e64 s8, v23, v7
	v_and_b32_e32 v7, 0xff, v6
	v_max_i16 v12, v27, v15
	s_delay_alu instid0(VALU_DEP_4) | instskip(NEXT) | instid1(VALU_DEP_4)
	v_and_or_b32 v10, 0xffff, v0, v10
	v_cndmask_b32_e64 v1, v1, v8, s8
	v_cmp_lt_i16_e64 s8, v27, v15
	v_lshlrev_b16 v8, 8, v16
	v_max_i16 v15, v16, v6
	s_delay_alu instid0(VALU_DEP_3)
	v_cndmask_b32_e64 v0, v0, v10, s8
	v_and_or_b32 v10, 0xffff, v1, v17
	v_cmp_gt_i16_e64 s8, v13, v14
	v_min_i16 v17, v16, v6
	v_lshlrev_b16 v23, 8, v15
	v_lshrrev_b32_e32 v18, 16, v0
	v_and_b32_e32 v13, 0xff, v0
	v_cndmask_b32_e64 v1, v1, v10, s8
	v_lshlrev_b16 v10, 8, v20
	v_and_b32_e32 v19, 0xff, v17
	v_and_b32_e32 v18, 0xffffff00, v18
	v_or_b32_e32 v8, v13, v8
	v_perm_b32 v9, v9, v1, 0x3020104
	v_cndmask_b32_e64 v13, v14, v21, s8
	v_or_b32_e32 v10, v19, v10
	v_or_b32_e32 v7, v7, v18
	v_and_b32_e32 v8, 0xffff, v8
	v_cndmask_b32_e64 v1, v1, v9, s7
	v_cndmask_b32_e64 v9, v21, v14, s8
	v_cmp_lt_i16_e64 s7, v16, v6
	v_lshlrev_b32_e32 v7, 16, v7
	s_delay_alu instid0(VALU_DEP_4) | instskip(NEXT) | instid1(VALU_DEP_4)
	v_lshrrev_b32_e32 v14, 16, v1
	v_lshlrev_b16 v18, 8, v9
	v_min_i16 v21, v9, v26
	s_delay_alu instid0(VALU_DEP_4) | instskip(SKIP_3) | instid1(VALU_DEP_4)
	v_or_b32_e32 v7, v8, v7
	v_and_b32_e32 v8, 0xff, v1
	v_and_b32_e32 v14, 0xffffff00, v14
	v_max_i16 v19, v9, v26
	v_cndmask_b32_e64 v0, v0, v7, s7
	s_delay_alu instid0(VALU_DEP_4) | instskip(NEXT) | instid1(VALU_DEP_4)
	v_or_b32_e32 v6, v8, v18
	v_or_b32_e32 v7, v22, v14
	v_and_b32_e32 v8, 0xff, v21
	v_min_i16 v14, v21, v25
	v_lshrrev_b32_e32 v18, 16, v0
	v_and_b32_e32 v6, 0xffff, v6
	v_lshlrev_b32_e32 v7, 16, v7
	v_or_b32_e32 v8, v8, v11
	v_lshlrev_b16 v11, 8, v14
	v_and_b32_e32 v18, 0xff, v18
	v_cmp_lt_i16_e64 s7, v9, v26
	v_or_b32_e32 v6, v6, v7
	v_and_b32_e32 v22, 0xff, v13
	v_lshlrev_b16 v7, 8, v19
	v_and_b32_e32 v8, 0xffff, v8
	v_or_b32_e32 v11, v18, v11
	v_cndmask_b32_e64 v1, v1, v6, s7
	v_cmp_lt_i16_e64 s7, v21, v25
	v_or_b32_e32 v7, v22, v7
	v_and_b32_e32 v6, 0xffff, v10
	v_lshlrev_b32_e32 v9, 16, v11
	v_and_or_b32 v8, 0xffff0000, v1, v8
	v_min_i16 v11, v14, v12
	v_lshlrev_b32_e32 v7, 16, v7
	v_cmp_lt_i16_e64 s8, v13, v19
	v_and_or_b32 v9, 0xffff, v0, v9
	v_cndmask_b32_e64 v1, v1, v8, s7
	v_cmp_lt_i16_e64 s7, v14, v12
	v_and_b32_e32 v8, 0xff, v11
	v_max_i16 v10, v21, v25
	v_min_i16 v18, v13, v19
	v_and_or_b32 v7, 0xffff, v1, v7
	v_cndmask_b32_e64 v0, v0, v9, s7
	v_or_b32_e32 v8, v8, v23
	v_max_i16 v9, v13, v19
	v_lshlrev_b16 v13, 8, v18
	v_cndmask_b32_e64 v1, v1, v7, s8
	v_and_or_b32 v6, 0xffff0000, v0, v6
	v_cmp_lt_i16_e64 s8, v16, v20
	v_lshlrev_b32_e32 v7, 16, v8
	s_delay_alu instid0(VALU_DEP_4) | instskip(SKIP_1) | instid1(VALU_DEP_4)
	v_perm_b32 v8, v12, v1, 0x3020104
	v_max_i16 v12, v14, v12
	v_cndmask_b32_e64 v0, v0, v6, s8
	v_and_b32_e32 v6, 0xff, v10
	v_cndmask_b32_e64 v17, v17, v20, s8
	v_cndmask_b32_e64 v1, v1, v8, s7
	v_cmp_lt_i16_e64 s7, v11, v15
	v_and_or_b32 v7, 0xffff, v0, v7
	v_min_i16 v8, v11, v15
	v_and_b32_e32 v22, 0xff, v17
	v_lshrrev_b32_e32 v16, 16, v1
	v_and_b32_e32 v21, 0xff, v1
	v_cndmask_b32_e64 v0, v0, v7, s7
	v_min_i16 v7, v18, v10
	v_lshlrev_b16 v19, 8, v8
	v_and_b32_e32 v16, 0xffffff00, v16
	v_or_b32_e32 v13, v21, v13
	v_lshrrev_b32_e32 v20, 16, v0
	v_and_b32_e32 v23, 0xff, v0
	v_and_b32_e32 v24, 0xff, v7
	v_or_b32_e32 v6, v6, v16
	v_and_b32_e32 v13, 0xffff, v13
	v_and_b32_e32 v20, 0xffffff00, v20
	v_or_b32_e32 v16, v23, v19
	v_max_i16 v14, v18, v10
	v_lshlrev_b32_e32 v6, 16, v6
	v_cmp_lt_i16_e64 s7, v18, v10
	v_or_b32_e32 v19, v22, v20
	v_lshlrev_b16 v20, 8, v12
	v_and_b32_e32 v16, 0xffff, v16
	v_or_b32_e32 v6, v13, v6
	v_and_b32_e32 v21, 0xff, v9
	v_lshlrev_b32_e32 v19, 16, v19
	v_or_b32_e32 v20, v24, v20
	v_lshlrev_b16 v13, 8, v14
	v_cndmask_b32_e64 v1, v1, v6, s7
	v_cmp_lt_i16_e64 s7, v8, v17
	v_or_b32_e32 v16, v16, v19
	v_and_b32_e32 v19, 0xffff, v20
	v_or_b32_e32 v8, v21, v13
	v_min_i16 v6, v7, v12
	v_max_i16 v11, v11, v15
	v_cndmask_b32_e64 v0, v0, v16, s7
	v_and_or_b32 v13, 0xffff0000, v1, v19
	v_cmp_lt_i16_e64 s7, v7, v12
	v_lshlrev_b32_e32 v8, 16, v8
	v_lshlrev_b16 v17, 8, v6
	v_lshrrev_b32_e32 v16, 16, v0
	v_cmp_lt_i16_e64 s8, v6, v11
	v_cndmask_b32_e64 v1, v1, v13, s7
	v_cmp_gt_i16_e64 s7, v10, v9
	v_max_i16 v7, v7, v12
	v_and_b32_e32 v13, 0xff, v16
	s_delay_alu instid0(VALU_DEP_4) | instskip(NEXT) | instid1(VALU_DEP_4)
	v_and_or_b32 v8, 0xffff, v1, v8
	v_cndmask_b32_e64 v6, v14, v9, s7
	s_delay_alu instid0(VALU_DEP_3) | instskip(NEXT) | instid1(VALU_DEP_3)
	v_or_b32_e32 v13, v13, v17
	v_cndmask_b32_e64 v1, v1, v8, s7
	s_delay_alu instid0(VALU_DEP_3) | instskip(SKIP_1) | instid1(VALU_DEP_4)
	v_lshlrev_b16 v9, 8, v6
	v_cmp_lt_i16_e64 s7, v6, v7
	v_lshlrev_b32_e32 v8, 16, v13
	s_delay_alu instid0(VALU_DEP_4) | instskip(SKIP_1) | instid1(VALU_DEP_3)
	v_perm_b32 v10, v11, v1, 0x3020104
	v_and_b32_e32 v11, 0xff, v7
	v_and_or_b32 v8, 0xffff, v0, v8
	s_delay_alu instid0(VALU_DEP_3) | instskip(NEXT) | instid1(VALU_DEP_2)
	v_cndmask_b32_e64 v1, v1, v10, s8
	v_cndmask_b32_e64 v0, v0, v8, s8
	s_delay_alu instid0(VALU_DEP_2) | instskip(SKIP_1) | instid1(VALU_DEP_2)
	v_lshrrev_b32_e32 v8, 16, v1
	v_and_b32_e32 v10, 0xff, v1
	v_and_b32_e32 v8, 0xffffff00, v8
	s_delay_alu instid0(VALU_DEP_2) | instskip(NEXT) | instid1(VALU_DEP_2)
	v_or_b32_e32 v9, v10, v9
	v_or_b32_e32 v8, v11, v8
	s_delay_alu instid0(VALU_DEP_2) | instskip(NEXT) | instid1(VALU_DEP_2)
	v_and_b32_e32 v9, 0xffff, v9
	v_lshlrev_b32_e32 v8, 16, v8
	s_delay_alu instid0(VALU_DEP_1) | instskip(NEXT) | instid1(VALU_DEP_1)
	v_or_b32_e32 v8, v9, v8
	v_cndmask_b32_e64 v1, v1, v8, s7
.LBB82_18:
	s_or_b32 exec_lo, exec_lo, s10
	v_and_b32_e32 v6, 0xf0, v3
	v_and_b32_e32 v9, 8, v3
	s_mov_b32 s8, exec_lo
	; wave barrier
	s_delay_alu instid0(VALU_DEP_2) | instskip(NEXT) | instid1(VALU_DEP_2)
	v_min_i32_e32 v8, v4, v6
	v_min_i32_e32 v9, v4, v9
	s_delay_alu instid0(VALU_DEP_2) | instskip(NEXT) | instid1(VALU_DEP_1)
	v_add_nc_u32_e32 v6, 8, v8
	v_min_i32_e32 v7, v4, v6
	s_delay_alu instid0(VALU_DEP_1) | instskip(SKIP_1) | instid1(VALU_DEP_2)
	v_add_nc_u32_e32 v6, 8, v7
	v_sub_nc_u32_e32 v12, v7, v8
	v_min_i32_e32 v6, v4, v6
	s_delay_alu instid0(VALU_DEP_1) | instskip(NEXT) | instid1(VALU_DEP_1)
	v_sub_nc_u32_e32 v10, v6, v7
	v_sub_nc_u32_e32 v11, v9, v10
	v_cmp_ge_i32_e64 s7, v9, v10
	s_delay_alu instid0(VALU_DEP_1)
	v_cndmask_b32_e64 v10, 0, v11, s7
	v_min_i32_e32 v11, v9, v12
	v_mad_u32_u24 v12, 0x101, v5, v3
	v_mul_u32_u24_e32 v5, 0x101, v5
	ds_store_b64 v12, v[0:1]
	; wave barrier
	v_cmpx_lt_i32_e64 v10, v11
	s_cbranch_execz .LBB82_22
; %bb.19:
	v_add_nc_u32_e32 v0, v5, v8
	v_add3_u32 v1, v5, v7, v9
	s_mov_b32 s9, 0
	.p2align	6
.LBB82_20:                              ; =>This Inner Loop Header: Depth=1
	v_sub_nc_u32_e32 v12, v11, v10
	s_delay_alu instid0(VALU_DEP_1) | instskip(NEXT) | instid1(VALU_DEP_1)
	v_lshrrev_b32_e32 v13, 31, v12
	v_add_nc_u32_e32 v12, v12, v13
	s_delay_alu instid0(VALU_DEP_1) | instskip(NEXT) | instid1(VALU_DEP_1)
	v_ashrrev_i32_e32 v12, 1, v12
	v_add_nc_u32_e32 v12, v12, v10
	s_delay_alu instid0(VALU_DEP_1)
	v_add_nc_u32_e32 v13, v0, v12
	v_xad_u32 v14, v12, -1, v1
	v_add_nc_u32_e32 v15, 1, v12
	ds_load_i8 v13, v13
	ds_load_i8 v14, v14
	s_waitcnt lgkmcnt(0)
	v_cmp_lt_i16_e64 s7, v14, v13
	s_delay_alu instid0(VALU_DEP_1) | instskip(SKIP_1) | instid1(VALU_DEP_1)
	v_cndmask_b32_e64 v11, v11, v12, s7
	v_cndmask_b32_e64 v10, v15, v10, s7
	v_cmp_ge_i32_e64 s7, v10, v11
	s_delay_alu instid0(VALU_DEP_1) | instskip(NEXT) | instid1(SALU_CYCLE_1)
	s_or_b32 s9, s7, s9
	s_and_not1_b32 exec_lo, exec_lo, s9
	s_cbranch_execnz .LBB82_20
; %bb.21:
	s_or_b32 exec_lo, exec_lo, s9
.LBB82_22:
	s_delay_alu instid0(SALU_CYCLE_1) | instskip(SKIP_2) | instid1(VALU_DEP_2)
	s_or_b32 exec_lo, exec_lo, s8
	v_add_nc_u32_e32 v0, v7, v9
	v_add_nc_u32_e32 v11, v10, v8
                                        ; implicit-def: $vgpr8
	v_sub_nc_u32_e32 v10, v0, v10
	s_delay_alu instid0(VALU_DEP_2) | instskip(SKIP_1) | instid1(VALU_DEP_3)
	v_add_nc_u32_e32 v9, v5, v11
	v_cmp_le_i32_e64 s7, v7, v11
	v_add_nc_u32_e32 v12, v5, v10
	v_cmp_gt_i32_e64 s9, v6, v10
	ds_load_u8 v0, v9
	ds_load_u8 v1, v12
	s_waitcnt lgkmcnt(1)
	v_bfe_i32 v0, v0, 0, 8
	s_waitcnt lgkmcnt(0)
	v_bfe_i32 v1, v1, 0, 8
	s_delay_alu instid0(VALU_DEP_1) | instskip(NEXT) | instid1(VALU_DEP_1)
	v_cmp_lt_i16_e64 s8, v1, v0
	s_or_b32 s7, s7, s8
	s_delay_alu instid0(SALU_CYCLE_1) | instskip(NEXT) | instid1(SALU_CYCLE_1)
	s_and_b32 s7, s9, s7
	s_xor_b32 s8, s7, -1
	s_delay_alu instid0(SALU_CYCLE_1) | instskip(NEXT) | instid1(SALU_CYCLE_1)
	s_and_saveexec_b32 s9, s8
	s_xor_b32 s8, exec_lo, s9
	s_cbranch_execz .LBB82_24
; %bb.23:
	ds_load_u8 v8, v9 offset:1
                                        ; implicit-def: $vgpr12
.LBB82_24:
	s_or_saveexec_b32 s8, s8
	v_mov_b32_e32 v9, v1
	s_xor_b32 exec_lo, exec_lo, s8
	s_cbranch_execz .LBB82_26
; %bb.25:
	ds_load_u8 v9, v12 offset:1
	s_waitcnt lgkmcnt(1)
	v_mov_b32_e32 v8, v0
.LBB82_26:
	s_or_b32 exec_lo, exec_lo, s8
	v_add_nc_u32_e32 v12, 1, v11
	v_add_nc_u32_e32 v14, 1, v10
	s_waitcnt lgkmcnt(0)
	v_bfe_i32 v15, v8, 0, 8
	s_delay_alu instid0(VALU_DEP_3) | instskip(SKIP_2) | instid1(VALU_DEP_3)
	v_cndmask_b32_e64 v13, v12, v11, s7
	v_bfe_i32 v11, v9, 0, 8
	v_cndmask_b32_e64 v12, v10, v14, s7
                                        ; implicit-def: $vgpr10
	v_cmp_ge_i32_e64 s8, v13, v7
	s_delay_alu instid0(VALU_DEP_3) | instskip(NEXT) | instid1(VALU_DEP_3)
	v_cmp_lt_i16_e64 s9, v11, v15
	v_cmp_lt_i32_e64 s10, v12, v6
	s_delay_alu instid0(VALU_DEP_2)
	s_or_b32 s8, s8, s9
	s_delay_alu instid0(VALU_DEP_1) | instid1(SALU_CYCLE_1)
	s_and_b32 s8, s10, s8
	s_delay_alu instid0(SALU_CYCLE_1) | instskip(NEXT) | instid1(SALU_CYCLE_1)
	s_xor_b32 s9, s8, -1
	s_and_saveexec_b32 s10, s9
	s_delay_alu instid0(SALU_CYCLE_1)
	s_xor_b32 s9, exec_lo, s10
	s_cbranch_execz .LBB82_28
; %bb.27:
	v_add_nc_u32_e32 v10, v5, v13
	ds_load_u8 v10, v10 offset:1
.LBB82_28:
	s_or_saveexec_b32 s9, s9
	v_mov_b32_e32 v11, v9
	s_xor_b32 exec_lo, exec_lo, s9
	s_cbranch_execz .LBB82_30
; %bb.29:
	s_waitcnt lgkmcnt(0)
	v_add_nc_u32_e32 v10, v5, v12
	ds_load_u8 v11, v10 offset:1
	v_mov_b32_e32 v10, v8
.LBB82_30:
	s_or_b32 exec_lo, exec_lo, s9
	v_add_nc_u32_e32 v14, 1, v13
	v_add_nc_u32_e32 v16, 1, v12
	s_waitcnt lgkmcnt(0)
	v_bfe_i32 v17, v10, 0, 8
	s_delay_alu instid0(VALU_DEP_3) | instskip(SKIP_2) | instid1(VALU_DEP_3)
	v_cndmask_b32_e64 v15, v14, v13, s8
	v_bfe_i32 v13, v11, 0, 8
	v_cndmask_b32_e64 v14, v12, v16, s8
                                        ; implicit-def: $vgpr12
	v_cmp_ge_i32_e64 s9, v15, v7
	s_delay_alu instid0(VALU_DEP_3) | instskip(NEXT) | instid1(VALU_DEP_3)
	v_cmp_lt_i16_e64 s10, v13, v17
	v_cmp_lt_i32_e64 s11, v14, v6
	s_delay_alu instid0(VALU_DEP_2)
	s_or_b32 s9, s9, s10
	s_delay_alu instid0(VALU_DEP_1) | instid1(SALU_CYCLE_1)
	s_and_b32 s9, s11, s9
	s_delay_alu instid0(SALU_CYCLE_1) | instskip(NEXT) | instid1(SALU_CYCLE_1)
	s_xor_b32 s10, s9, -1
	s_and_saveexec_b32 s11, s10
	s_delay_alu instid0(SALU_CYCLE_1)
	s_xor_b32 s10, exec_lo, s11
	s_cbranch_execz .LBB82_32
; %bb.31:
	v_add_nc_u32_e32 v12, v5, v15
	ds_load_u8 v12, v12 offset:1
.LBB82_32:
	s_or_saveexec_b32 s10, s10
	v_mov_b32_e32 v13, v11
	s_xor_b32 exec_lo, exec_lo, s10
	s_cbranch_execz .LBB82_34
; %bb.33:
	s_waitcnt lgkmcnt(0)
	v_add_nc_u32_e32 v12, v5, v14
	ds_load_u8 v13, v12 offset:1
	v_mov_b32_e32 v12, v10
.LBB82_34:
	s_or_b32 exec_lo, exec_lo, s10
	v_add_nc_u32_e32 v16, 1, v15
	v_add_nc_u32_e32 v18, 1, v14
	s_waitcnt lgkmcnt(0)
	v_bfe_i32 v19, v12, 0, 8
	s_delay_alu instid0(VALU_DEP_3) | instskip(SKIP_2) | instid1(VALU_DEP_3)
	v_cndmask_b32_e64 v17, v16, v15, s9
	v_bfe_i32 v15, v13, 0, 8
	v_cndmask_b32_e64 v16, v14, v18, s9
                                        ; implicit-def: $vgpr14
	v_cmp_ge_i32_e64 s10, v17, v7
	s_delay_alu instid0(VALU_DEP_3) | instskip(NEXT) | instid1(VALU_DEP_3)
	v_cmp_lt_i16_e64 s11, v15, v19
	v_cmp_lt_i32_e64 s12, v16, v6
	s_delay_alu instid0(VALU_DEP_2)
	s_or_b32 s10, s10, s11
	s_delay_alu instid0(VALU_DEP_1) | instid1(SALU_CYCLE_1)
	s_and_b32 s10, s12, s10
	s_delay_alu instid0(SALU_CYCLE_1) | instskip(NEXT) | instid1(SALU_CYCLE_1)
	s_xor_b32 s11, s10, -1
	s_and_saveexec_b32 s12, s11
	s_delay_alu instid0(SALU_CYCLE_1)
	s_xor_b32 s11, exec_lo, s12
	s_cbranch_execz .LBB82_36
; %bb.35:
	v_add_nc_u32_e32 v14, v5, v17
	ds_load_u8 v14, v14 offset:1
.LBB82_36:
	s_or_saveexec_b32 s11, s11
	v_mov_b32_e32 v15, v13
	s_xor_b32 exec_lo, exec_lo, s11
	s_cbranch_execz .LBB82_38
; %bb.37:
	s_waitcnt lgkmcnt(0)
	v_add_nc_u32_e32 v14, v5, v16
	ds_load_u8 v15, v14 offset:1
	v_mov_b32_e32 v14, v12
.LBB82_38:
	s_or_b32 exec_lo, exec_lo, s11
	v_add_nc_u32_e32 v18, 1, v17
	v_add_nc_u32_e32 v20, 1, v16
	s_waitcnt lgkmcnt(0)
	v_bfe_i32 v21, v14, 0, 8
	s_delay_alu instid0(VALU_DEP_3) | instskip(SKIP_2) | instid1(VALU_DEP_3)
	v_cndmask_b32_e64 v19, v18, v17, s10
	v_bfe_i32 v17, v15, 0, 8
	v_cndmask_b32_e64 v18, v16, v20, s10
                                        ; implicit-def: $vgpr16
	v_cmp_ge_i32_e64 s11, v19, v7
	s_delay_alu instid0(VALU_DEP_3) | instskip(NEXT) | instid1(VALU_DEP_3)
	v_cmp_lt_i16_e64 s12, v17, v21
	v_cmp_lt_i32_e64 s13, v18, v6
	s_delay_alu instid0(VALU_DEP_2)
	s_or_b32 s11, s11, s12
	s_delay_alu instid0(VALU_DEP_1) | instid1(SALU_CYCLE_1)
	s_and_b32 s11, s13, s11
	s_delay_alu instid0(SALU_CYCLE_1) | instskip(NEXT) | instid1(SALU_CYCLE_1)
	s_xor_b32 s12, s11, -1
	s_and_saveexec_b32 s13, s12
	s_delay_alu instid0(SALU_CYCLE_1)
	s_xor_b32 s12, exec_lo, s13
	s_cbranch_execz .LBB82_40
; %bb.39:
	v_add_nc_u32_e32 v16, v5, v19
	ds_load_u8 v16, v16 offset:1
.LBB82_40:
	s_or_saveexec_b32 s12, s12
	v_mov_b32_e32 v17, v15
	s_xor_b32 exec_lo, exec_lo, s12
	s_cbranch_execz .LBB82_42
; %bb.41:
	s_waitcnt lgkmcnt(0)
	v_add_nc_u32_e32 v16, v5, v18
	ds_load_u8 v17, v16 offset:1
	v_mov_b32_e32 v16, v14
.LBB82_42:
	s_or_b32 exec_lo, exec_lo, s12
	v_add_nc_u32_e32 v20, 1, v19
	v_add_nc_u32_e32 v21, 1, v18
	s_waitcnt lgkmcnt(0)
	v_bfe_i32 v22, v16, 0, 8
	s_delay_alu instid0(VALU_DEP_3) | instskip(SKIP_2) | instid1(VALU_DEP_3)
	v_cndmask_b32_e64 v19, v20, v19, s11
	v_bfe_i32 v20, v17, 0, 8
	v_cndmask_b32_e64 v18, v18, v21, s11
	v_cmp_ge_i32_e64 s12, v19, v7
	s_delay_alu instid0(VALU_DEP_3) | instskip(NEXT) | instid1(VALU_DEP_3)
	v_cmp_lt_i16_e64 s13, v20, v22
	v_cmp_lt_i32_e64 s14, v18, v6
                                        ; implicit-def: $vgpr20
	s_delay_alu instid0(VALU_DEP_2)
	s_or_b32 s12, s12, s13
	s_delay_alu instid0(VALU_DEP_1) | instid1(SALU_CYCLE_1)
	s_and_b32 s12, s14, s12
	s_delay_alu instid0(SALU_CYCLE_1) | instskip(NEXT) | instid1(SALU_CYCLE_1)
	s_xor_b32 s13, s12, -1
	s_and_saveexec_b32 s14, s13
	s_delay_alu instid0(SALU_CYCLE_1)
	s_xor_b32 s13, exec_lo, s14
	s_cbranch_execz .LBB82_44
; %bb.43:
	v_add_nc_u32_e32 v20, v5, v19
	ds_load_u8 v20, v20 offset:1
.LBB82_44:
	s_or_saveexec_b32 s13, s13
	v_mov_b32_e32 v21, v17
	s_xor_b32 exec_lo, exec_lo, s13
	s_cbranch_execz .LBB82_46
; %bb.45:
	s_waitcnt lgkmcnt(0)
	v_add_nc_u32_e32 v20, v5, v18
	ds_load_u8 v21, v20 offset:1
	v_mov_b32_e32 v20, v16
.LBB82_46:
	s_or_b32 exec_lo, exec_lo, s13
	v_add_nc_u32_e32 v22, 1, v19
	v_add_nc_u32_e32 v23, 1, v18
	s_waitcnt lgkmcnt(0)
	v_bfe_i32 v24, v20, 0, 8
	s_delay_alu instid0(VALU_DEP_3) | instskip(SKIP_2) | instid1(VALU_DEP_3)
	v_cndmask_b32_e64 v22, v22, v19, s12
	v_bfe_i32 v19, v21, 0, 8
	v_cndmask_b32_e64 v23, v18, v23, s12
                                        ; implicit-def: $vgpr18
	v_cmp_ge_i32_e64 s13, v22, v7
	s_delay_alu instid0(VALU_DEP_3) | instskip(NEXT) | instid1(VALU_DEP_3)
	v_cmp_lt_i16_e64 s14, v19, v24
	v_cmp_lt_i32_e64 s15, v23, v6
	s_delay_alu instid0(VALU_DEP_2)
	s_or_b32 s13, s13, s14
	s_delay_alu instid0(VALU_DEP_1) | instid1(SALU_CYCLE_1)
	s_and_b32 s13, s15, s13
	s_delay_alu instid0(SALU_CYCLE_1) | instskip(NEXT) | instid1(SALU_CYCLE_1)
	s_xor_b32 s14, s13, -1
	s_and_saveexec_b32 s15, s14
	s_delay_alu instid0(SALU_CYCLE_1)
	s_xor_b32 s14, exec_lo, s15
	s_cbranch_execz .LBB82_48
; %bb.47:
	v_add_nc_u32_e32 v18, v5, v22
	ds_load_u8 v18, v18 offset:1
.LBB82_48:
	s_or_saveexec_b32 s14, s14
	v_mov_b32_e32 v19, v21
	s_xor_b32 exec_lo, exec_lo, s14
	s_cbranch_execz .LBB82_50
; %bb.49:
	s_waitcnt lgkmcnt(0)
	v_add_nc_u32_e32 v18, v5, v23
	ds_load_u8 v19, v18 offset:1
	v_mov_b32_e32 v18, v20
.LBB82_50:
	s_or_b32 exec_lo, exec_lo, s14
	v_add_nc_u32_e32 v24, 1, v23
	v_add_nc_u32_e32 v25, 1, v22
	v_cndmask_b32_e64 v20, v20, v21, s13
	v_cndmask_b32_e64 v16, v16, v17, s12
	;; [unrolled: 1-line block ×5, first 2 shown]
	v_and_b32_e32 v23, 0xe0, v3
	v_cndmask_b32_e64 v14, v14, v15, s11
	s_waitcnt lgkmcnt(0)
	v_bfe_i32 v15, v18, 0, 8
	v_bfe_i32 v22, v19, 0, 8
	v_cmp_ge_i32_e64 s9, v21, v7
	v_min_i32_e32 v7, v4, v23
	v_cndmask_b32_e64 v8, v8, v9, s8
	v_cndmask_b32_e64 v0, v0, v1, s7
	;; [unrolled: 1-line block ×3, first 2 shown]
	v_cmp_lt_i16_e64 s10, v22, v15
	v_add_nc_u32_e32 v1, 16, v7
	v_cmp_lt_i32_e64 s7, v17, v6
	v_lshlrev_b16 v6, 8, v8
	v_and_b32_e32 v8, 0xff, v0
	s_or_b32 s8, s9, s10
	v_min_i32_e32 v1, v4, v1
	s_and_b32 s7, s7, s8
	v_lshlrev_b16 v9, 8, v12
	v_and_b32_e32 v10, 0xff, v10
	v_cndmask_b32_e64 v11, v18, v19, s7
	v_or_b32_e32 v12, v8, v6
	v_add_nc_u32_e32 v6, 16, v1
	v_lshlrev_b16 v8, 8, v16
	v_or_b32_e32 v9, v10, v9
	v_and_b32_e32 v10, 0xff, v14
	v_and_b32_e32 v13, 24, v3
	v_min_i32_e32 v6, v4, v6
	v_and_b32_e32 v14, 0xff, v20
	v_lshlrev_b16 v11, 8, v11
	v_or_b32_e32 v10, v10, v8
	v_min_i32_e32 v8, v4, v13
	v_sub_nc_u32_e32 v13, v6, v1
	v_and_b32_e32 v12, 0xffff, v12
	v_or_b32_e32 v11, v14, v11
	v_lshlrev_b32_e32 v9, 16, v9
	v_and_b32_e32 v14, 0xffff, v10
	v_sub_nc_u32_e32 v10, v8, v13
	v_sub_nc_u32_e32 v15, v1, v7
	v_lshlrev_b32_e32 v16, 16, v11
	v_cmp_ge_i32_e64 s7, v8, v13
	v_add_nc_u32_e32 v0, v5, v3
	v_or_b32_e32 v11, v12, v9
	s_mov_b32 s9, 0
	v_or_b32_e32 v12, v14, v16
	v_cndmask_b32_e64 v9, 0, v10, s7
	v_min_i32_e32 v10, v8, v15
	s_mov_b32 s8, exec_lo
	; wave barrier
	ds_store_b64 v0, v[11:12]
	; wave barrier
	v_cmpx_lt_i32_e64 v9, v10
	s_cbranch_execz .LBB82_54
; %bb.51:
	v_add_nc_u32_e32 v11, v5, v7
	v_add3_u32 v12, v5, v1, v8
	.p2align	6
.LBB82_52:                              ; =>This Inner Loop Header: Depth=1
	v_sub_nc_u32_e32 v13, v10, v9
	s_delay_alu instid0(VALU_DEP_1) | instskip(NEXT) | instid1(VALU_DEP_1)
	v_lshrrev_b32_e32 v14, 31, v13
	v_add_nc_u32_e32 v13, v13, v14
	s_delay_alu instid0(VALU_DEP_1) | instskip(NEXT) | instid1(VALU_DEP_1)
	v_ashrrev_i32_e32 v13, 1, v13
	v_add_nc_u32_e32 v13, v13, v9
	s_delay_alu instid0(VALU_DEP_1)
	v_add_nc_u32_e32 v14, v11, v13
	v_xad_u32 v15, v13, -1, v12
	v_add_nc_u32_e32 v16, 1, v13
	ds_load_i8 v14, v14
	ds_load_i8 v15, v15
	s_waitcnt lgkmcnt(0)
	v_cmp_lt_i16_e64 s7, v15, v14
	s_delay_alu instid0(VALU_DEP_1) | instskip(SKIP_1) | instid1(VALU_DEP_1)
	v_cndmask_b32_e64 v10, v10, v13, s7
	v_cndmask_b32_e64 v9, v16, v9, s7
	v_cmp_ge_i32_e64 s7, v9, v10
	s_delay_alu instid0(VALU_DEP_1) | instskip(NEXT) | instid1(SALU_CYCLE_1)
	s_or_b32 s9, s7, s9
	s_and_not1_b32 exec_lo, exec_lo, s9
	s_cbranch_execnz .LBB82_52
; %bb.53:
	s_or_b32 exec_lo, exec_lo, s9
.LBB82_54:
	s_delay_alu instid0(SALU_CYCLE_1) | instskip(SKIP_2) | instid1(VALU_DEP_2)
	s_or_b32 exec_lo, exec_lo, s8
	v_add_nc_u32_e32 v8, v1, v8
	v_add_nc_u32_e32 v12, v9, v7
	v_sub_nc_u32_e32 v11, v8, v9
	s_delay_alu instid0(VALU_DEP_2) | instskip(SKIP_1) | instid1(VALU_DEP_3)
	v_add_nc_u32_e32 v10, v5, v12
	v_cmp_le_i32_e64 s7, v1, v12
                                        ; implicit-def: $vgpr9
	v_add_nc_u32_e32 v13, v5, v11
	v_cmp_gt_i32_e64 s9, v6, v11
	ds_load_u8 v7, v10
	ds_load_u8 v8, v13
	s_waitcnt lgkmcnt(1)
	v_bfe_i32 v7, v7, 0, 8
	s_waitcnt lgkmcnt(0)
	v_bfe_i32 v8, v8, 0, 8
	s_delay_alu instid0(VALU_DEP_1) | instskip(NEXT) | instid1(VALU_DEP_1)
	v_cmp_lt_i16_e64 s8, v8, v7
	s_or_b32 s7, s7, s8
	s_delay_alu instid0(SALU_CYCLE_1) | instskip(NEXT) | instid1(SALU_CYCLE_1)
	s_and_b32 s7, s9, s7
	s_xor_b32 s8, s7, -1
	s_delay_alu instid0(SALU_CYCLE_1) | instskip(NEXT) | instid1(SALU_CYCLE_1)
	s_and_saveexec_b32 s9, s8
	s_xor_b32 s8, exec_lo, s9
	s_cbranch_execz .LBB82_56
; %bb.55:
	ds_load_u8 v9, v10 offset:1
                                        ; implicit-def: $vgpr13
.LBB82_56:
	s_or_saveexec_b32 s8, s8
	v_mov_b32_e32 v10, v8
	s_xor_b32 exec_lo, exec_lo, s8
	s_cbranch_execz .LBB82_58
; %bb.57:
	ds_load_u8 v10, v13 offset:1
	s_waitcnt lgkmcnt(1)
	v_mov_b32_e32 v9, v7
.LBB82_58:
	s_or_b32 exec_lo, exec_lo, s8
	v_add_nc_u32_e32 v13, 1, v12
	v_add_nc_u32_e32 v15, 1, v11
	s_waitcnt lgkmcnt(0)
	v_bfe_i32 v16, v9, 0, 8
	s_delay_alu instid0(VALU_DEP_3) | instskip(SKIP_2) | instid1(VALU_DEP_3)
	v_cndmask_b32_e64 v14, v13, v12, s7
	v_bfe_i32 v12, v10, 0, 8
	v_cndmask_b32_e64 v13, v11, v15, s7
                                        ; implicit-def: $vgpr11
	v_cmp_ge_i32_e64 s8, v14, v1
	s_delay_alu instid0(VALU_DEP_3) | instskip(NEXT) | instid1(VALU_DEP_3)
	v_cmp_lt_i16_e64 s9, v12, v16
	v_cmp_lt_i32_e64 s10, v13, v6
	s_delay_alu instid0(VALU_DEP_2)
	s_or_b32 s8, s8, s9
	s_delay_alu instid0(VALU_DEP_1) | instid1(SALU_CYCLE_1)
	s_and_b32 s8, s10, s8
	s_delay_alu instid0(SALU_CYCLE_1) | instskip(NEXT) | instid1(SALU_CYCLE_1)
	s_xor_b32 s9, s8, -1
	s_and_saveexec_b32 s10, s9
	s_delay_alu instid0(SALU_CYCLE_1)
	s_xor_b32 s9, exec_lo, s10
	s_cbranch_execz .LBB82_60
; %bb.59:
	v_add_nc_u32_e32 v11, v5, v14
	ds_load_u8 v11, v11 offset:1
.LBB82_60:
	s_or_saveexec_b32 s9, s9
	v_mov_b32_e32 v12, v10
	s_xor_b32 exec_lo, exec_lo, s9
	s_cbranch_execz .LBB82_62
; %bb.61:
	s_waitcnt lgkmcnt(0)
	v_add_nc_u32_e32 v11, v5, v13
	ds_load_u8 v12, v11 offset:1
	v_mov_b32_e32 v11, v9
.LBB82_62:
	s_or_b32 exec_lo, exec_lo, s9
	v_add_nc_u32_e32 v15, 1, v14
	v_add_nc_u32_e32 v17, 1, v13
	s_waitcnt lgkmcnt(0)
	v_bfe_i32 v18, v11, 0, 8
	s_delay_alu instid0(VALU_DEP_3) | instskip(SKIP_2) | instid1(VALU_DEP_3)
	v_cndmask_b32_e64 v16, v15, v14, s8
	v_bfe_i32 v14, v12, 0, 8
	v_cndmask_b32_e64 v15, v13, v17, s8
                                        ; implicit-def: $vgpr13
	v_cmp_ge_i32_e64 s9, v16, v1
	s_delay_alu instid0(VALU_DEP_3) | instskip(NEXT) | instid1(VALU_DEP_3)
	v_cmp_lt_i16_e64 s10, v14, v18
	v_cmp_lt_i32_e64 s11, v15, v6
	s_delay_alu instid0(VALU_DEP_2)
	s_or_b32 s9, s9, s10
	s_delay_alu instid0(VALU_DEP_1) | instid1(SALU_CYCLE_1)
	s_and_b32 s9, s11, s9
	s_delay_alu instid0(SALU_CYCLE_1) | instskip(NEXT) | instid1(SALU_CYCLE_1)
	s_xor_b32 s10, s9, -1
	s_and_saveexec_b32 s11, s10
	s_delay_alu instid0(SALU_CYCLE_1)
	s_xor_b32 s10, exec_lo, s11
	s_cbranch_execz .LBB82_64
; %bb.63:
	v_add_nc_u32_e32 v13, v5, v16
	ds_load_u8 v13, v13 offset:1
.LBB82_64:
	s_or_saveexec_b32 s10, s10
	v_mov_b32_e32 v14, v12
	s_xor_b32 exec_lo, exec_lo, s10
	s_cbranch_execz .LBB82_66
; %bb.65:
	s_waitcnt lgkmcnt(0)
	v_add_nc_u32_e32 v13, v5, v15
	ds_load_u8 v14, v13 offset:1
	v_mov_b32_e32 v13, v11
.LBB82_66:
	s_or_b32 exec_lo, exec_lo, s10
	v_add_nc_u32_e32 v17, 1, v16
	v_add_nc_u32_e32 v19, 1, v15
	s_waitcnt lgkmcnt(0)
	v_bfe_i32 v20, v13, 0, 8
	s_delay_alu instid0(VALU_DEP_3) | instskip(SKIP_2) | instid1(VALU_DEP_3)
	v_cndmask_b32_e64 v18, v17, v16, s9
	v_bfe_i32 v16, v14, 0, 8
	v_cndmask_b32_e64 v17, v15, v19, s9
                                        ; implicit-def: $vgpr15
	v_cmp_ge_i32_e64 s10, v18, v1
	s_delay_alu instid0(VALU_DEP_3) | instskip(NEXT) | instid1(VALU_DEP_3)
	v_cmp_lt_i16_e64 s11, v16, v20
	v_cmp_lt_i32_e64 s12, v17, v6
	s_delay_alu instid0(VALU_DEP_2)
	s_or_b32 s10, s10, s11
	s_delay_alu instid0(VALU_DEP_1) | instid1(SALU_CYCLE_1)
	s_and_b32 s10, s12, s10
	s_delay_alu instid0(SALU_CYCLE_1) | instskip(NEXT) | instid1(SALU_CYCLE_1)
	s_xor_b32 s11, s10, -1
	s_and_saveexec_b32 s12, s11
	s_delay_alu instid0(SALU_CYCLE_1)
	s_xor_b32 s11, exec_lo, s12
	s_cbranch_execz .LBB82_68
; %bb.67:
	v_add_nc_u32_e32 v15, v5, v18
	ds_load_u8 v15, v15 offset:1
.LBB82_68:
	s_or_saveexec_b32 s11, s11
	v_mov_b32_e32 v16, v14
	s_xor_b32 exec_lo, exec_lo, s11
	s_cbranch_execz .LBB82_70
; %bb.69:
	s_waitcnt lgkmcnt(0)
	v_add_nc_u32_e32 v15, v5, v17
	ds_load_u8 v16, v15 offset:1
	v_mov_b32_e32 v15, v13
.LBB82_70:
	s_or_b32 exec_lo, exec_lo, s11
	v_add_nc_u32_e32 v19, 1, v18
	v_add_nc_u32_e32 v21, 1, v17
	s_waitcnt lgkmcnt(0)
	v_bfe_i32 v22, v15, 0, 8
	s_delay_alu instid0(VALU_DEP_3) | instskip(SKIP_2) | instid1(VALU_DEP_3)
	v_cndmask_b32_e64 v20, v19, v18, s10
	v_bfe_i32 v18, v16, 0, 8
	v_cndmask_b32_e64 v19, v17, v21, s10
                                        ; implicit-def: $vgpr17
	v_cmp_ge_i32_e64 s11, v20, v1
	s_delay_alu instid0(VALU_DEP_3) | instskip(NEXT) | instid1(VALU_DEP_3)
	v_cmp_lt_i16_e64 s12, v18, v22
	v_cmp_lt_i32_e64 s13, v19, v6
	s_delay_alu instid0(VALU_DEP_2)
	s_or_b32 s11, s11, s12
	s_delay_alu instid0(VALU_DEP_1) | instid1(SALU_CYCLE_1)
	s_and_b32 s11, s13, s11
	s_delay_alu instid0(SALU_CYCLE_1) | instskip(NEXT) | instid1(SALU_CYCLE_1)
	s_xor_b32 s12, s11, -1
	s_and_saveexec_b32 s13, s12
	s_delay_alu instid0(SALU_CYCLE_1)
	s_xor_b32 s12, exec_lo, s13
	s_cbranch_execz .LBB82_72
; %bb.71:
	v_add_nc_u32_e32 v17, v5, v20
	ds_load_u8 v17, v17 offset:1
.LBB82_72:
	s_or_saveexec_b32 s12, s12
	v_mov_b32_e32 v18, v16
	s_xor_b32 exec_lo, exec_lo, s12
	s_cbranch_execz .LBB82_74
; %bb.73:
	s_waitcnt lgkmcnt(0)
	v_add_nc_u32_e32 v17, v5, v19
	ds_load_u8 v18, v17 offset:1
	v_mov_b32_e32 v17, v15
.LBB82_74:
	s_or_b32 exec_lo, exec_lo, s12
	v_add_nc_u32_e32 v21, 1, v20
	v_add_nc_u32_e32 v22, 1, v19
	s_waitcnt lgkmcnt(0)
	v_bfe_i32 v23, v17, 0, 8
	s_delay_alu instid0(VALU_DEP_3) | instskip(SKIP_2) | instid1(VALU_DEP_3)
	v_cndmask_b32_e64 v20, v21, v20, s11
	v_bfe_i32 v21, v18, 0, 8
	v_cndmask_b32_e64 v19, v19, v22, s11
	v_cmp_ge_i32_e64 s12, v20, v1
	s_delay_alu instid0(VALU_DEP_3) | instskip(NEXT) | instid1(VALU_DEP_3)
	v_cmp_lt_i16_e64 s13, v21, v23
	v_cmp_lt_i32_e64 s14, v19, v6
                                        ; implicit-def: $vgpr21
	s_delay_alu instid0(VALU_DEP_2)
	s_or_b32 s12, s12, s13
	s_delay_alu instid0(VALU_DEP_1) | instid1(SALU_CYCLE_1)
	s_and_b32 s12, s14, s12
	s_delay_alu instid0(SALU_CYCLE_1) | instskip(NEXT) | instid1(SALU_CYCLE_1)
	s_xor_b32 s13, s12, -1
	s_and_saveexec_b32 s14, s13
	s_delay_alu instid0(SALU_CYCLE_1)
	s_xor_b32 s13, exec_lo, s14
	s_cbranch_execz .LBB82_76
; %bb.75:
	v_add_nc_u32_e32 v21, v5, v20
	ds_load_u8 v21, v21 offset:1
.LBB82_76:
	s_or_saveexec_b32 s13, s13
	v_mov_b32_e32 v22, v18
	s_xor_b32 exec_lo, exec_lo, s13
	s_cbranch_execz .LBB82_78
; %bb.77:
	s_waitcnt lgkmcnt(0)
	v_add_nc_u32_e32 v21, v5, v19
	ds_load_u8 v22, v21 offset:1
	v_mov_b32_e32 v21, v17
.LBB82_78:
	s_or_b32 exec_lo, exec_lo, s13
	v_add_nc_u32_e32 v23, 1, v20
	v_add_nc_u32_e32 v24, 1, v19
	s_waitcnt lgkmcnt(0)
	v_bfe_i32 v25, v21, 0, 8
	s_delay_alu instid0(VALU_DEP_3) | instskip(SKIP_2) | instid1(VALU_DEP_3)
	v_cndmask_b32_e64 v23, v23, v20, s12
	v_bfe_i32 v20, v22, 0, 8
	v_cndmask_b32_e64 v24, v19, v24, s12
                                        ; implicit-def: $vgpr19
	v_cmp_ge_i32_e64 s13, v23, v1
	s_delay_alu instid0(VALU_DEP_3) | instskip(NEXT) | instid1(VALU_DEP_3)
	v_cmp_lt_i16_e64 s14, v20, v25
	v_cmp_lt_i32_e64 s15, v24, v6
	s_delay_alu instid0(VALU_DEP_2)
	s_or_b32 s13, s13, s14
	s_delay_alu instid0(VALU_DEP_1) | instid1(SALU_CYCLE_1)
	s_and_b32 s13, s15, s13
	s_delay_alu instid0(SALU_CYCLE_1) | instskip(NEXT) | instid1(SALU_CYCLE_1)
	s_xor_b32 s14, s13, -1
	s_and_saveexec_b32 s15, s14
	s_delay_alu instid0(SALU_CYCLE_1)
	s_xor_b32 s14, exec_lo, s15
	s_cbranch_execz .LBB82_80
; %bb.79:
	v_add_nc_u32_e32 v19, v5, v23
	ds_load_u8 v19, v19 offset:1
.LBB82_80:
	s_or_saveexec_b32 s14, s14
	v_mov_b32_e32 v20, v22
	s_xor_b32 exec_lo, exec_lo, s14
	s_cbranch_execz .LBB82_82
; %bb.81:
	s_waitcnt lgkmcnt(0)
	v_add_nc_u32_e32 v19, v5, v24
	ds_load_u8 v20, v19 offset:1
	v_mov_b32_e32 v19, v21
.LBB82_82:
	s_or_b32 exec_lo, exec_lo, s14
	v_add_nc_u32_e32 v26, 1, v23
	v_add_nc_u32_e32 v25, 1, v24
	v_cndmask_b32_e64 v21, v21, v22, s13
	v_cndmask_b32_e64 v17, v17, v18, s12
	;; [unrolled: 1-line block ×4, first 2 shown]
	v_and_b32_e32 v23, 0xc0, v3
	v_cndmask_b32_e64 v18, v24, v25, s13
	v_cndmask_b32_e64 v15, v15, v16, s11
	s_waitcnt lgkmcnt(0)
	v_bfe_i32 v16, v19, 0, 8
	v_bfe_i32 v24, v20, 0, 8
	v_min_i32_e32 v11, v4, v23
	v_cmp_ge_i32_e64 s9, v22, v1
	v_cndmask_b32_e64 v1, v9, v10, s8
	v_cndmask_b32_e64 v7, v7, v8, s7
	v_cmp_lt_i32_e64 s7, v18, v6
	v_add_nc_u32_e32 v6, 32, v11
	v_cndmask_b32_e64 v13, v13, v14, s10
	v_cmp_lt_i16_e64 s10, v24, v16
	v_lshlrev_b16 v8, 8, v1
	v_and_b32_e32 v7, 0xff, v7
	v_min_i32_e32 v1, v4, v6
	v_lshlrev_b16 v9, 8, v13
	s_or_b32 s8, s9, s10
	v_and_b32_e32 v6, 0xff, v12
	s_and_b32 s7, s7, s8
	v_or_b32_e32 v8, v7, v8
	v_cndmask_b32_e64 v10, v19, v20, s7
	v_add_nc_u32_e32 v7, 32, v1
	v_or_b32_e32 v9, v6, v9
	v_lshlrev_b16 v12, 8, v17
	v_and_b32_e32 v13, 0xff, v15
	v_and_b32_e32 v14, 56, v3
	v_min_i32_e32 v6, v4, v7
	v_and_b32_e32 v15, 0xff, v21
	v_lshlrev_b16 v10, 8, v10
	v_or_b32_e32 v12, v13, v12
	v_min_i32_e32 v7, v4, v14
	v_sub_nc_u32_e32 v13, v6, v1
	v_and_b32_e32 v8, 0xffff, v8
	v_or_b32_e32 v10, v15, v10
	v_lshlrev_b32_e32 v9, 16, v9
	v_and_b32_e32 v14, 0xffff, v12
	v_sub_nc_u32_e32 v15, v7, v13
	v_sub_nc_u32_e32 v16, v1, v11
	v_lshlrev_b32_e32 v10, 16, v10
	v_cmp_ge_i32_e64 s7, v7, v13
	v_or_b32_e32 v12, v8, v9
	s_mov_b32 s9, 0
	v_min_i32_e32 v9, v7, v16
	v_or_b32_e32 v13, v14, v10
	v_cndmask_b32_e64 v8, 0, v15, s7
	s_mov_b32 s8, exec_lo
	; wave barrier
	ds_store_b64 v0, v[12:13]
	; wave barrier
	v_cmpx_lt_i32_e64 v8, v9
	s_cbranch_execz .LBB82_86
; %bb.83:
	v_add_nc_u32_e32 v10, v5, v11
	v_add3_u32 v12, v5, v1, v7
	.p2align	6
.LBB82_84:                              ; =>This Inner Loop Header: Depth=1
	v_sub_nc_u32_e32 v13, v9, v8
	s_delay_alu instid0(VALU_DEP_1) | instskip(NEXT) | instid1(VALU_DEP_1)
	v_lshrrev_b32_e32 v14, 31, v13
	v_add_nc_u32_e32 v13, v13, v14
	s_delay_alu instid0(VALU_DEP_1) | instskip(NEXT) | instid1(VALU_DEP_1)
	v_ashrrev_i32_e32 v13, 1, v13
	v_add_nc_u32_e32 v13, v13, v8
	s_delay_alu instid0(VALU_DEP_1)
	v_add_nc_u32_e32 v14, v10, v13
	v_xad_u32 v15, v13, -1, v12
	v_add_nc_u32_e32 v16, 1, v13
	ds_load_i8 v14, v14
	ds_load_i8 v15, v15
	s_waitcnt lgkmcnt(0)
	v_cmp_lt_i16_e64 s7, v15, v14
	s_delay_alu instid0(VALU_DEP_1) | instskip(SKIP_1) | instid1(VALU_DEP_1)
	v_cndmask_b32_e64 v9, v9, v13, s7
	v_cndmask_b32_e64 v8, v16, v8, s7
	v_cmp_ge_i32_e64 s7, v8, v9
	s_delay_alu instid0(VALU_DEP_1) | instskip(NEXT) | instid1(SALU_CYCLE_1)
	s_or_b32 s9, s7, s9
	s_and_not1_b32 exec_lo, exec_lo, s9
	s_cbranch_execnz .LBB82_84
; %bb.85:
	s_or_b32 exec_lo, exec_lo, s9
.LBB82_86:
	s_delay_alu instid0(SALU_CYCLE_1) | instskip(SKIP_2) | instid1(VALU_DEP_2)
	s_or_b32 exec_lo, exec_lo, s8
	v_add_nc_u32_e32 v7, v1, v7
	v_add_nc_u32_e32 v12, v8, v11
                                        ; implicit-def: $vgpr9
	v_sub_nc_u32_e32 v11, v7, v8
	s_delay_alu instid0(VALU_DEP_2) | instskip(SKIP_1) | instid1(VALU_DEP_3)
	v_add_nc_u32_e32 v10, v5, v12
	v_cmp_le_i32_e64 s7, v1, v12
	v_add_nc_u32_e32 v13, v5, v11
	v_cmp_gt_i32_e64 s9, v6, v11
	ds_load_u8 v7, v10
	ds_load_u8 v8, v13
	s_waitcnt lgkmcnt(1)
	v_bfe_i32 v7, v7, 0, 8
	s_waitcnt lgkmcnt(0)
	v_bfe_i32 v8, v8, 0, 8
	s_delay_alu instid0(VALU_DEP_1) | instskip(NEXT) | instid1(VALU_DEP_1)
	v_cmp_lt_i16_e64 s8, v8, v7
	s_or_b32 s7, s7, s8
	s_delay_alu instid0(SALU_CYCLE_1) | instskip(NEXT) | instid1(SALU_CYCLE_1)
	s_and_b32 s7, s9, s7
	s_xor_b32 s8, s7, -1
	s_delay_alu instid0(SALU_CYCLE_1) | instskip(NEXT) | instid1(SALU_CYCLE_1)
	s_and_saveexec_b32 s9, s8
	s_xor_b32 s8, exec_lo, s9
	s_cbranch_execz .LBB82_88
; %bb.87:
	ds_load_u8 v9, v10 offset:1
                                        ; implicit-def: $vgpr13
.LBB82_88:
	s_or_saveexec_b32 s8, s8
	v_mov_b32_e32 v10, v8
	s_xor_b32 exec_lo, exec_lo, s8
	s_cbranch_execz .LBB82_90
; %bb.89:
	ds_load_u8 v10, v13 offset:1
	s_waitcnt lgkmcnt(1)
	v_mov_b32_e32 v9, v7
.LBB82_90:
	s_or_b32 exec_lo, exec_lo, s8
	v_add_nc_u32_e32 v13, 1, v12
	v_add_nc_u32_e32 v15, 1, v11
	s_waitcnt lgkmcnt(0)
	v_bfe_i32 v16, v9, 0, 8
	s_delay_alu instid0(VALU_DEP_3) | instskip(SKIP_2) | instid1(VALU_DEP_3)
	v_cndmask_b32_e64 v14, v13, v12, s7
	v_bfe_i32 v12, v10, 0, 8
	v_cndmask_b32_e64 v13, v11, v15, s7
                                        ; implicit-def: $vgpr11
	v_cmp_ge_i32_e64 s8, v14, v1
	s_delay_alu instid0(VALU_DEP_3) | instskip(NEXT) | instid1(VALU_DEP_3)
	v_cmp_lt_i16_e64 s9, v12, v16
	v_cmp_lt_i32_e64 s10, v13, v6
	s_delay_alu instid0(VALU_DEP_2)
	s_or_b32 s8, s8, s9
	s_delay_alu instid0(VALU_DEP_1) | instid1(SALU_CYCLE_1)
	s_and_b32 s8, s10, s8
	s_delay_alu instid0(SALU_CYCLE_1) | instskip(NEXT) | instid1(SALU_CYCLE_1)
	s_xor_b32 s9, s8, -1
	s_and_saveexec_b32 s10, s9
	s_delay_alu instid0(SALU_CYCLE_1)
	s_xor_b32 s9, exec_lo, s10
	s_cbranch_execz .LBB82_92
; %bb.91:
	v_add_nc_u32_e32 v11, v5, v14
	ds_load_u8 v11, v11 offset:1
.LBB82_92:
	s_or_saveexec_b32 s9, s9
	v_mov_b32_e32 v12, v10
	s_xor_b32 exec_lo, exec_lo, s9
	s_cbranch_execz .LBB82_94
; %bb.93:
	s_waitcnt lgkmcnt(0)
	v_add_nc_u32_e32 v11, v5, v13
	ds_load_u8 v12, v11 offset:1
	v_mov_b32_e32 v11, v9
.LBB82_94:
	s_or_b32 exec_lo, exec_lo, s9
	v_add_nc_u32_e32 v15, 1, v14
	v_add_nc_u32_e32 v17, 1, v13
	s_waitcnt lgkmcnt(0)
	v_bfe_i32 v18, v11, 0, 8
	s_delay_alu instid0(VALU_DEP_3) | instskip(SKIP_2) | instid1(VALU_DEP_3)
	v_cndmask_b32_e64 v16, v15, v14, s8
	v_bfe_i32 v14, v12, 0, 8
	v_cndmask_b32_e64 v15, v13, v17, s8
                                        ; implicit-def: $vgpr13
	v_cmp_ge_i32_e64 s9, v16, v1
	s_delay_alu instid0(VALU_DEP_3) | instskip(NEXT) | instid1(VALU_DEP_3)
	v_cmp_lt_i16_e64 s10, v14, v18
	v_cmp_lt_i32_e64 s11, v15, v6
	s_delay_alu instid0(VALU_DEP_2)
	s_or_b32 s9, s9, s10
	s_delay_alu instid0(VALU_DEP_1) | instid1(SALU_CYCLE_1)
	s_and_b32 s9, s11, s9
	s_delay_alu instid0(SALU_CYCLE_1) | instskip(NEXT) | instid1(SALU_CYCLE_1)
	s_xor_b32 s10, s9, -1
	s_and_saveexec_b32 s11, s10
	s_delay_alu instid0(SALU_CYCLE_1)
	s_xor_b32 s10, exec_lo, s11
	s_cbranch_execz .LBB82_96
; %bb.95:
	v_add_nc_u32_e32 v13, v5, v16
	ds_load_u8 v13, v13 offset:1
.LBB82_96:
	s_or_saveexec_b32 s10, s10
	v_mov_b32_e32 v14, v12
	s_xor_b32 exec_lo, exec_lo, s10
	s_cbranch_execz .LBB82_98
; %bb.97:
	s_waitcnt lgkmcnt(0)
	v_add_nc_u32_e32 v13, v5, v15
	ds_load_u8 v14, v13 offset:1
	v_mov_b32_e32 v13, v11
.LBB82_98:
	s_or_b32 exec_lo, exec_lo, s10
	v_add_nc_u32_e32 v17, 1, v16
	v_add_nc_u32_e32 v19, 1, v15
	s_waitcnt lgkmcnt(0)
	v_bfe_i32 v20, v13, 0, 8
	s_delay_alu instid0(VALU_DEP_3) | instskip(SKIP_2) | instid1(VALU_DEP_3)
	v_cndmask_b32_e64 v18, v17, v16, s9
	v_bfe_i32 v16, v14, 0, 8
	v_cndmask_b32_e64 v17, v15, v19, s9
                                        ; implicit-def: $vgpr15
	v_cmp_ge_i32_e64 s10, v18, v1
	s_delay_alu instid0(VALU_DEP_3) | instskip(NEXT) | instid1(VALU_DEP_3)
	v_cmp_lt_i16_e64 s11, v16, v20
	v_cmp_lt_i32_e64 s12, v17, v6
	s_delay_alu instid0(VALU_DEP_2)
	s_or_b32 s10, s10, s11
	s_delay_alu instid0(VALU_DEP_1) | instid1(SALU_CYCLE_1)
	s_and_b32 s10, s12, s10
	s_delay_alu instid0(SALU_CYCLE_1) | instskip(NEXT) | instid1(SALU_CYCLE_1)
	s_xor_b32 s11, s10, -1
	s_and_saveexec_b32 s12, s11
	s_delay_alu instid0(SALU_CYCLE_1)
	s_xor_b32 s11, exec_lo, s12
	s_cbranch_execz .LBB82_100
; %bb.99:
	v_add_nc_u32_e32 v15, v5, v18
	ds_load_u8 v15, v15 offset:1
.LBB82_100:
	s_or_saveexec_b32 s11, s11
	v_mov_b32_e32 v16, v14
	s_xor_b32 exec_lo, exec_lo, s11
	s_cbranch_execz .LBB82_102
; %bb.101:
	s_waitcnt lgkmcnt(0)
	v_add_nc_u32_e32 v15, v5, v17
	ds_load_u8 v16, v15 offset:1
	v_mov_b32_e32 v15, v13
.LBB82_102:
	s_or_b32 exec_lo, exec_lo, s11
	v_add_nc_u32_e32 v19, 1, v18
	v_add_nc_u32_e32 v21, 1, v17
	s_waitcnt lgkmcnt(0)
	v_bfe_i32 v22, v15, 0, 8
	s_delay_alu instid0(VALU_DEP_3) | instskip(SKIP_2) | instid1(VALU_DEP_3)
	v_cndmask_b32_e64 v20, v19, v18, s10
	v_bfe_i32 v18, v16, 0, 8
	v_cndmask_b32_e64 v19, v17, v21, s10
                                        ; implicit-def: $vgpr17
	v_cmp_ge_i32_e64 s11, v20, v1
	s_delay_alu instid0(VALU_DEP_3) | instskip(NEXT) | instid1(VALU_DEP_3)
	v_cmp_lt_i16_e64 s12, v18, v22
	v_cmp_lt_i32_e64 s13, v19, v6
	s_delay_alu instid0(VALU_DEP_2)
	s_or_b32 s11, s11, s12
	s_delay_alu instid0(VALU_DEP_1) | instid1(SALU_CYCLE_1)
	s_and_b32 s11, s13, s11
	s_delay_alu instid0(SALU_CYCLE_1) | instskip(NEXT) | instid1(SALU_CYCLE_1)
	s_xor_b32 s12, s11, -1
	s_and_saveexec_b32 s13, s12
	s_delay_alu instid0(SALU_CYCLE_1)
	s_xor_b32 s12, exec_lo, s13
	s_cbranch_execz .LBB82_104
; %bb.103:
	v_add_nc_u32_e32 v17, v5, v20
	ds_load_u8 v17, v17 offset:1
.LBB82_104:
	s_or_saveexec_b32 s12, s12
	v_mov_b32_e32 v18, v16
	s_xor_b32 exec_lo, exec_lo, s12
	s_cbranch_execz .LBB82_106
; %bb.105:
	s_waitcnt lgkmcnt(0)
	v_add_nc_u32_e32 v17, v5, v19
	ds_load_u8 v18, v17 offset:1
	v_mov_b32_e32 v17, v15
.LBB82_106:
	s_or_b32 exec_lo, exec_lo, s12
	v_add_nc_u32_e32 v21, 1, v20
	v_add_nc_u32_e32 v22, 1, v19
	s_waitcnt lgkmcnt(0)
	v_bfe_i32 v23, v17, 0, 8
	s_delay_alu instid0(VALU_DEP_3) | instskip(SKIP_2) | instid1(VALU_DEP_3)
	v_cndmask_b32_e64 v20, v21, v20, s11
	v_bfe_i32 v21, v18, 0, 8
	v_cndmask_b32_e64 v19, v19, v22, s11
	v_cmp_ge_i32_e64 s12, v20, v1
	s_delay_alu instid0(VALU_DEP_3) | instskip(NEXT) | instid1(VALU_DEP_3)
	v_cmp_lt_i16_e64 s13, v21, v23
	v_cmp_lt_i32_e64 s14, v19, v6
                                        ; implicit-def: $vgpr21
	s_delay_alu instid0(VALU_DEP_2)
	s_or_b32 s12, s12, s13
	s_delay_alu instid0(VALU_DEP_1) | instid1(SALU_CYCLE_1)
	s_and_b32 s12, s14, s12
	s_delay_alu instid0(SALU_CYCLE_1) | instskip(NEXT) | instid1(SALU_CYCLE_1)
	s_xor_b32 s13, s12, -1
	s_and_saveexec_b32 s14, s13
	s_delay_alu instid0(SALU_CYCLE_1)
	s_xor_b32 s13, exec_lo, s14
	s_cbranch_execz .LBB82_108
; %bb.107:
	v_add_nc_u32_e32 v21, v5, v20
	ds_load_u8 v21, v21 offset:1
.LBB82_108:
	s_or_saveexec_b32 s13, s13
	v_mov_b32_e32 v22, v18
	s_xor_b32 exec_lo, exec_lo, s13
	s_cbranch_execz .LBB82_110
; %bb.109:
	s_waitcnt lgkmcnt(0)
	v_add_nc_u32_e32 v21, v5, v19
	ds_load_u8 v22, v21 offset:1
	v_mov_b32_e32 v21, v17
.LBB82_110:
	s_or_b32 exec_lo, exec_lo, s13
	v_add_nc_u32_e32 v23, 1, v20
	v_add_nc_u32_e32 v24, 1, v19
	s_waitcnt lgkmcnt(0)
	v_bfe_i32 v25, v21, 0, 8
	s_delay_alu instid0(VALU_DEP_3) | instskip(SKIP_2) | instid1(VALU_DEP_3)
	v_cndmask_b32_e64 v23, v23, v20, s12
	v_bfe_i32 v20, v22, 0, 8
	v_cndmask_b32_e64 v24, v19, v24, s12
                                        ; implicit-def: $vgpr19
	v_cmp_ge_i32_e64 s13, v23, v1
	s_delay_alu instid0(VALU_DEP_3) | instskip(NEXT) | instid1(VALU_DEP_3)
	v_cmp_lt_i16_e64 s14, v20, v25
	v_cmp_lt_i32_e64 s15, v24, v6
	s_delay_alu instid0(VALU_DEP_2)
	s_or_b32 s13, s13, s14
	s_delay_alu instid0(VALU_DEP_1) | instid1(SALU_CYCLE_1)
	s_and_b32 s13, s15, s13
	s_delay_alu instid0(SALU_CYCLE_1) | instskip(NEXT) | instid1(SALU_CYCLE_1)
	s_xor_b32 s14, s13, -1
	s_and_saveexec_b32 s15, s14
	s_delay_alu instid0(SALU_CYCLE_1)
	s_xor_b32 s14, exec_lo, s15
	s_cbranch_execz .LBB82_112
; %bb.111:
	v_add_nc_u32_e32 v19, v5, v23
	ds_load_u8 v19, v19 offset:1
.LBB82_112:
	s_or_saveexec_b32 s14, s14
	v_mov_b32_e32 v20, v22
	s_xor_b32 exec_lo, exec_lo, s14
	s_cbranch_execz .LBB82_114
; %bb.113:
	s_waitcnt lgkmcnt(0)
	v_add_nc_u32_e32 v19, v5, v24
	ds_load_u8 v20, v19 offset:1
	v_mov_b32_e32 v19, v21
.LBB82_114:
	s_or_b32 exec_lo, exec_lo, s14
	v_add_nc_u32_e32 v26, 1, v23
	v_add_nc_u32_e32 v25, 1, v24
	v_cndmask_b32_e64 v21, v21, v22, s13
	v_cndmask_b32_e64 v17, v17, v18, s12
	;; [unrolled: 1-line block ×4, first 2 shown]
	v_and_b32_e32 v23, 0x80, v3
	v_cndmask_b32_e64 v18, v24, v25, s13
	v_cndmask_b32_e64 v15, v15, v16, s11
	s_waitcnt lgkmcnt(0)
	v_bfe_i32 v16, v19, 0, 8
	v_bfe_i32 v24, v20, 0, 8
	v_min_i32_e32 v11, v4, v23
	v_cmp_ge_i32_e64 s9, v22, v1
	v_cndmask_b32_e64 v1, v9, v10, s8
	v_cndmask_b32_e64 v7, v7, v8, s7
	v_cmp_lt_i32_e64 s7, v18, v6
	v_add_nc_u32_e32 v6, 64, v11
	v_cndmask_b32_e64 v13, v13, v14, s10
	v_cmp_lt_i16_e64 s10, v24, v16
	v_lshlrev_b16 v1, 8, v1
	v_and_b32_e32 v7, 0xff, v7
	v_min_i32_e32 v6, v4, v6
	v_lshlrev_b16 v8, 8, v13
	s_or_b32 s8, s9, s10
	v_and_b32_e32 v9, 0xff, v12
	s_and_b32 s7, s7, s8
	v_or_b32_e32 v12, v7, v1
	v_cndmask_b32_e64 v10, v19, v20, s7
	v_add_nc_u32_e32 v1, 64, v6
	v_or_b32_e32 v8, v9, v8
	v_lshlrev_b16 v7, 8, v17
	v_and_b32_e32 v9, 0xff, v15
	v_and_b32_e32 v13, 0x78, v3
	v_min_i32_e32 v1, v4, v1
	v_and_b32_e32 v14, 0xff, v21
	v_lshlrev_b16 v10, 8, v10
	v_or_b32_e32 v9, v9, v7
	v_min_i32_e32 v7, v4, v13
	v_sub_nc_u32_e32 v13, v1, v6
	v_and_b32_e32 v12, 0xffff, v12
	v_or_b32_e32 v10, v14, v10
	v_lshlrev_b32_e32 v8, 16, v8
	v_and_b32_e32 v14, 0xffff, v9
	v_sub_nc_u32_e32 v9, v7, v13
	v_sub_nc_u32_e32 v15, v6, v11
	v_lshlrev_b32_e32 v10, 16, v10
	v_cmp_ge_i32_e64 s7, v7, v13
	v_or_b32_e32 v12, v12, v8
	s_mov_b32 s9, 0
	s_mov_b32 s8, exec_lo
	v_or_b32_e32 v13, v14, v10
	v_cndmask_b32_e64 v8, 0, v9, s7
	v_min_i32_e32 v9, v7, v15
	; wave barrier
	ds_store_b64 v0, v[12:13]
	; wave barrier
	v_cmpx_lt_i32_e64 v8, v9
	s_cbranch_execz .LBB82_118
; %bb.115:
	v_add_nc_u32_e32 v10, v5, v11
	v_add3_u32 v12, v5, v6, v7
	.p2align	6
.LBB82_116:                             ; =>This Inner Loop Header: Depth=1
	v_sub_nc_u32_e32 v13, v9, v8
	s_delay_alu instid0(VALU_DEP_1) | instskip(NEXT) | instid1(VALU_DEP_1)
	v_lshrrev_b32_e32 v14, 31, v13
	v_add_nc_u32_e32 v13, v13, v14
	s_delay_alu instid0(VALU_DEP_1) | instskip(NEXT) | instid1(VALU_DEP_1)
	v_ashrrev_i32_e32 v13, 1, v13
	v_add_nc_u32_e32 v13, v13, v8
	s_delay_alu instid0(VALU_DEP_1)
	v_add_nc_u32_e32 v14, v10, v13
	v_xad_u32 v15, v13, -1, v12
	v_add_nc_u32_e32 v16, 1, v13
	ds_load_i8 v14, v14
	ds_load_i8 v15, v15
	s_waitcnt lgkmcnt(0)
	v_cmp_lt_i16_e64 s7, v15, v14
	s_delay_alu instid0(VALU_DEP_1) | instskip(SKIP_1) | instid1(VALU_DEP_1)
	v_cndmask_b32_e64 v9, v9, v13, s7
	v_cndmask_b32_e64 v8, v16, v8, s7
	v_cmp_ge_i32_e64 s7, v8, v9
	s_delay_alu instid0(VALU_DEP_1) | instskip(NEXT) | instid1(SALU_CYCLE_1)
	s_or_b32 s9, s7, s9
	s_and_not1_b32 exec_lo, exec_lo, s9
	s_cbranch_execnz .LBB82_116
; %bb.117:
	s_or_b32 exec_lo, exec_lo, s9
.LBB82_118:
	s_delay_alu instid0(SALU_CYCLE_1) | instskip(SKIP_2) | instid1(VALU_DEP_2)
	s_or_b32 exec_lo, exec_lo, s8
	v_add_nc_u32_e32 v7, v6, v7
	v_add_nc_u32_e32 v12, v8, v11
                                        ; implicit-def: $vgpr9
	v_sub_nc_u32_e32 v11, v7, v8
	s_delay_alu instid0(VALU_DEP_2) | instskip(SKIP_1) | instid1(VALU_DEP_3)
	v_add_nc_u32_e32 v10, v5, v12
	v_cmp_le_i32_e64 s7, v6, v12
	v_add_nc_u32_e32 v13, v5, v11
	v_cmp_gt_i32_e64 s9, v1, v11
	ds_load_u8 v7, v10
	ds_load_u8 v8, v13
	s_waitcnt lgkmcnt(1)
	v_bfe_i32 v7, v7, 0, 8
	s_waitcnt lgkmcnt(0)
	v_bfe_i32 v8, v8, 0, 8
	s_delay_alu instid0(VALU_DEP_1) | instskip(NEXT) | instid1(VALU_DEP_1)
	v_cmp_lt_i16_e64 s8, v8, v7
	s_or_b32 s7, s7, s8
	s_delay_alu instid0(SALU_CYCLE_1) | instskip(NEXT) | instid1(SALU_CYCLE_1)
	s_and_b32 s7, s9, s7
	s_xor_b32 s8, s7, -1
	s_delay_alu instid0(SALU_CYCLE_1) | instskip(NEXT) | instid1(SALU_CYCLE_1)
	s_and_saveexec_b32 s9, s8
	s_xor_b32 s8, exec_lo, s9
	s_cbranch_execz .LBB82_120
; %bb.119:
	ds_load_u8 v9, v10 offset:1
                                        ; implicit-def: $vgpr13
.LBB82_120:
	s_or_saveexec_b32 s8, s8
	v_mov_b32_e32 v10, v8
	s_xor_b32 exec_lo, exec_lo, s8
	s_cbranch_execz .LBB82_122
; %bb.121:
	ds_load_u8 v10, v13 offset:1
	s_waitcnt lgkmcnt(1)
	v_mov_b32_e32 v9, v7
.LBB82_122:
	s_or_b32 exec_lo, exec_lo, s8
	v_add_nc_u32_e32 v13, 1, v12
	v_add_nc_u32_e32 v15, 1, v11
	s_waitcnt lgkmcnt(0)
	v_bfe_i32 v16, v9, 0, 8
	s_delay_alu instid0(VALU_DEP_3) | instskip(SKIP_2) | instid1(VALU_DEP_3)
	v_cndmask_b32_e64 v14, v13, v12, s7
	v_bfe_i32 v12, v10, 0, 8
	v_cndmask_b32_e64 v13, v11, v15, s7
                                        ; implicit-def: $vgpr11
	v_cmp_ge_i32_e64 s8, v14, v6
	s_delay_alu instid0(VALU_DEP_3) | instskip(NEXT) | instid1(VALU_DEP_3)
	v_cmp_lt_i16_e64 s9, v12, v16
	v_cmp_lt_i32_e64 s10, v13, v1
	s_delay_alu instid0(VALU_DEP_2)
	s_or_b32 s8, s8, s9
	s_delay_alu instid0(VALU_DEP_1) | instid1(SALU_CYCLE_1)
	s_and_b32 s8, s10, s8
	s_delay_alu instid0(SALU_CYCLE_1) | instskip(NEXT) | instid1(SALU_CYCLE_1)
	s_xor_b32 s9, s8, -1
	s_and_saveexec_b32 s10, s9
	s_delay_alu instid0(SALU_CYCLE_1)
	s_xor_b32 s9, exec_lo, s10
	s_cbranch_execz .LBB82_124
; %bb.123:
	v_add_nc_u32_e32 v11, v5, v14
	ds_load_u8 v11, v11 offset:1
.LBB82_124:
	s_or_saveexec_b32 s9, s9
	v_mov_b32_e32 v12, v10
	s_xor_b32 exec_lo, exec_lo, s9
	s_cbranch_execz .LBB82_126
; %bb.125:
	s_waitcnt lgkmcnt(0)
	v_add_nc_u32_e32 v11, v5, v13
	ds_load_u8 v12, v11 offset:1
	v_mov_b32_e32 v11, v9
.LBB82_126:
	s_or_b32 exec_lo, exec_lo, s9
	v_add_nc_u32_e32 v15, 1, v14
	v_add_nc_u32_e32 v17, 1, v13
	s_waitcnt lgkmcnt(0)
	v_bfe_i32 v18, v11, 0, 8
	s_delay_alu instid0(VALU_DEP_3) | instskip(SKIP_2) | instid1(VALU_DEP_3)
	v_cndmask_b32_e64 v16, v15, v14, s8
	v_bfe_i32 v14, v12, 0, 8
	v_cndmask_b32_e64 v15, v13, v17, s8
                                        ; implicit-def: $vgpr13
	v_cmp_ge_i32_e64 s9, v16, v6
	s_delay_alu instid0(VALU_DEP_3) | instskip(NEXT) | instid1(VALU_DEP_3)
	v_cmp_lt_i16_e64 s10, v14, v18
	v_cmp_lt_i32_e64 s11, v15, v1
	s_delay_alu instid0(VALU_DEP_2)
	s_or_b32 s9, s9, s10
	s_delay_alu instid0(VALU_DEP_1) | instid1(SALU_CYCLE_1)
	s_and_b32 s9, s11, s9
	s_delay_alu instid0(SALU_CYCLE_1) | instskip(NEXT) | instid1(SALU_CYCLE_1)
	s_xor_b32 s10, s9, -1
	s_and_saveexec_b32 s11, s10
	s_delay_alu instid0(SALU_CYCLE_1)
	s_xor_b32 s10, exec_lo, s11
	s_cbranch_execz .LBB82_128
; %bb.127:
	v_add_nc_u32_e32 v13, v5, v16
	ds_load_u8 v13, v13 offset:1
.LBB82_128:
	s_or_saveexec_b32 s10, s10
	v_mov_b32_e32 v14, v12
	s_xor_b32 exec_lo, exec_lo, s10
	s_cbranch_execz .LBB82_130
; %bb.129:
	s_waitcnt lgkmcnt(0)
	v_add_nc_u32_e32 v13, v5, v15
	ds_load_u8 v14, v13 offset:1
	v_mov_b32_e32 v13, v11
.LBB82_130:
	s_or_b32 exec_lo, exec_lo, s10
	v_add_nc_u32_e32 v17, 1, v16
	v_add_nc_u32_e32 v19, 1, v15
	s_waitcnt lgkmcnt(0)
	v_bfe_i32 v20, v13, 0, 8
	s_delay_alu instid0(VALU_DEP_3) | instskip(SKIP_2) | instid1(VALU_DEP_3)
	v_cndmask_b32_e64 v18, v17, v16, s9
	v_bfe_i32 v16, v14, 0, 8
	v_cndmask_b32_e64 v17, v15, v19, s9
                                        ; implicit-def: $vgpr15
	v_cmp_ge_i32_e64 s10, v18, v6
	s_delay_alu instid0(VALU_DEP_3) | instskip(NEXT) | instid1(VALU_DEP_3)
	v_cmp_lt_i16_e64 s11, v16, v20
	v_cmp_lt_i32_e64 s12, v17, v1
	s_delay_alu instid0(VALU_DEP_2)
	s_or_b32 s10, s10, s11
	s_delay_alu instid0(VALU_DEP_1) | instid1(SALU_CYCLE_1)
	s_and_b32 s10, s12, s10
	s_delay_alu instid0(SALU_CYCLE_1) | instskip(NEXT) | instid1(SALU_CYCLE_1)
	s_xor_b32 s11, s10, -1
	s_and_saveexec_b32 s12, s11
	s_delay_alu instid0(SALU_CYCLE_1)
	s_xor_b32 s11, exec_lo, s12
	s_cbranch_execz .LBB82_132
; %bb.131:
	v_add_nc_u32_e32 v15, v5, v18
	ds_load_u8 v15, v15 offset:1
.LBB82_132:
	s_or_saveexec_b32 s11, s11
	v_mov_b32_e32 v16, v14
	s_xor_b32 exec_lo, exec_lo, s11
	s_cbranch_execz .LBB82_134
; %bb.133:
	s_waitcnt lgkmcnt(0)
	v_add_nc_u32_e32 v15, v5, v17
	ds_load_u8 v16, v15 offset:1
	v_mov_b32_e32 v15, v13
.LBB82_134:
	s_or_b32 exec_lo, exec_lo, s11
	v_add_nc_u32_e32 v19, 1, v18
	v_add_nc_u32_e32 v21, 1, v17
	s_waitcnt lgkmcnt(0)
	v_bfe_i32 v22, v15, 0, 8
	s_delay_alu instid0(VALU_DEP_3) | instskip(SKIP_2) | instid1(VALU_DEP_3)
	v_cndmask_b32_e64 v20, v19, v18, s10
	v_bfe_i32 v18, v16, 0, 8
	v_cndmask_b32_e64 v19, v17, v21, s10
                                        ; implicit-def: $vgpr17
	v_cmp_ge_i32_e64 s11, v20, v6
	s_delay_alu instid0(VALU_DEP_3) | instskip(NEXT) | instid1(VALU_DEP_3)
	v_cmp_lt_i16_e64 s12, v18, v22
	v_cmp_lt_i32_e64 s13, v19, v1
	s_delay_alu instid0(VALU_DEP_2)
	s_or_b32 s11, s11, s12
	s_delay_alu instid0(VALU_DEP_1) | instid1(SALU_CYCLE_1)
	s_and_b32 s11, s13, s11
	s_delay_alu instid0(SALU_CYCLE_1) | instskip(NEXT) | instid1(SALU_CYCLE_1)
	s_xor_b32 s12, s11, -1
	s_and_saveexec_b32 s13, s12
	s_delay_alu instid0(SALU_CYCLE_1)
	s_xor_b32 s12, exec_lo, s13
	s_cbranch_execz .LBB82_136
; %bb.135:
	v_add_nc_u32_e32 v17, v5, v20
	ds_load_u8 v17, v17 offset:1
.LBB82_136:
	s_or_saveexec_b32 s12, s12
	v_mov_b32_e32 v18, v16
	s_xor_b32 exec_lo, exec_lo, s12
	s_cbranch_execz .LBB82_138
; %bb.137:
	s_waitcnt lgkmcnt(0)
	v_add_nc_u32_e32 v17, v5, v19
	ds_load_u8 v18, v17 offset:1
	v_mov_b32_e32 v17, v15
.LBB82_138:
	s_or_b32 exec_lo, exec_lo, s12
	v_add_nc_u32_e32 v21, 1, v20
	v_add_nc_u32_e32 v22, 1, v19
	s_waitcnt lgkmcnt(0)
	v_bfe_i32 v23, v17, 0, 8
	s_delay_alu instid0(VALU_DEP_3) | instskip(SKIP_2) | instid1(VALU_DEP_3)
	v_cndmask_b32_e64 v20, v21, v20, s11
	v_bfe_i32 v21, v18, 0, 8
	v_cndmask_b32_e64 v19, v19, v22, s11
	v_cmp_ge_i32_e64 s12, v20, v6
	s_delay_alu instid0(VALU_DEP_3) | instskip(NEXT) | instid1(VALU_DEP_3)
	v_cmp_lt_i16_e64 s13, v21, v23
	v_cmp_lt_i32_e64 s14, v19, v1
                                        ; implicit-def: $vgpr21
	s_delay_alu instid0(VALU_DEP_2)
	s_or_b32 s12, s12, s13
	s_delay_alu instid0(VALU_DEP_1) | instid1(SALU_CYCLE_1)
	s_and_b32 s12, s14, s12
	s_delay_alu instid0(SALU_CYCLE_1) | instskip(NEXT) | instid1(SALU_CYCLE_1)
	s_xor_b32 s13, s12, -1
	s_and_saveexec_b32 s14, s13
	s_delay_alu instid0(SALU_CYCLE_1)
	s_xor_b32 s13, exec_lo, s14
	s_cbranch_execz .LBB82_140
; %bb.139:
	v_add_nc_u32_e32 v21, v5, v20
	ds_load_u8 v21, v21 offset:1
.LBB82_140:
	s_or_saveexec_b32 s13, s13
	v_mov_b32_e32 v22, v18
	s_xor_b32 exec_lo, exec_lo, s13
	s_cbranch_execz .LBB82_142
; %bb.141:
	s_waitcnt lgkmcnt(0)
	v_add_nc_u32_e32 v21, v5, v19
	ds_load_u8 v22, v21 offset:1
	v_mov_b32_e32 v21, v17
.LBB82_142:
	s_or_b32 exec_lo, exec_lo, s13
	v_add_nc_u32_e32 v23, 1, v20
	v_add_nc_u32_e32 v24, 1, v19
	s_waitcnt lgkmcnt(0)
	v_bfe_i32 v25, v21, 0, 8
	s_delay_alu instid0(VALU_DEP_3) | instskip(SKIP_2) | instid1(VALU_DEP_3)
	v_cndmask_b32_e64 v23, v23, v20, s12
	v_bfe_i32 v20, v22, 0, 8
	v_cndmask_b32_e64 v24, v19, v24, s12
                                        ; implicit-def: $vgpr19
	v_cmp_ge_i32_e64 s13, v23, v6
	s_delay_alu instid0(VALU_DEP_3) | instskip(NEXT) | instid1(VALU_DEP_3)
	v_cmp_lt_i16_e64 s14, v20, v25
	v_cmp_lt_i32_e64 s15, v24, v1
	s_delay_alu instid0(VALU_DEP_2)
	s_or_b32 s13, s13, s14
	s_delay_alu instid0(VALU_DEP_1) | instid1(SALU_CYCLE_1)
	s_and_b32 s13, s15, s13
	s_delay_alu instid0(SALU_CYCLE_1) | instskip(NEXT) | instid1(SALU_CYCLE_1)
	s_xor_b32 s14, s13, -1
	s_and_saveexec_b32 s15, s14
	s_delay_alu instid0(SALU_CYCLE_1)
	s_xor_b32 s14, exec_lo, s15
	s_cbranch_execz .LBB82_144
; %bb.143:
	v_add_nc_u32_e32 v19, v5, v23
	ds_load_u8 v19, v19 offset:1
.LBB82_144:
	s_or_saveexec_b32 s14, s14
	v_mov_b32_e32 v20, v22
	s_xor_b32 exec_lo, exec_lo, s14
	s_cbranch_execz .LBB82_146
; %bb.145:
	s_waitcnt lgkmcnt(0)
	v_add_nc_u32_e32 v19, v5, v24
	ds_load_u8 v20, v19 offset:1
	v_mov_b32_e32 v19, v21
.LBB82_146:
	s_or_b32 exec_lo, exec_lo, s14
	v_add_nc_u32_e32 v25, 1, v24
	v_add_nc_u32_e32 v26, 1, v23
	v_cndmask_b32_e64 v21, v21, v22, s13
	v_cndmask_b32_e64 v17, v17, v18, s12
	;; [unrolled: 1-line block ×5, first 2 shown]
	v_min_i32_e32 v11, 0, v4
	v_cndmask_b32_e64 v15, v15, v16, s11
	s_waitcnt lgkmcnt(0)
	v_bfe_i32 v16, v19, 0, 8
	v_bfe_i32 v23, v20, 0, 8
	v_cmp_ge_i32_e64 s9, v22, v6
	v_cndmask_b32_e64 v6, v9, v10, s8
	v_cndmask_b32_e64 v7, v7, v8, s7
	v_cmp_lt_i32_e64 s7, v18, v1
	v_add_nc_u32_e32 v1, 0x80, v11
	v_cndmask_b32_e64 v13, v13, v14, s10
	v_cmp_lt_i16_e64 s10, v23, v16
	v_lshlrev_b16 v8, 8, v6
	v_and_b32_e32 v7, 0xff, v7
	v_min_i32_e32 v6, v4, v1
	v_lshlrev_b16 v9, 8, v13
	s_or_b32 s8, s9, s10
	v_and_b32_e32 v1, 0xff, v12
	s_and_b32 s7, s7, s8
	v_or_b32_e32 v8, v7, v8
	v_cndmask_b32_e64 v10, v19, v20, s7
	v_add_nc_u32_e32 v7, 0x80, v6
	v_or_b32_e32 v9, v1, v9
	v_lshlrev_b16 v1, 8, v17
	v_and_b32_e32 v12, 0xff, v15
	v_and_b32_e32 v13, 0xf8, v3
	v_min_i32_e32 v7, v4, v7
	v_and_b32_e32 v14, 0xff, v21
	v_lshlrev_b16 v10, 8, v10
	v_or_b32_e32 v12, v12, v1
	v_min_i32_e32 v1, v4, v13
	v_sub_nc_u32_e32 v4, v7, v6
	v_and_b32_e32 v8, 0xffff, v8
	v_or_b32_e32 v10, v14, v10
	v_lshlrev_b32_e32 v9, 16, v9
	v_and_b32_e32 v12, 0xffff, v12
	v_sub_nc_u32_e32 v13, v1, v4
	v_sub_nc_u32_e32 v14, v6, v11
	v_lshlrev_b32_e32 v10, 16, v10
	v_cmp_ge_i32_e64 s7, v1, v4
	v_or_b32_e32 v9, v8, v9
	s_mov_b32 s9, 0
	v_min_i32_e32 v8, v1, v14
	v_or_b32_e32 v10, v12, v10
	v_cndmask_b32_e64 v4, 0, v13, s7
	s_mov_b32 s8, exec_lo
	; wave barrier
	ds_store_b64 v0, v[9:10]
	; wave barrier
	v_cmpx_lt_i32_e64 v4, v8
	s_cbranch_execz .LBB82_150
; %bb.147:
	v_add_nc_u32_e32 v0, v5, v11
	v_add3_u32 v9, v5, v6, v1
	.p2align	6
.LBB82_148:                             ; =>This Inner Loop Header: Depth=1
	v_sub_nc_u32_e32 v10, v8, v4
	s_delay_alu instid0(VALU_DEP_1) | instskip(NEXT) | instid1(VALU_DEP_1)
	v_lshrrev_b32_e32 v12, 31, v10
	v_add_nc_u32_e32 v10, v10, v12
	s_delay_alu instid0(VALU_DEP_1) | instskip(NEXT) | instid1(VALU_DEP_1)
	v_ashrrev_i32_e32 v10, 1, v10
	v_add_nc_u32_e32 v10, v10, v4
	s_delay_alu instid0(VALU_DEP_1)
	v_add_nc_u32_e32 v12, v0, v10
	v_xad_u32 v13, v10, -1, v9
	v_add_nc_u32_e32 v14, 1, v10
	ds_load_i8 v12, v12
	ds_load_i8 v13, v13
	s_waitcnt lgkmcnt(0)
	v_cmp_lt_i16_e64 s7, v13, v12
	s_delay_alu instid0(VALU_DEP_1) | instskip(SKIP_1) | instid1(VALU_DEP_1)
	v_cndmask_b32_e64 v8, v8, v10, s7
	v_cndmask_b32_e64 v4, v14, v4, s7
	v_cmp_ge_i32_e64 s7, v4, v8
	s_delay_alu instid0(VALU_DEP_1) | instskip(NEXT) | instid1(SALU_CYCLE_1)
	s_or_b32 s9, s7, s9
	s_and_not1_b32 exec_lo, exec_lo, s9
	s_cbranch_execnz .LBB82_148
; %bb.149:
	s_or_b32 exec_lo, exec_lo, s9
.LBB82_150:
	s_delay_alu instid0(SALU_CYCLE_1) | instskip(SKIP_2) | instid1(VALU_DEP_2)
	s_or_b32 exec_lo, exec_lo, s8
	v_add_nc_u32_e32 v0, v6, v1
	v_add_nc_u32_e32 v1, v4, v11
                                        ; implicit-def: $vgpr9
	v_sub_nc_u32_e32 v0, v0, v4
	s_delay_alu instid0(VALU_DEP_2) | instskip(SKIP_1) | instid1(VALU_DEP_3)
	v_add_nc_u32_e32 v10, v5, v1
	v_cmp_le_i32_e64 s7, v6, v1
	v_add_nc_u32_e32 v11, v5, v0
	v_cmp_gt_i32_e64 s9, v7, v0
	ds_load_u8 v4, v10
	ds_load_u8 v8, v11
	s_waitcnt lgkmcnt(1)
	v_bfe_i32 v4, v4, 0, 8
	s_waitcnt lgkmcnt(0)
	v_bfe_i32 v8, v8, 0, 8
	s_delay_alu instid0(VALU_DEP_1) | instskip(NEXT) | instid1(VALU_DEP_1)
	v_cmp_lt_i16_e64 s8, v8, v4
	s_or_b32 s7, s7, s8
	s_delay_alu instid0(SALU_CYCLE_1) | instskip(NEXT) | instid1(SALU_CYCLE_1)
	s_and_b32 s7, s9, s7
	s_xor_b32 s8, s7, -1
	s_delay_alu instid0(SALU_CYCLE_1) | instskip(NEXT) | instid1(SALU_CYCLE_1)
	s_and_saveexec_b32 s9, s8
	s_xor_b32 s8, exec_lo, s9
	s_cbranch_execz .LBB82_152
; %bb.151:
	ds_load_u8 v9, v10 offset:1
                                        ; implicit-def: $vgpr11
.LBB82_152:
	s_or_saveexec_b32 s8, s8
	v_mov_b32_e32 v10, v8
	s_xor_b32 exec_lo, exec_lo, s8
	s_cbranch_execz .LBB82_154
; %bb.153:
	ds_load_u8 v10, v11 offset:1
	s_waitcnt lgkmcnt(1)
	v_mov_b32_e32 v9, v4
.LBB82_154:
	s_or_b32 exec_lo, exec_lo, s8
	v_add_nc_u32_e32 v11, 1, v1
	v_add_nc_u32_e32 v12, 1, v0
	s_waitcnt lgkmcnt(0)
	v_bfe_i32 v13, v9, 0, 8
	s_delay_alu instid0(VALU_DEP_3) | instskip(SKIP_2) | instid1(VALU_DEP_3)
	v_cndmask_b32_e64 v1, v11, v1, s7
	v_bfe_i32 v11, v10, 0, 8
	v_cndmask_b32_e64 v0, v0, v12, s7
	v_cmp_ge_i32_e64 s8, v1, v6
	s_delay_alu instid0(VALU_DEP_3) | instskip(NEXT) | instid1(VALU_DEP_3)
	v_cmp_lt_i16_e64 s9, v11, v13
	v_cmp_lt_i32_e64 s10, v0, v7
                                        ; implicit-def: $vgpr11
	s_delay_alu instid0(VALU_DEP_2)
	s_or_b32 s8, s8, s9
	s_delay_alu instid0(VALU_DEP_1) | instid1(SALU_CYCLE_1)
	s_and_b32 s8, s10, s8
	s_delay_alu instid0(SALU_CYCLE_1) | instskip(NEXT) | instid1(SALU_CYCLE_1)
	s_xor_b32 s9, s8, -1
	s_and_saveexec_b32 s10, s9
	s_delay_alu instid0(SALU_CYCLE_1)
	s_xor_b32 s9, exec_lo, s10
	s_cbranch_execz .LBB82_156
; %bb.155:
	v_add_nc_u32_e32 v11, v5, v1
	ds_load_u8 v11, v11 offset:1
.LBB82_156:
	s_or_saveexec_b32 s9, s9
	v_mov_b32_e32 v12, v10
	s_xor_b32 exec_lo, exec_lo, s9
	s_cbranch_execz .LBB82_158
; %bb.157:
	s_waitcnt lgkmcnt(0)
	v_add_nc_u32_e32 v11, v5, v0
	ds_load_u8 v12, v11 offset:1
	v_mov_b32_e32 v11, v9
.LBB82_158:
	s_or_b32 exec_lo, exec_lo, s9
	v_add_nc_u32_e32 v13, 1, v1
	v_add_nc_u32_e32 v14, 1, v0
	s_waitcnt lgkmcnt(0)
	v_bfe_i32 v15, v11, 0, 8
	s_delay_alu instid0(VALU_DEP_3) | instskip(SKIP_2) | instid1(VALU_DEP_3)
	v_cndmask_b32_e64 v1, v13, v1, s8
	v_bfe_i32 v13, v12, 0, 8
	v_cndmask_b32_e64 v0, v0, v14, s8
	v_cmp_ge_i32_e64 s9, v1, v6
	s_delay_alu instid0(VALU_DEP_3) | instskip(NEXT) | instid1(VALU_DEP_3)
	v_cmp_lt_i16_e64 s10, v13, v15
	v_cmp_lt_i32_e64 s11, v0, v7
                                        ; implicit-def: $vgpr13
	s_delay_alu instid0(VALU_DEP_2)
	s_or_b32 s9, s9, s10
	s_delay_alu instid0(VALU_DEP_1) | instid1(SALU_CYCLE_1)
	s_and_b32 s9, s11, s9
	s_delay_alu instid0(SALU_CYCLE_1) | instskip(NEXT) | instid1(SALU_CYCLE_1)
	s_xor_b32 s10, s9, -1
	s_and_saveexec_b32 s11, s10
	s_delay_alu instid0(SALU_CYCLE_1)
	s_xor_b32 s10, exec_lo, s11
	s_cbranch_execz .LBB82_160
; %bb.159:
	v_add_nc_u32_e32 v13, v5, v1
	ds_load_u8 v13, v13 offset:1
.LBB82_160:
	s_or_saveexec_b32 s10, s10
	v_mov_b32_e32 v14, v12
	s_xor_b32 exec_lo, exec_lo, s10
	s_cbranch_execz .LBB82_162
; %bb.161:
	s_waitcnt lgkmcnt(0)
	v_add_nc_u32_e32 v13, v5, v0
	ds_load_u8 v14, v13 offset:1
	v_mov_b32_e32 v13, v11
.LBB82_162:
	s_or_b32 exec_lo, exec_lo, s10
	v_add_nc_u32_e32 v15, 1, v1
	v_add_nc_u32_e32 v16, 1, v0
	s_waitcnt lgkmcnt(0)
	v_bfe_i32 v17, v13, 0, 8
	s_delay_alu instid0(VALU_DEP_3) | instskip(SKIP_2) | instid1(VALU_DEP_3)
	v_cndmask_b32_e64 v1, v15, v1, s9
	v_bfe_i32 v15, v14, 0, 8
	v_cndmask_b32_e64 v0, v0, v16, s9
	v_cmp_ge_i32_e64 s10, v1, v6
	s_delay_alu instid0(VALU_DEP_3) | instskip(NEXT) | instid1(VALU_DEP_3)
	v_cmp_lt_i16_e64 s11, v15, v17
	v_cmp_lt_i32_e64 s12, v0, v7
                                        ; implicit-def: $vgpr15
	s_delay_alu instid0(VALU_DEP_2)
	s_or_b32 s10, s10, s11
	s_delay_alu instid0(VALU_DEP_1) | instid1(SALU_CYCLE_1)
	s_and_b32 s10, s12, s10
	s_delay_alu instid0(SALU_CYCLE_1) | instskip(NEXT) | instid1(SALU_CYCLE_1)
	s_xor_b32 s11, s10, -1
	s_and_saveexec_b32 s12, s11
	s_delay_alu instid0(SALU_CYCLE_1)
	s_xor_b32 s11, exec_lo, s12
	s_cbranch_execz .LBB82_164
; %bb.163:
	v_add_nc_u32_e32 v15, v5, v1
	ds_load_u8 v15, v15 offset:1
.LBB82_164:
	s_or_saveexec_b32 s11, s11
	v_mov_b32_e32 v16, v14
	s_xor_b32 exec_lo, exec_lo, s11
	s_cbranch_execz .LBB82_166
; %bb.165:
	s_waitcnt lgkmcnt(0)
	v_add_nc_u32_e32 v15, v5, v0
	ds_load_u8 v16, v15 offset:1
	v_mov_b32_e32 v15, v13
.LBB82_166:
	s_or_b32 exec_lo, exec_lo, s11
	v_add_nc_u32_e32 v17, 1, v1
	v_add_nc_u32_e32 v18, 1, v0
	s_waitcnt lgkmcnt(0)
	v_bfe_i32 v19, v15, 0, 8
	s_delay_alu instid0(VALU_DEP_3) | instskip(SKIP_2) | instid1(VALU_DEP_3)
	v_cndmask_b32_e64 v1, v17, v1, s10
	v_bfe_i32 v17, v16, 0, 8
	v_cndmask_b32_e64 v0, v0, v18, s10
	v_cmp_ge_i32_e64 s11, v1, v6
	s_delay_alu instid0(VALU_DEP_3) | instskip(NEXT) | instid1(VALU_DEP_3)
	v_cmp_lt_i16_e64 s12, v17, v19
	v_cmp_lt_i32_e64 s13, v0, v7
                                        ; implicit-def: $vgpr17
	s_delay_alu instid0(VALU_DEP_2)
	s_or_b32 s11, s11, s12
	s_delay_alu instid0(VALU_DEP_1) | instid1(SALU_CYCLE_1)
	s_and_b32 s11, s13, s11
	s_delay_alu instid0(SALU_CYCLE_1) | instskip(NEXT) | instid1(SALU_CYCLE_1)
	s_xor_b32 s12, s11, -1
	s_and_saveexec_b32 s13, s12
	s_delay_alu instid0(SALU_CYCLE_1)
	s_xor_b32 s12, exec_lo, s13
	s_cbranch_execz .LBB82_168
; %bb.167:
	v_add_nc_u32_e32 v17, v5, v1
	ds_load_u8 v17, v17 offset:1
.LBB82_168:
	s_or_saveexec_b32 s12, s12
	v_mov_b32_e32 v18, v16
	s_xor_b32 exec_lo, exec_lo, s12
	s_cbranch_execz .LBB82_170
; %bb.169:
	s_waitcnt lgkmcnt(0)
	v_add_nc_u32_e32 v17, v5, v0
	ds_load_u8 v18, v17 offset:1
	v_mov_b32_e32 v17, v15
.LBB82_170:
	s_or_b32 exec_lo, exec_lo, s12
	v_add_nc_u32_e32 v19, 1, v1
	v_add_nc_u32_e32 v20, 1, v0
	s_waitcnt lgkmcnt(0)
	v_bfe_i32 v21, v17, 0, 8
	s_delay_alu instid0(VALU_DEP_3) | instskip(SKIP_2) | instid1(VALU_DEP_3)
	v_cndmask_b32_e64 v1, v19, v1, s11
	v_bfe_i32 v19, v18, 0, 8
	v_cndmask_b32_e64 v0, v0, v20, s11
	v_cmp_ge_i32_e64 s12, v1, v6
	s_delay_alu instid0(VALU_DEP_3) | instskip(NEXT) | instid1(VALU_DEP_3)
	v_cmp_lt_i16_e64 s13, v19, v21
	v_cmp_lt_i32_e64 s14, v0, v7
                                        ; implicit-def: $vgpr19
	s_delay_alu instid0(VALU_DEP_2)
	s_or_b32 s12, s12, s13
	s_delay_alu instid0(VALU_DEP_1) | instid1(SALU_CYCLE_1)
	s_and_b32 s12, s14, s12
	s_delay_alu instid0(SALU_CYCLE_1) | instskip(NEXT) | instid1(SALU_CYCLE_1)
	s_xor_b32 s13, s12, -1
	s_and_saveexec_b32 s14, s13
	s_delay_alu instid0(SALU_CYCLE_1)
	s_xor_b32 s13, exec_lo, s14
	s_cbranch_execz .LBB82_172
; %bb.171:
	v_add_nc_u32_e32 v19, v5, v1
	ds_load_u8 v19, v19 offset:1
.LBB82_172:
	s_or_saveexec_b32 s13, s13
	v_mov_b32_e32 v20, v18
	s_xor_b32 exec_lo, exec_lo, s13
	s_cbranch_execz .LBB82_174
; %bb.173:
	s_waitcnt lgkmcnt(0)
	v_add_nc_u32_e32 v19, v5, v0
	ds_load_u8 v20, v19 offset:1
	v_mov_b32_e32 v19, v17
.LBB82_174:
	s_or_b32 exec_lo, exec_lo, s13
	v_add_nc_u32_e32 v21, 1, v1
	v_add_nc_u32_e32 v22, 1, v0
	s_waitcnt lgkmcnt(0)
	v_bfe_i32 v23, v19, 0, 8
	v_bfe_i32 v24, v20, 0, 8
	v_cndmask_b32_e64 v1, v21, v1, s12
	v_cndmask_b32_e64 v21, v0, v22, s12
                                        ; implicit-def: $vgpr22
	s_delay_alu instid0(VALU_DEP_3) | instskip(NEXT) | instid1(VALU_DEP_3)
	v_cmp_lt_i16_e64 s14, v24, v23
                                        ; implicit-def: $vgpr23
	v_cmp_ge_i32_e64 s13, v1, v6
	s_delay_alu instid0(VALU_DEP_3) | instskip(NEXT) | instid1(VALU_DEP_2)
	v_cmp_lt_i32_e64 s15, v21, v7
	s_or_b32 s13, s13, s14
	s_delay_alu instid0(VALU_DEP_1) | instid1(SALU_CYCLE_1)
	s_and_b32 s13, s15, s13
	s_delay_alu instid0(SALU_CYCLE_1) | instskip(NEXT) | instid1(SALU_CYCLE_1)
	s_xor_b32 s14, s13, -1
	s_and_saveexec_b32 s15, s14
	s_delay_alu instid0(SALU_CYCLE_1)
	s_xor_b32 s14, exec_lo, s15
	s_cbranch_execz .LBB82_176
; %bb.175:
	v_add_nc_u32_e32 v0, v5, v1
	v_add_nc_u32_e32 v23, 1, v1
                                        ; implicit-def: $vgpr1
                                        ; implicit-def: $vgpr5
	ds_load_u8 v22, v0 offset:1
.LBB82_176:
	s_or_saveexec_b32 s14, s14
	v_mov_b32_e32 v24, v20
	s_xor_b32 exec_lo, exec_lo, s14
	s_cbranch_execz .LBB82_178
; %bb.177:
	v_add_nc_u32_e32 v0, v5, v21
	s_waitcnt lgkmcnt(0)
	v_dual_mov_b32 v22, v19 :: v_dual_add_nc_u32 v21, 1, v21
	v_mov_b32_e32 v23, v1
	ds_load_u8 v24, v0 offset:1
.LBB82_178:
	s_or_b32 exec_lo, exec_lo, s14
	v_add_co_u32 v0, s14, s18, v2
	s_delay_alu instid0(VALU_DEP_1) | instskip(NEXT) | instid1(VALU_DEP_2)
	v_add_co_ci_u32_e64 v1, null, s19, 0, s14
	v_add_co_u32 v0, s14, v0, v3
	s_delay_alu instid0(VALU_DEP_1)
	v_add_co_ci_u32_e64 v1, s14, 0, v1, s14
	s_and_saveexec_b32 s14, vcc_lo
	s_cbranch_execnz .LBB82_187
; %bb.179:
	s_or_b32 exec_lo, exec_lo, s14
	s_and_saveexec_b32 s7, s0
	s_cbranch_execnz .LBB82_188
.LBB82_180:
	s_or_b32 exec_lo, exec_lo, s7
	s_and_saveexec_b32 s0, s1
	s_cbranch_execnz .LBB82_189
.LBB82_181:
	s_or_b32 exec_lo, exec_lo, s0
	s_and_saveexec_b32 s0, s2
	s_cbranch_execnz .LBB82_190
.LBB82_182:
	s_or_b32 exec_lo, exec_lo, s0
	s_and_saveexec_b32 s0, s3
	s_cbranch_execnz .LBB82_191
.LBB82_183:
	s_or_b32 exec_lo, exec_lo, s0
	s_and_saveexec_b32 s0, s4
	s_cbranch_execnz .LBB82_192
.LBB82_184:
	s_or_b32 exec_lo, exec_lo, s0
	s_and_saveexec_b32 s0, s5
	s_cbranch_execnz .LBB82_193
.LBB82_185:
	s_or_b32 exec_lo, exec_lo, s0
	s_and_saveexec_b32 s0, s6
	s_cbranch_execnz .LBB82_194
.LBB82_186:
	s_nop 0
	s_sendmsg sendmsg(MSG_DEALLOC_VGPRS)
	s_endpgm
.LBB82_187:
	v_cndmask_b32_e64 v2, v4, v8, s7
	global_store_b8 v[0:1], v2, off
	s_or_b32 exec_lo, exec_lo, s14
	s_and_saveexec_b32 s7, s0
	s_cbranch_execz .LBB82_180
.LBB82_188:
	v_cndmask_b32_e64 v2, v9, v10, s8
	global_store_b8 v[0:1], v2, off offset:1
	s_or_b32 exec_lo, exec_lo, s7
	s_and_saveexec_b32 s0, s1
	s_cbranch_execz .LBB82_181
.LBB82_189:
	v_cndmask_b32_e64 v2, v11, v12, s9
	global_store_b8 v[0:1], v2, off offset:2
	s_or_b32 exec_lo, exec_lo, s0
	s_and_saveexec_b32 s0, s2
	s_cbranch_execz .LBB82_182
.LBB82_190:
	v_cndmask_b32_e64 v2, v13, v14, s10
	global_store_b8 v[0:1], v2, off offset:3
	s_or_b32 exec_lo, exec_lo, s0
	s_and_saveexec_b32 s0, s3
	s_cbranch_execz .LBB82_183
.LBB82_191:
	v_cndmask_b32_e64 v2, v15, v16, s11
	global_store_b8 v[0:1], v2, off offset:4
	s_or_b32 exec_lo, exec_lo, s0
	s_and_saveexec_b32 s0, s4
	s_cbranch_execz .LBB82_184
.LBB82_192:
	v_cndmask_b32_e64 v2, v17, v18, s12
	global_store_b8 v[0:1], v2, off offset:5
	s_or_b32 exec_lo, exec_lo, s0
	s_and_saveexec_b32 s0, s5
	s_cbranch_execz .LBB82_185
.LBB82_193:
	v_cndmask_b32_e64 v2, v19, v20, s13
	global_store_b8 v[0:1], v2, off offset:6
	s_or_b32 exec_lo, exec_lo, s0
	s_and_saveexec_b32 s0, s6
	s_cbranch_execz .LBB82_186
.LBB82_194:
	s_waitcnt lgkmcnt(0)
	v_bfe_i32 v2, v22, 0, 8
	v_bfe_i32 v3, v24, 0, 8
	v_cmp_ge_i32_e32 vcc_lo, v23, v6
	v_cmp_lt_i32_e64 s1, v21, v7
	s_delay_alu instid0(VALU_DEP_3) | instskip(NEXT) | instid1(VALU_DEP_1)
	v_cmp_lt_i16_e64 s0, v3, v2
	s_or_b32 s0, vcc_lo, s0
	s_delay_alu instid0(VALU_DEP_2) | instid1(SALU_CYCLE_1)
	s_and_b32 vcc_lo, s1, s0
	v_cndmask_b32_e32 v2, v22, v24, vcc_lo
	global_store_b8 v[0:1], v2, off offset:7
	s_nop 0
	s_sendmsg sendmsg(MSG_DEALLOC_VGPRS)
	s_endpgm
	.section	.rodata,"a",@progbits
	.p2align	6, 0x0
	.amdhsa_kernel _Z19sort_keys_segmentedILj256ELj32ELj8EaN10test_utils4lessEEvPKT2_PS2_PKjT3_
		.amdhsa_group_segment_fixed_size 2056
		.amdhsa_private_segment_fixed_size 0
		.amdhsa_kernarg_size 28
		.amdhsa_user_sgpr_count 15
		.amdhsa_user_sgpr_dispatch_ptr 0
		.amdhsa_user_sgpr_queue_ptr 0
		.amdhsa_user_sgpr_kernarg_segment_ptr 1
		.amdhsa_user_sgpr_dispatch_id 0
		.amdhsa_user_sgpr_private_segment_size 0
		.amdhsa_wavefront_size32 1
		.amdhsa_uses_dynamic_stack 0
		.amdhsa_enable_private_segment 0
		.amdhsa_system_sgpr_workgroup_id_x 1
		.amdhsa_system_sgpr_workgroup_id_y 0
		.amdhsa_system_sgpr_workgroup_id_z 0
		.amdhsa_system_sgpr_workgroup_info 0
		.amdhsa_system_vgpr_workitem_id 0
		.amdhsa_next_free_vgpr 32
		.amdhsa_next_free_sgpr 20
		.amdhsa_reserve_vcc 1
		.amdhsa_float_round_mode_32 0
		.amdhsa_float_round_mode_16_64 0
		.amdhsa_float_denorm_mode_32 3
		.amdhsa_float_denorm_mode_16_64 3
		.amdhsa_dx10_clamp 1
		.amdhsa_ieee_mode 1
		.amdhsa_fp16_overflow 0
		.amdhsa_workgroup_processor_mode 1
		.amdhsa_memory_ordered 1
		.amdhsa_forward_progress 0
		.amdhsa_shared_vgpr_count 0
		.amdhsa_exception_fp_ieee_invalid_op 0
		.amdhsa_exception_fp_denorm_src 0
		.amdhsa_exception_fp_ieee_div_zero 0
		.amdhsa_exception_fp_ieee_overflow 0
		.amdhsa_exception_fp_ieee_underflow 0
		.amdhsa_exception_fp_ieee_inexact 0
		.amdhsa_exception_int_div_zero 0
	.end_amdhsa_kernel
	.section	.text._Z19sort_keys_segmentedILj256ELj32ELj8EaN10test_utils4lessEEvPKT2_PS2_PKjT3_,"axG",@progbits,_Z19sort_keys_segmentedILj256ELj32ELj8EaN10test_utils4lessEEvPKT2_PS2_PKjT3_,comdat
.Lfunc_end82:
	.size	_Z19sort_keys_segmentedILj256ELj32ELj8EaN10test_utils4lessEEvPKT2_PS2_PKjT3_, .Lfunc_end82-_Z19sort_keys_segmentedILj256ELj32ELj8EaN10test_utils4lessEEvPKT2_PS2_PKjT3_
                                        ; -- End function
	.section	.AMDGPU.csdata,"",@progbits
; Kernel info:
; codeLenInByte = 11908
; NumSgprs: 22
; NumVgprs: 32
; ScratchSize: 0
; MemoryBound: 0
; FloatMode: 240
; IeeeMode: 1
; LDSByteSize: 2056 bytes/workgroup (compile time only)
; SGPRBlocks: 2
; VGPRBlocks: 3
; NumSGPRsForWavesPerEU: 22
; NumVGPRsForWavesPerEU: 32
; Occupancy: 16
; WaveLimiterHint : 0
; COMPUTE_PGM_RSRC2:SCRATCH_EN: 0
; COMPUTE_PGM_RSRC2:USER_SGPR: 15
; COMPUTE_PGM_RSRC2:TRAP_HANDLER: 0
; COMPUTE_PGM_RSRC2:TGID_X_EN: 1
; COMPUTE_PGM_RSRC2:TGID_Y_EN: 0
; COMPUTE_PGM_RSRC2:TGID_Z_EN: 0
; COMPUTE_PGM_RSRC2:TIDIG_COMP_CNT: 0
	.section	.text._Z20sort_pairs_segmentedILj256ELj32ELj8EaN10test_utils4lessEEvPKT2_PS2_PKjT3_,"axG",@progbits,_Z20sort_pairs_segmentedILj256ELj32ELj8EaN10test_utils4lessEEvPKT2_PS2_PKjT3_,comdat
	.protected	_Z20sort_pairs_segmentedILj256ELj32ELj8EaN10test_utils4lessEEvPKT2_PS2_PKjT3_ ; -- Begin function _Z20sort_pairs_segmentedILj256ELj32ELj8EaN10test_utils4lessEEvPKT2_PS2_PKjT3_
	.globl	_Z20sort_pairs_segmentedILj256ELj32ELj8EaN10test_utils4lessEEvPKT2_PS2_PKjT3_
	.p2align	8
	.type	_Z20sort_pairs_segmentedILj256ELj32ELj8EaN10test_utils4lessEEvPKT2_PS2_PKjT3_,@function
_Z20sort_pairs_segmentedILj256ELj32ELj8EaN10test_utils4lessEEvPKT2_PS2_PKjT3_: ; @_Z20sort_pairs_segmentedILj256ELj32ELj8EaN10test_utils4lessEEvPKT2_PS2_PKjT3_
; %bb.0:
	s_clause 0x1
	s_load_b64 s[2:3], s[0:1], 0x10
	s_load_b128 s[16:19], s[0:1], 0x0
	v_lshrrev_b32_e32 v7, 5, v0
	v_mov_b32_e32 v1, 0
	s_delay_alu instid0(VALU_DEP_2) | instskip(NEXT) | instid1(VALU_DEP_1)
	v_lshl_or_b32 v0, s15, 3, v7
	v_lshlrev_b64 v[1:2], 2, v[0:1]
	v_lshlrev_b32_e32 v5, 8, v0
	s_waitcnt lgkmcnt(0)
	s_delay_alu instid0(VALU_DEP_2) | instskip(NEXT) | instid1(VALU_DEP_3)
	v_add_co_u32 v1, vcc_lo, s2, v1
	v_add_co_ci_u32_e32 v2, vcc_lo, s3, v2, vcc_lo
	s_delay_alu instid0(VALU_DEP_3) | instskip(SKIP_2) | instid1(VALU_DEP_1)
	v_add_co_u32 v0, s0, s16, v5
	global_load_b32 v6, v[1:2], off
	v_mbcnt_lo_u32_b32 v1, -1, 0
                                        ; implicit-def: $vgpr2
	v_lshlrev_b32_e32 v4, 3, v1
	v_add_co_ci_u32_e64 v1, null, s17, 0, s0
	s_delay_alu instid0(VALU_DEP_2) | instskip(NEXT) | instid1(VALU_DEP_2)
	v_add_co_u32 v0, vcc_lo, v0, v4
	v_add_co_ci_u32_e32 v1, vcc_lo, 0, v1, vcc_lo
	s_waitcnt vmcnt(0)
	v_cmp_lt_u32_e32 vcc_lo, v4, v6
	s_and_saveexec_b32 s0, vcc_lo
	s_cbranch_execz .LBB83_2
; %bb.1:
	global_load_u8 v2, v[0:1], off
.LBB83_2:
	s_or_b32 exec_lo, exec_lo, s0
	v_or_b32_e32 v10, 1, v4
                                        ; implicit-def: $vgpr15
	s_delay_alu instid0(VALU_DEP_1) | instskip(NEXT) | instid1(VALU_DEP_1)
	v_cmp_lt_u32_e64 s0, v10, v6
	s_and_saveexec_b32 s1, s0
	s_cbranch_execz .LBB83_4
; %bb.3:
	global_load_u8 v15, v[0:1], off offset:1
.LBB83_4:
	s_or_b32 exec_lo, exec_lo, s1
	v_or_b32_e32 v8, 2, v4
                                        ; implicit-def: $vgpr3
	s_delay_alu instid0(VALU_DEP_1) | instskip(NEXT) | instid1(VALU_DEP_1)
	v_cmp_lt_u32_e64 s1, v8, v6
	s_and_saveexec_b32 s2, s1
	s_cbranch_execz .LBB83_6
; %bb.5:
	global_load_u8 v3, v[0:1], off offset:2
.LBB83_6:
	s_or_b32 exec_lo, exec_lo, s2
	v_or_b32_e32 v9, 3, v4
                                        ; implicit-def: $vgpr18
	s_delay_alu instid0(VALU_DEP_1) | instskip(NEXT) | instid1(VALU_DEP_1)
	v_cmp_lt_u32_e64 s2, v9, v6
	s_and_saveexec_b32 s3, s2
	s_cbranch_execz .LBB83_8
; %bb.7:
	global_load_u8 v18, v[0:1], off offset:3
.LBB83_8:
	s_or_b32 exec_lo, exec_lo, s3
	v_or_b32_e32 v11, 4, v4
                                        ; implicit-def: $vgpr12
	s_delay_alu instid0(VALU_DEP_1) | instskip(NEXT) | instid1(VALU_DEP_1)
	v_cmp_lt_u32_e64 s3, v11, v6
	s_and_saveexec_b32 s4, s3
	s_cbranch_execz .LBB83_10
; %bb.9:
	global_load_u8 v12, v[0:1], off offset:4
.LBB83_10:
	s_or_b32 exec_lo, exec_lo, s4
	v_or_b32_e32 v13, 5, v4
                                        ; implicit-def: $vgpr19
	s_delay_alu instid0(VALU_DEP_1) | instskip(NEXT) | instid1(VALU_DEP_1)
	v_cmp_lt_u32_e64 s4, v13, v6
	s_and_saveexec_b32 s5, s4
	s_cbranch_execz .LBB83_12
; %bb.11:
	global_load_u8 v19, v[0:1], off offset:5
.LBB83_12:
	s_or_b32 exec_lo, exec_lo, s5
	v_or_b32_e32 v14, 6, v4
                                        ; implicit-def: $vgpr17
	s_delay_alu instid0(VALU_DEP_1) | instskip(NEXT) | instid1(VALU_DEP_1)
	v_cmp_lt_u32_e64 s5, v14, v6
	s_and_saveexec_b32 s6, s5
	s_cbranch_execz .LBB83_14
; %bb.13:
	global_load_u8 v17, v[0:1], off offset:6
.LBB83_14:
	s_or_b32 exec_lo, exec_lo, s6
	v_or_b32_e32 v16, 7, v4
                                        ; implicit-def: $vgpr20
	s_delay_alu instid0(VALU_DEP_1) | instskip(NEXT) | instid1(VALU_DEP_1)
	v_cmp_lt_u32_e64 s6, v16, v6
	s_and_saveexec_b32 s7, s6
	s_cbranch_execz .LBB83_16
; %bb.15:
	global_load_u8 v20, v[0:1], off offset:7
.LBB83_16:
	s_or_b32 exec_lo, exec_lo, s7
	s_waitcnt vmcnt(0)
	v_and_b32_e32 v0, 0xff, v2
	v_lshlrev_b16 v1, 8, v15
	v_and_b32_e32 v15, 0xff, v3
	v_lshlrev_b16 v18, 8, v18
	v_cmp_lt_i32_e64 s7, v10, v6
	v_lshlrev_b16 v19, 8, v19
	v_or_b32_e32 v21, v0, v1
	v_or_b32_e32 v0, 0x7f00, v0
	v_or_b32_e32 v15, v15, v18
	v_and_b32_e32 v22, 0xff, v17
	v_lshlrev_b16 v20, 8, v20
	v_and_b32_e32 v21, 0xffff, v21
	v_and_b32_e32 v0, 0xffff, v0
	v_lshlrev_b32_e32 v15, 16, v15
	v_cmp_lt_i32_e64 s8, v9, v6
	v_or_b32_e32 v22, v22, v20
	v_add_nc_u16 v2, v2, 1
	v_add_nc_u16 v3, v3, 1
	v_or_b32_e32 v21, v21, v15
	v_or_b32_e32 v0, v0, v15
	v_and_b32_e32 v15, 0xff, v12
	v_add_nc_u16 v12, v12, 1
	v_and_b32_e32 v2, 0xff, v2
	v_and_b32_e32 v3, 0xff, v3
	v_cndmask_b32_e64 v0, v0, v21, s7
	v_or_b32_e32 v15, v15, v19
	v_cmp_lt_i32_e64 s7, v8, v6
	v_perm_b32 v12, v12, 0, 0x3020104
	v_or_b32_e32 v1, v1, v2
	v_lshrrev_b32_e32 v10, 16, v0
	v_and_b32_e32 v23, 0xffffff00, v15
	v_and_b32_e32 v2, 0xffff, v2
	v_cndmask_b32_e64 v12, 0, v12, s3
	v_add_nc_u16 v1, v1, 0x100
	v_and_b32_e32 v10, 0xffffff00, v10
	v_lshlrev_b32_e32 v3, 16, v3
	s_mov_b32 s9, exec_lo
	s_delay_alu instid0(VALU_DEP_3) | instskip(NEXT) | instid1(VALU_DEP_3)
	v_and_b32_e32 v1, 0xffff, v1
	v_or_b32_e32 v10, 0x7f, v10
	s_delay_alu instid0(VALU_DEP_2) | instskip(NEXT) | instid1(VALU_DEP_2)
	v_cndmask_b32_e64 v1, v2, v1, s0
	v_lshlrev_b32_e32 v10, 16, v10
	s_delay_alu instid0(VALU_DEP_2) | instskip(NEXT) | instid1(VALU_DEP_2)
	v_or_b32_e32 v3, v1, v3
	v_and_or_b32 v0, 0xffff, v0, v10
	v_and_b32_e32 v10, 0xffff, v15
	v_lshlrev_b32_e32 v15, 16, v22
	v_or_b32_e32 v22, 0x7f, v23
	v_cndmask_b32_e64 v1, v1, v3, s1
	v_cndmask_b32_e64 v0, v0, v21, s7
	v_cmp_lt_i32_e64 s7, v11, v6
	v_or_b32_e32 v8, v10, v15
	v_and_b32_e32 v10, 0xffff, v22
	s_delay_alu instid0(VALU_DEP_4) | instskip(NEXT) | instid1(VALU_DEP_2)
	v_lshrrev_b32_e32 v15, 16, v0
	v_and_or_b32 v10, 0xffff0000, v8, v10
	s_delay_alu instid0(VALU_DEP_2) | instskip(NEXT) | instid1(VALU_DEP_2)
	v_and_b32_e32 v15, 0xff, v15
	v_cndmask_b32_e64 v10, v10, v8, s7
	s_delay_alu instid0(VALU_DEP_2) | instskip(NEXT) | instid1(VALU_DEP_2)
	v_or_b32_e32 v11, 0x7f00, v15
	v_and_b32_e32 v15, 0xff, v10
	s_delay_alu instid0(VALU_DEP_2) | instskip(NEXT) | instid1(VALU_DEP_2)
	v_lshlrev_b32_e32 v11, 16, v11
	v_or_b32_e32 v15, 0x7f00, v15
	s_delay_alu instid0(VALU_DEP_2) | instskip(SKIP_1) | instid1(VALU_DEP_3)
	v_and_or_b32 v0, 0xffff, v0, v11
	v_and_b32_e32 v11, 0xff, v12
	v_and_b32_e32 v15, 0xffff, v15
	s_delay_alu instid0(VALU_DEP_3) | instskip(NEXT) | instid1(VALU_DEP_3)
	v_cndmask_b32_e64 v0, v0, v21, s8
	v_or_b32_e32 v9, v19, v11
	s_delay_alu instid0(VALU_DEP_3) | instskip(NEXT) | instid1(VALU_DEP_3)
	v_and_or_b32 v10, 0xffff0000, v10, v15
	v_cndmask_b32_e64 v0, v0, v21, s7
	v_cmp_lt_i32_e64 s7, v13, v6
	s_delay_alu instid0(VALU_DEP_4) | instskip(SKIP_1) | instid1(VALU_DEP_3)
	v_add_nc_u16 v9, v9, 0x100
	v_add_nc_u16 v13, v17, 1
	v_cndmask_b32_e64 v10, v10, v8, s7
	s_delay_alu instid0(VALU_DEP_3) | instskip(SKIP_2) | instid1(VALU_DEP_4)
	v_and_b32_e32 v9, 0xffff, v9
	v_cndmask_b32_e64 v0, v0, v21, s7
	v_cmp_lt_i32_e64 s7, v14, v6
	v_lshrrev_b32_e32 v11, 16, v10
	s_delay_alu instid0(VALU_DEP_4) | instskip(NEXT) | instid1(VALU_DEP_2)
	v_and_or_b32 v9, 0xffff0000, v12, v9
	v_and_b32_e32 v11, 0xffffff00, v11
	s_delay_alu instid0(VALU_DEP_2) | instskip(NEXT) | instid1(VALU_DEP_2)
	v_cndmask_b32_e64 v2, v12, v9, s4
	v_or_b32_e32 v9, 0x7f, v11
	s_delay_alu instid0(VALU_DEP_2) | instskip(NEXT) | instid1(VALU_DEP_2)
	v_perm_b32 v11, v2, v13, 0x7000504
	v_lshlrev_b32_e32 v9, 16, v9
	s_delay_alu instid0(VALU_DEP_2) | instskip(SKIP_1) | instid1(VALU_DEP_3)
	v_cndmask_b32_e64 v2, v2, v11, s5
	v_cndmask_b32_e64 v11, v0, v21, s7
	v_and_or_b32 v3, 0xffff, v10, v9
	v_lshrrev_b32_e32 v9, 16, v1
	s_delay_alu instid0(VALU_DEP_4) | instskip(NEXT) | instid1(VALU_DEP_3)
	v_lshrrev_b32_e32 v10, 16, v2
	v_cndmask_b32_e64 v0, v3, v8, s7
	s_delay_alu instid0(VALU_DEP_3) | instskip(NEXT) | instid1(VALU_DEP_3)
	v_and_b32_e32 v3, 0xff, v9
	v_and_b32_e32 v9, 0xff, v10
	v_cmp_lt_i32_e64 s7, v16, v6
	s_delay_alu instid0(VALU_DEP_4) | instskip(NEXT) | instid1(VALU_DEP_4)
	v_lshrrev_b32_e32 v10, 16, v0
	v_or_b32_e32 v3, v18, v3
	s_delay_alu instid0(VALU_DEP_4) | instskip(NEXT) | instid1(VALU_DEP_3)
	v_or_b32_e32 v9, v20, v9
	v_and_b32_e32 v10, 0xff, v10
	s_delay_alu instid0(VALU_DEP_3) | instskip(NEXT) | instid1(VALU_DEP_3)
	v_add_nc_u16 v3, v3, 0x100
	v_add_nc_u16 v9, v9, 0x100
	s_delay_alu instid0(VALU_DEP_3) | instskip(NEXT) | instid1(VALU_DEP_3)
	v_or_b32_e32 v10, 0x7f00, v10
	v_lshlrev_b32_e32 v3, 16, v3
	s_delay_alu instid0(VALU_DEP_3) | instskip(NEXT) | instid1(VALU_DEP_3)
	v_lshlrev_b32_e32 v9, 16, v9
	v_lshlrev_b32_e32 v10, 16, v10
	s_delay_alu instid0(VALU_DEP_3) | instskip(NEXT) | instid1(VALU_DEP_3)
	v_and_or_b32 v3, 0xffff, v1, v3
	v_and_or_b32 v9, 0xffff, v2, v9
	s_delay_alu instid0(VALU_DEP_3) | instskip(NEXT) | instid1(VALU_DEP_3)
	v_and_or_b32 v10, 0xffff, v0, v10
	v_cndmask_b32_e64 v0, v1, v3, s2
	s_delay_alu instid0(VALU_DEP_3) | instskip(SKIP_1) | instid1(VALU_DEP_4)
	v_cndmask_b32_e64 v1, v2, v9, s6
	v_cndmask_b32_e64 v2, v11, v21, s7
	;; [unrolled: 1-line block ×3, first 2 shown]
	v_cmpx_lt_i32_e64 v4, v6
	s_cbranch_execz .LBB83_18
; %bb.17:
	s_delay_alu instid0(VALU_DEP_3)
	v_lshrrev_b32_e32 v8, 8, v2
	v_perm_b32 v10, 0, v2, 0xc0c0001
	v_bfe_i32 v11, v2, 0, 8
	v_perm_b32 v9, 0, v0, 0xc0c0001
	v_lshrrev_b32_e32 v13, 8, v3
	v_bfe_i32 v8, v8, 0, 8
	v_and_or_b32 v10, 0xffff0000, v2, v10
	v_bfe_i32 v14, v3, 0, 8
	v_and_or_b32 v9, 0xffff0000, v0, v9
	v_bfe_i32 v13, v13, 0, 8
	v_cmp_lt_i16_e64 s7, v8, v11
	v_perm_b32 v12, v1, v1, 0x7060405
	s_delay_alu instid0(VALU_DEP_3) | instskip(NEXT) | instid1(VALU_DEP_3)
	v_cmp_lt_i16_e64 s8, v13, v14
	v_cndmask_b32_e64 v2, v2, v10, s7
	v_cndmask_b32_e64 v0, v0, v9, s7
	s_delay_alu instid0(VALU_DEP_3) | instskip(NEXT) | instid1(VALU_DEP_3)
	v_cndmask_b32_e64 v1, v1, v12, s8
	v_lshrrev_b32_e32 v9, 16, v2
	s_delay_alu instid0(VALU_DEP_3) | instskip(SKIP_1) | instid1(VALU_DEP_3)
	v_lshrrev_b32_e32 v8, 16, v0
	v_lshrrev_b32_e32 v10, 24, v2
	v_perm_b32 v11, 0, v9, 0xc0c0001
	s_delay_alu instid0(VALU_DEP_3) | instskip(NEXT) | instid1(VALU_DEP_3)
	v_perm_b32 v8, 0, v8, 0xc0c0001
	v_bfe_i32 v10, v10, 0, 8
	v_bfe_i32 v9, v9, 0, 8
	s_delay_alu instid0(VALU_DEP_4) | instskip(NEXT) | instid1(VALU_DEP_4)
	v_lshlrev_b32_e32 v11, 16, v11
	v_lshlrev_b32_e32 v8, 16, v8
	s_delay_alu instid0(VALU_DEP_3) | instskip(SKIP_1) | instid1(VALU_DEP_4)
	v_cmp_lt_i16_e64 s7, v10, v9
	v_perm_b32 v9, v3, v3, 0x7060405
	v_and_or_b32 v11, 0xffff, v2, v11
	s_delay_alu instid0(VALU_DEP_4) | instskip(NEXT) | instid1(VALU_DEP_3)
	v_and_or_b32 v8, 0xffff, v0, v8
	v_cndmask_b32_e64 v3, v3, v9, s8
	s_delay_alu instid0(VALU_DEP_3) | instskip(NEXT) | instid1(VALU_DEP_3)
	v_cndmask_b32_e64 v2, v2, v11, s7
	v_cndmask_b32_e64 v0, v0, v8, s7
	s_delay_alu instid0(VALU_DEP_3) | instskip(NEXT) | instid1(VALU_DEP_3)
	v_lshrrev_b32_e32 v10, 24, v3
	v_lshrrev_b32_e32 v8, 16, v2
	;; [unrolled: 1-line block ×4, first 2 shown]
	v_perm_b32 v12, v0, v0, 0x7050604
	v_bfe_i32 v10, v10, 0, 8
	v_bfe_i32 v8, v8, 0, 8
	;; [unrolled: 1-line block ×4, first 2 shown]
	v_perm_b32 v13, v2, v2, 0x7050604
	s_delay_alu instid0(VALU_DEP_3) | instskip(SKIP_3) | instid1(VALU_DEP_4)
	v_cmp_lt_i16_e64 s7, v8, v9
	v_perm_b32 v8, v1, v1, 0x6070504
	v_perm_b32 v9, v3, v3, 0x6070504
	v_cmp_lt_i16_e64 s8, v10, v11
	v_cndmask_b32_e64 v0, v0, v12, s7
	v_cndmask_b32_e64 v2, v2, v13, s7
	s_delay_alu instid0(VALU_DEP_3) | instskip(SKIP_1) | instid1(VALU_DEP_4)
	v_cndmask_b32_e64 v1, v1, v8, s8
	v_cndmask_b32_e64 v3, v3, v9, s8
	v_lshrrev_b32_e32 v8, 16, v0
	s_delay_alu instid0(VALU_DEP_4) | instskip(NEXT) | instid1(VALU_DEP_4)
	v_lshrrev_b32_e32 v9, 16, v2
	v_lshlrev_b16 v10, 8, v1
	s_delay_alu instid0(VALU_DEP_4) | instskip(NEXT) | instid1(VALU_DEP_4)
	v_lshlrev_b16 v11, 8, v3
	v_and_b32_e32 v8, 0xff, v8
	s_delay_alu instid0(VALU_DEP_4) | instskip(NEXT) | instid1(VALU_DEP_2)
	v_and_b32_e32 v9, 0xff, v9
	v_or_b32_e32 v8, v8, v10
	s_delay_alu instid0(VALU_DEP_2) | instskip(SKIP_2) | instid1(VALU_DEP_4)
	v_or_b32_e32 v9, v9, v11
	v_lshrrev_b32_e32 v10, 24, v2
	v_bfe_i32 v11, v3, 0, 8
	v_lshlrev_b32_e32 v8, 16, v8
	s_delay_alu instid0(VALU_DEP_4) | instskip(NEXT) | instid1(VALU_DEP_4)
	v_lshlrev_b32_e32 v9, 16, v9
	v_bfe_i32 v10, v10, 0, 8
	s_delay_alu instid0(VALU_DEP_3) | instskip(NEXT) | instid1(VALU_DEP_3)
	v_and_or_b32 v8, 0xffff, v0, v8
	v_and_or_b32 v9, 0xffff, v2, v9
	s_delay_alu instid0(VALU_DEP_3) | instskip(SKIP_1) | instid1(VALU_DEP_2)
	v_cmp_lt_i16_e64 s7, v11, v10
	v_perm_b32 v10, v0, v1, 0x3020107
	v_cndmask_b32_e64 v0, v0, v8, s7
	s_delay_alu instid0(VALU_DEP_4) | instskip(SKIP_1) | instid1(VALU_DEP_4)
	v_cndmask_b32_e64 v8, v2, v9, s7
	v_perm_b32 v2, v2, v3, 0x3020107
	v_cndmask_b32_e64 v1, v1, v10, s7
	s_delay_alu instid0(VALU_DEP_3) | instskip(NEXT) | instid1(VALU_DEP_3)
	v_lshrrev_b32_e32 v9, 8, v8
	v_cndmask_b32_e64 v2, v3, v2, s7
	v_perm_b32 v3, 0, v0, 0xc0c0001
	v_perm_b32 v10, 0, v8, 0xc0c0001
	v_bfe_i32 v11, v8, 0, 8
	v_bfe_i32 v9, v9, 0, 8
	v_lshrrev_b32_e32 v12, 16, v2
	v_lshrrev_b32_e32 v13, 8, v2
	v_and_or_b32 v3, 0xffff0000, v0, v3
	v_and_or_b32 v10, 0xffff0000, v8, v10
	v_cmp_lt_i16_e64 s7, v9, v11
	v_bfe_i32 v9, v12, 0, 8
	v_bfe_i32 v11, v13, 0, 8
	v_perm_b32 v12, v2, v2, 0x7050604
	s_delay_alu instid0(VALU_DEP_4) | instskip(SKIP_3) | instid1(VALU_DEP_4)
	v_cndmask_b32_e64 v0, v0, v3, s7
	v_cndmask_b32_e64 v3, v8, v10, s7
	v_perm_b32 v8, v1, v1, 0x7050604
	v_cmp_lt_i16_e64 s7, v9, v11
	v_lshrrev_b32_e32 v9, 16, v0
	s_delay_alu instid0(VALU_DEP_4) | instskip(NEXT) | instid1(VALU_DEP_3)
	v_lshrrev_b32_e32 v10, 16, v3
	v_cndmask_b32_e64 v1, v1, v8, s7
	v_cndmask_b32_e64 v2, v2, v12, s7
	v_lshrrev_b32_e32 v8, 24, v3
	s_delay_alu instid0(VALU_DEP_4)
	v_perm_b32 v11, 0, v10, 0xc0c0001
	v_perm_b32 v9, 0, v9, 0xc0c0001
	v_bfe_i32 v10, v10, 0, 8
	v_lshrrev_b32_e32 v13, 8, v2
	v_bfe_i32 v8, v8, 0, 8
	v_lshlrev_b32_e32 v11, 16, v11
	v_lshlrev_b32_e32 v9, 16, v9
	v_bfe_i32 v14, v2, 0, 8
	v_bfe_i32 v13, v13, 0, 8
	v_cmp_lt_i16_e64 s7, v8, v10
	v_and_or_b32 v11, 0xffff, v3, v11
	v_and_or_b32 v9, 0xffff, v0, v9
	v_perm_b32 v8, v2, v2, 0x7060405
	v_cmp_lt_i16_e64 s8, v13, v14
	v_perm_b32 v12, v1, v1, 0x7060405
	v_cndmask_b32_e64 v3, v3, v11, s7
	v_cndmask_b32_e64 v0, v0, v9, s7
	s_delay_alu instid0(VALU_DEP_4) | instskip(NEXT) | instid1(VALU_DEP_4)
	v_cndmask_b32_e64 v2, v2, v8, s8
	v_cndmask_b32_e64 v1, v1, v12, s8
	s_delay_alu instid0(VALU_DEP_4)
	v_lshrrev_b32_e32 v8, 16, v3
	v_lshrrev_b32_e32 v9, 8, v3
	v_perm_b32 v12, v0, v0, 0x7050604
	v_lshrrev_b32_e32 v10, 24, v2
	v_lshrrev_b32_e32 v11, 16, v2
	v_bfe_i32 v8, v8, 0, 8
	v_bfe_i32 v9, v9, 0, 8
	v_perm_b32 v13, v3, v3, 0x7050604
	v_bfe_i32 v10, v10, 0, 8
	v_bfe_i32 v11, v11, 0, 8
	s_delay_alu instid0(VALU_DEP_4) | instskip(SKIP_2) | instid1(VALU_DEP_4)
	v_cmp_lt_i16_e64 s7, v8, v9
	v_perm_b32 v8, v1, v1, 0x6070504
	v_perm_b32 v9, v2, v2, 0x6070504
	v_cmp_lt_i16_e64 s8, v10, v11
	s_delay_alu instid0(VALU_DEP_4) | instskip(SKIP_1) | instid1(VALU_DEP_3)
	v_cndmask_b32_e64 v0, v0, v12, s7
	v_cndmask_b32_e64 v3, v3, v13, s7
	;; [unrolled: 1-line block ×4, first 2 shown]
	s_delay_alu instid0(VALU_DEP_4) | instskip(NEXT) | instid1(VALU_DEP_4)
	v_lshrrev_b32_e32 v8, 16, v0
	v_lshrrev_b32_e32 v9, 16, v3
	s_delay_alu instid0(VALU_DEP_4) | instskip(NEXT) | instid1(VALU_DEP_4)
	v_lshlrev_b16 v10, 8, v1
	v_lshlrev_b16 v11, 8, v2
	s_delay_alu instid0(VALU_DEP_4) | instskip(NEXT) | instid1(VALU_DEP_4)
	v_and_b32_e32 v8, 0xff, v8
	v_and_b32_e32 v9, 0xff, v9
	s_delay_alu instid0(VALU_DEP_2) | instskip(NEXT) | instid1(VALU_DEP_2)
	v_or_b32_e32 v8, v8, v10
	v_or_b32_e32 v9, v9, v11
	v_lshrrev_b32_e32 v10, 24, v3
	v_bfe_i32 v11, v2, 0, 8
	s_delay_alu instid0(VALU_DEP_4) | instskip(NEXT) | instid1(VALU_DEP_4)
	v_lshlrev_b32_e32 v8, 16, v8
	v_lshlrev_b32_e32 v9, 16, v9
	s_delay_alu instid0(VALU_DEP_4) | instskip(NEXT) | instid1(VALU_DEP_3)
	v_bfe_i32 v10, v10, 0, 8
	v_and_or_b32 v8, 0xffff, v0, v8
	s_delay_alu instid0(VALU_DEP_3) | instskip(NEXT) | instid1(VALU_DEP_3)
	v_and_or_b32 v9, 0xffff, v3, v9
	v_cmp_lt_i16_e64 s7, v11, v10
	v_perm_b32 v10, v0, v1, 0x3020107
	s_delay_alu instid0(VALU_DEP_2) | instskip(NEXT) | instid1(VALU_DEP_4)
	v_cndmask_b32_e64 v0, v0, v8, s7
	v_cndmask_b32_e64 v8, v3, v9, s7
	v_perm_b32 v3, v3, v2, 0x3020107
	s_delay_alu instid0(VALU_DEP_4) | instskip(NEXT) | instid1(VALU_DEP_3)
	v_cndmask_b32_e64 v1, v1, v10, s7
	v_lshrrev_b32_e32 v9, 8, v8
	s_delay_alu instid0(VALU_DEP_3)
	v_cndmask_b32_e64 v2, v2, v3, s7
	v_perm_b32 v3, 0, v0, 0xc0c0001
	v_perm_b32 v10, 0, v8, 0xc0c0001
	v_bfe_i32 v11, v8, 0, 8
	v_bfe_i32 v9, v9, 0, 8
	v_lshrrev_b32_e32 v12, 16, v2
	v_lshrrev_b32_e32 v13, 8, v2
	v_and_or_b32 v3, 0xffff0000, v0, v3
	v_and_or_b32 v10, 0xffff0000, v8, v10
	v_cmp_lt_i16_e64 s7, v9, v11
	v_bfe_i32 v9, v12, 0, 8
	v_bfe_i32 v11, v13, 0, 8
	v_perm_b32 v12, v2, v2, 0x7050604
	s_delay_alu instid0(VALU_DEP_4) | instskip(SKIP_3) | instid1(VALU_DEP_4)
	v_cndmask_b32_e64 v0, v0, v3, s7
	v_cndmask_b32_e64 v3, v8, v10, s7
	v_perm_b32 v8, v1, v1, 0x7050604
	v_cmp_lt_i16_e64 s7, v9, v11
	v_lshrrev_b32_e32 v9, 16, v0
	s_delay_alu instid0(VALU_DEP_4) | instskip(NEXT) | instid1(VALU_DEP_3)
	v_lshrrev_b32_e32 v10, 16, v3
	v_cndmask_b32_e64 v1, v1, v8, s7
	v_cndmask_b32_e64 v2, v2, v12, s7
	v_lshrrev_b32_e32 v8, 24, v3
	s_delay_alu instid0(VALU_DEP_4)
	v_perm_b32 v11, 0, v10, 0xc0c0001
	v_perm_b32 v9, 0, v9, 0xc0c0001
	v_bfe_i32 v10, v10, 0, 8
	v_lshrrev_b32_e32 v13, 8, v2
	v_bfe_i32 v8, v8, 0, 8
	v_lshlrev_b32_e32 v11, 16, v11
	v_lshlrev_b32_e32 v9, 16, v9
	v_bfe_i32 v14, v2, 0, 8
	v_bfe_i32 v13, v13, 0, 8
	v_cmp_lt_i16_e64 s7, v8, v10
	v_and_or_b32 v11, 0xffff, v3, v11
	v_and_or_b32 v9, 0xffff, v0, v9
	v_perm_b32 v8, v2, v2, 0x7060405
	v_cmp_lt_i16_e64 s8, v13, v14
	v_perm_b32 v12, v1, v1, 0x7060405
	v_cndmask_b32_e64 v3, v3, v11, s7
	v_cndmask_b32_e64 v0, v0, v9, s7
	s_delay_alu instid0(VALU_DEP_4) | instskip(NEXT) | instid1(VALU_DEP_4)
	v_cndmask_b32_e64 v2, v2, v8, s8
	v_cndmask_b32_e64 v1, v1, v12, s8
	s_delay_alu instid0(VALU_DEP_4)
	v_lshrrev_b32_e32 v8, 16, v3
	v_lshrrev_b32_e32 v9, 8, v3
	v_perm_b32 v12, v0, v0, 0x7050604
	v_lshrrev_b32_e32 v10, 24, v2
	v_lshrrev_b32_e32 v11, 16, v2
	v_bfe_i32 v8, v8, 0, 8
	v_bfe_i32 v9, v9, 0, 8
	v_perm_b32 v13, v3, v3, 0x7050604
	v_bfe_i32 v10, v10, 0, 8
	v_bfe_i32 v11, v11, 0, 8
	s_delay_alu instid0(VALU_DEP_4) | instskip(SKIP_2) | instid1(VALU_DEP_4)
	v_cmp_lt_i16_e64 s7, v8, v9
	v_perm_b32 v8, v1, v1, 0x6070504
	v_perm_b32 v9, v2, v2, 0x6070504
	v_cmp_lt_i16_e64 s8, v10, v11
	s_delay_alu instid0(VALU_DEP_4) | instskip(SKIP_1) | instid1(VALU_DEP_3)
	v_cndmask_b32_e64 v0, v0, v12, s7
	v_cndmask_b32_e64 v3, v3, v13, s7
	;; [unrolled: 1-line block ×4, first 2 shown]
	s_delay_alu instid0(VALU_DEP_4) | instskip(NEXT) | instid1(VALU_DEP_4)
	v_lshrrev_b32_e32 v8, 16, v0
	v_lshrrev_b32_e32 v9, 16, v3
	s_delay_alu instid0(VALU_DEP_4) | instskip(NEXT) | instid1(VALU_DEP_4)
	v_lshlrev_b16 v10, 8, v1
	v_lshlrev_b16 v11, 8, v2
	s_delay_alu instid0(VALU_DEP_4) | instskip(NEXT) | instid1(VALU_DEP_4)
	v_and_b32_e32 v8, 0xff, v8
	v_and_b32_e32 v9, 0xff, v9
	s_delay_alu instid0(VALU_DEP_2) | instskip(NEXT) | instid1(VALU_DEP_2)
	v_or_b32_e32 v8, v8, v10
	v_or_b32_e32 v9, v9, v11
	v_lshrrev_b32_e32 v10, 24, v3
	v_bfe_i32 v11, v2, 0, 8
	s_delay_alu instid0(VALU_DEP_4) | instskip(NEXT) | instid1(VALU_DEP_4)
	v_lshlrev_b32_e32 v8, 16, v8
	v_lshlrev_b32_e32 v9, 16, v9
	s_delay_alu instid0(VALU_DEP_4) | instskip(NEXT) | instid1(VALU_DEP_3)
	v_bfe_i32 v10, v10, 0, 8
	v_and_or_b32 v8, 0xffff, v0, v8
	s_delay_alu instid0(VALU_DEP_3) | instskip(NEXT) | instid1(VALU_DEP_3)
	v_and_or_b32 v9, 0xffff, v3, v9
	v_cmp_lt_i16_e64 s7, v11, v10
	v_perm_b32 v10, v0, v1, 0x3020107
	s_delay_alu instid0(VALU_DEP_2) | instskip(NEXT) | instid1(VALU_DEP_4)
	v_cndmask_b32_e64 v0, v0, v8, s7
	v_cndmask_b32_e64 v8, v3, v9, s7
	v_perm_b32 v3, v3, v2, 0x3020107
	s_delay_alu instid0(VALU_DEP_4) | instskip(NEXT) | instid1(VALU_DEP_3)
	v_cndmask_b32_e64 v1, v1, v10, s7
	v_lshrrev_b32_e32 v9, 8, v8
	s_delay_alu instid0(VALU_DEP_3)
	v_cndmask_b32_e64 v2, v2, v3, s7
	v_perm_b32 v3, 0, v0, 0xc0c0001
	v_perm_b32 v10, 0, v8, 0xc0c0001
	v_bfe_i32 v11, v8, 0, 8
	v_bfe_i32 v9, v9, 0, 8
	v_lshrrev_b32_e32 v12, 16, v2
	v_lshrrev_b32_e32 v13, 8, v2
	v_and_or_b32 v3, 0xffff0000, v0, v3
	v_and_or_b32 v10, 0xffff0000, v8, v10
	v_cmp_lt_i16_e64 s7, v9, v11
	v_bfe_i32 v9, v12, 0, 8
	v_bfe_i32 v11, v13, 0, 8
	v_perm_b32 v12, v2, v2, 0x7050604
	s_delay_alu instid0(VALU_DEP_4) | instskip(SKIP_3) | instid1(VALU_DEP_4)
	v_cndmask_b32_e64 v0, v0, v3, s7
	v_cndmask_b32_e64 v3, v8, v10, s7
	v_perm_b32 v8, v1, v1, 0x7050604
	v_cmp_lt_i16_e64 s7, v9, v11
	v_lshrrev_b32_e32 v9, 16, v0
	s_delay_alu instid0(VALU_DEP_4) | instskip(NEXT) | instid1(VALU_DEP_3)
	v_lshrrev_b32_e32 v10, 16, v3
	v_cndmask_b32_e64 v1, v1, v8, s7
	v_cndmask_b32_e64 v2, v2, v12, s7
	v_lshrrev_b32_e32 v8, 24, v3
	s_delay_alu instid0(VALU_DEP_4)
	v_perm_b32 v11, 0, v10, 0xc0c0001
	v_perm_b32 v9, 0, v9, 0xc0c0001
	v_bfe_i32 v10, v10, 0, 8
	v_lshrrev_b32_e32 v12, 8, v2
	v_bfe_i32 v8, v8, 0, 8
	v_lshlrev_b32_e32 v11, 16, v11
	v_lshlrev_b32_e32 v9, 16, v9
	v_bfe_i32 v13, v2, 0, 8
	v_bfe_i32 v12, v12, 0, 8
	v_cmp_lt_i16_e64 s7, v8, v10
	v_and_or_b32 v11, 0xffff, v3, v11
	v_and_or_b32 v9, 0xffff, v0, v9
	v_perm_b32 v8, v1, v1, 0x7060405
	v_perm_b32 v10, v2, v2, 0x7060405
	v_cmp_lt_i16_e64 s8, v12, v13
	v_cndmask_b32_e64 v3, v3, v11, s7
	v_cndmask_b32_e64 v0, v0, v9, s7
	s_delay_alu instid0(VALU_DEP_3) | instskip(SKIP_1) | instid1(VALU_DEP_4)
	v_cndmask_b32_e64 v1, v1, v8, s8
	v_cndmask_b32_e64 v2, v2, v10, s8
	v_lshrrev_b32_e32 v8, 16, v3
	v_lshrrev_b32_e32 v9, 8, v3
	v_perm_b32 v12, v0, v0, 0x7050604
	v_perm_b32 v13, v1, v1, 0x6070504
	v_lshrrev_b32_e32 v10, 24, v2
	v_lshrrev_b32_e32 v11, 16, v2
	v_bfe_i32 v8, v8, 0, 8
	v_bfe_i32 v9, v9, 0, 8
	s_delay_alu instid0(VALU_DEP_4) | instskip(NEXT) | instid1(VALU_DEP_4)
	v_bfe_i32 v10, v10, 0, 8
	v_bfe_i32 v11, v11, 0, 8
	s_delay_alu instid0(VALU_DEP_3) | instskip(SKIP_1) | instid1(VALU_DEP_3)
	v_cmp_lt_i16_e64 s7, v8, v9
	v_perm_b32 v9, v3, v3, 0x7050604
	v_cmp_lt_i16_e64 s8, v10, v11
	v_perm_b32 v10, v2, v2, 0x6070504
	s_delay_alu instid0(VALU_DEP_4) | instskip(NEXT) | instid1(VALU_DEP_4)
	v_cndmask_b32_e64 v8, v0, v12, s7
	v_cndmask_b32_e64 v3, v3, v9, s7
	s_delay_alu instid0(VALU_DEP_4) | instskip(NEXT) | instid1(VALU_DEP_4)
	v_cndmask_b32_e64 v1, v1, v13, s8
	v_cndmask_b32_e64 v2, v2, v10, s8
	s_delay_alu instid0(VALU_DEP_4) | instskip(NEXT) | instid1(VALU_DEP_4)
	v_lshrrev_b32_e32 v0, 16, v8
	v_lshrrev_b32_e32 v9, 24, v3
	;; [unrolled: 1-line block ×3, first 2 shown]
	v_lshlrev_b16 v11, 8, v1
	v_bfe_i32 v10, v2, 0, 8
	v_and_b32_e32 v0, 0xff, v0
	v_bfe_i32 v9, v9, 0, 8
	s_delay_alu instid0(VALU_DEP_2) | instskip(SKIP_1) | instid1(VALU_DEP_3)
	v_or_b32_e32 v0, v0, v11
	v_perm_b32 v11, v3, v2, 0x3020107
	v_cmp_lt_i16_e64 s7, v10, v9
	v_lshlrev_b16 v9, 8, v2
	v_and_b32_e32 v10, 0xff, v12
	v_lshlrev_b32_e32 v0, 16, v0
	s_delay_alu instid0(VALU_DEP_4) | instskip(NEXT) | instid1(VALU_DEP_3)
	v_cndmask_b32_e64 v11, v2, v11, s7
	v_or_b32_e32 v2, v10, v9
	s_delay_alu instid0(VALU_DEP_3) | instskip(NEXT) | instid1(VALU_DEP_3)
	v_and_or_b32 v0, 0xffff, v8, v0
	v_lshrrev_b32_e32 v9, 16, v11
	v_lshrrev_b32_e32 v10, 8, v11
	s_delay_alu instid0(VALU_DEP_4) | instskip(NEXT) | instid1(VALU_DEP_4)
	v_lshlrev_b32_e32 v2, 16, v2
	v_cndmask_b32_e64 v0, v8, v0, s7
	v_perm_b32 v8, v8, v1, 0x3020107
	s_delay_alu instid0(VALU_DEP_3) | instskip(NEXT) | instid1(VALU_DEP_2)
	v_and_or_b32 v2, 0xffff, v3, v2
	v_cndmask_b32_e64 v1, v1, v8, s7
	v_bfe_i32 v8, v9, 0, 8
	v_bfe_i32 v9, v10, 0, 8
	v_perm_b32 v10, v11, v11, 0x7050604
	v_cndmask_b32_e64 v2, v3, v2, s7
	v_perm_b32 v12, v1, v1, 0x7050604
	s_delay_alu instid0(VALU_DEP_4) | instskip(NEXT) | instid1(VALU_DEP_1)
	v_cmp_lt_i16_e64 s8, v8, v9
	v_cndmask_b32_e64 v1, v1, v12, s8
	v_cndmask_b32_e64 v3, v11, v10, s8
.LBB83_18:
	s_or_b32 exec_lo, exec_lo, s9
	v_and_b32_e32 v8, 0xf0, v4
	v_and_b32_e32 v11, 8, v4
	s_mov_b32 s8, exec_lo
	; wave barrier
	s_delay_alu instid0(VALU_DEP_2) | instskip(NEXT) | instid1(VALU_DEP_2)
	v_min_i32_e32 v10, v6, v8
	v_min_i32_e32 v11, v6, v11
	s_delay_alu instid0(VALU_DEP_2) | instskip(NEXT) | instid1(VALU_DEP_1)
	v_add_nc_u32_e32 v8, 8, v10
	v_min_i32_e32 v8, v6, v8
	s_delay_alu instid0(VALU_DEP_1) | instskip(SKIP_1) | instid1(VALU_DEP_2)
	v_add_nc_u32_e32 v9, 8, v8
	v_sub_nc_u32_e32 v14, v8, v10
	v_min_i32_e32 v9, v6, v9
	s_delay_alu instid0(VALU_DEP_1) | instskip(NEXT) | instid1(VALU_DEP_1)
	v_sub_nc_u32_e32 v12, v9, v8
	v_sub_nc_u32_e32 v13, v11, v12
	v_cmp_ge_i32_e64 s7, v11, v12
	s_delay_alu instid0(VALU_DEP_1)
	v_cndmask_b32_e64 v12, 0, v13, s7
	v_min_i32_e32 v13, v11, v14
	v_mad_u32_u24 v14, 0x101, v7, v4
	v_mul_u32_u24_e32 v7, 0x101, v7
	ds_store_b64 v14, v[2:3]
	; wave barrier
	v_cmpx_lt_i32_e64 v12, v13
	s_cbranch_execz .LBB83_22
; %bb.19:
	v_add_nc_u32_e32 v2, v7, v10
	v_add3_u32 v3, v7, v8, v11
	s_mov_b32 s9, 0
	.p2align	6
.LBB83_20:                              ; =>This Inner Loop Header: Depth=1
	v_sub_nc_u32_e32 v14, v13, v12
	s_delay_alu instid0(VALU_DEP_1) | instskip(NEXT) | instid1(VALU_DEP_1)
	v_lshrrev_b32_e32 v15, 31, v14
	v_add_nc_u32_e32 v14, v14, v15
	s_delay_alu instid0(VALU_DEP_1) | instskip(NEXT) | instid1(VALU_DEP_1)
	v_ashrrev_i32_e32 v14, 1, v14
	v_add_nc_u32_e32 v14, v14, v12
	s_delay_alu instid0(VALU_DEP_1)
	v_add_nc_u32_e32 v15, v2, v14
	v_xad_u32 v16, v14, -1, v3
	v_add_nc_u32_e32 v17, 1, v14
	ds_load_i8 v15, v15
	ds_load_i8 v16, v16
	s_waitcnt lgkmcnt(0)
	v_cmp_lt_i16_e64 s7, v16, v15
	s_delay_alu instid0(VALU_DEP_1) | instskip(SKIP_1) | instid1(VALU_DEP_1)
	v_cndmask_b32_e64 v13, v13, v14, s7
	v_cndmask_b32_e64 v12, v17, v12, s7
	v_cmp_ge_i32_e64 s7, v12, v13
	s_delay_alu instid0(VALU_DEP_1) | instskip(NEXT) | instid1(SALU_CYCLE_1)
	s_or_b32 s9, s7, s9
	s_and_not1_b32 exec_lo, exec_lo, s9
	s_cbranch_execnz .LBB83_20
; %bb.21:
	s_or_b32 exec_lo, exec_lo, s9
.LBB83_22:
	s_delay_alu instid0(SALU_CYCLE_1) | instskip(SKIP_2) | instid1(VALU_DEP_2)
	s_or_b32 exec_lo, exec_lo, s8
	v_add_nc_u32_e32 v3, v8, v11
	v_add_nc_u32_e32 v2, v12, v10
	v_sub_nc_u32_e32 v3, v3, v12
	s_delay_alu instid0(VALU_DEP_2) | instskip(SKIP_1) | instid1(VALU_DEP_3)
	v_add_nc_u32_e32 v13, v7, v2
	v_cmp_le_i32_e64 s7, v8, v2
                                        ; implicit-def: $vgpr12
	v_add_nc_u32_e32 v14, v7, v3
	v_cmp_gt_i32_e64 s9, v9, v3
	ds_load_u8 v10, v13
	ds_load_u8 v11, v14
	s_waitcnt lgkmcnt(1)
	v_bfe_i32 v10, v10, 0, 8
	s_waitcnt lgkmcnt(0)
	v_bfe_i32 v11, v11, 0, 8
	s_delay_alu instid0(VALU_DEP_1) | instskip(NEXT) | instid1(VALU_DEP_1)
	v_cmp_lt_i16_e64 s8, v11, v10
	s_or_b32 s7, s7, s8
	s_delay_alu instid0(SALU_CYCLE_1) | instskip(NEXT) | instid1(SALU_CYCLE_1)
	s_and_b32 s7, s9, s7
	s_xor_b32 s8, s7, -1
	s_delay_alu instid0(SALU_CYCLE_1) | instskip(NEXT) | instid1(SALU_CYCLE_1)
	s_and_saveexec_b32 s9, s8
	s_xor_b32 s8, exec_lo, s9
	s_cbranch_execz .LBB83_24
; %bb.23:
	ds_load_u8 v12, v13 offset:1
                                        ; implicit-def: $vgpr14
.LBB83_24:
	s_or_saveexec_b32 s8, s8
	v_mov_b32_e32 v13, v11
	s_xor_b32 exec_lo, exec_lo, s8
	s_cbranch_execz .LBB83_26
; %bb.25:
	ds_load_u8 v13, v14 offset:1
	s_waitcnt lgkmcnt(1)
	v_mov_b32_e32 v12, v10
.LBB83_26:
	s_or_b32 exec_lo, exec_lo, s8
	v_add_nc_u32_e32 v14, 1, v2
	v_add_nc_u32_e32 v15, 1, v3
	s_waitcnt lgkmcnt(0)
	v_bfe_i32 v16, v12, 0, 8
	v_bfe_i32 v17, v13, 0, 8
	v_cndmask_b32_e64 v14, v14, v2, s7
	v_cndmask_b32_e64 v15, v3, v15, s7
	s_delay_alu instid0(VALU_DEP_3) | instskip(NEXT) | instid1(VALU_DEP_3)
	v_cmp_lt_i16_e64 s9, v17, v16
                                        ; implicit-def: $vgpr16
	v_cmp_ge_i32_e64 s8, v14, v8
	s_delay_alu instid0(VALU_DEP_3) | instskip(NEXT) | instid1(VALU_DEP_2)
	v_cmp_lt_i32_e64 s10, v15, v9
	s_or_b32 s8, s8, s9
	s_delay_alu instid0(VALU_DEP_1) | instid1(SALU_CYCLE_1)
	s_and_b32 s8, s10, s8
	s_delay_alu instid0(SALU_CYCLE_1) | instskip(NEXT) | instid1(SALU_CYCLE_1)
	s_xor_b32 s9, s8, -1
	s_and_saveexec_b32 s10, s9
	s_delay_alu instid0(SALU_CYCLE_1)
	s_xor_b32 s9, exec_lo, s10
	s_cbranch_execz .LBB83_28
; %bb.27:
	v_add_nc_u32_e32 v16, v7, v14
	ds_load_u8 v16, v16 offset:1
.LBB83_28:
	s_or_saveexec_b32 s9, s9
	v_mov_b32_e32 v17, v13
	s_xor_b32 exec_lo, exec_lo, s9
	s_cbranch_execz .LBB83_30
; %bb.29:
	s_waitcnt lgkmcnt(0)
	v_add_nc_u32_e32 v16, v7, v15
	ds_load_u8 v17, v16 offset:1
	v_mov_b32_e32 v16, v12
.LBB83_30:
	s_or_b32 exec_lo, exec_lo, s9
	v_add_nc_u32_e32 v18, 1, v14
	v_add_nc_u32_e32 v19, 1, v15
	s_waitcnt lgkmcnt(0)
	v_bfe_i32 v20, v16, 0, 8
	v_bfe_i32 v21, v17, 0, 8
	v_cndmask_b32_e64 v18, v18, v14, s8
	v_cndmask_b32_e64 v19, v15, v19, s8
	s_delay_alu instid0(VALU_DEP_3) | instskip(NEXT) | instid1(VALU_DEP_3)
	v_cmp_lt_i16_e64 s10, v21, v20
                                        ; implicit-def: $vgpr20
	v_cmp_ge_i32_e64 s9, v18, v8
	s_delay_alu instid0(VALU_DEP_3) | instskip(NEXT) | instid1(VALU_DEP_2)
	v_cmp_lt_i32_e64 s11, v19, v9
	s_or_b32 s9, s9, s10
	s_delay_alu instid0(VALU_DEP_1) | instid1(SALU_CYCLE_1)
	s_and_b32 s9, s11, s9
	s_delay_alu instid0(SALU_CYCLE_1) | instskip(NEXT) | instid1(SALU_CYCLE_1)
	s_xor_b32 s10, s9, -1
	s_and_saveexec_b32 s11, s10
	s_delay_alu instid0(SALU_CYCLE_1)
	s_xor_b32 s10, exec_lo, s11
	s_cbranch_execz .LBB83_32
; %bb.31:
	v_add_nc_u32_e32 v20, v7, v18
	ds_load_u8 v20, v20 offset:1
.LBB83_32:
	s_or_saveexec_b32 s10, s10
	v_mov_b32_e32 v21, v17
	s_xor_b32 exec_lo, exec_lo, s10
	s_cbranch_execz .LBB83_34
; %bb.33:
	s_waitcnt lgkmcnt(0)
	v_add_nc_u32_e32 v20, v7, v19
	ds_load_u8 v21, v20 offset:1
	v_mov_b32_e32 v20, v16
.LBB83_34:
	s_or_b32 exec_lo, exec_lo, s10
	v_add_nc_u32_e32 v22, 1, v18
	v_add_nc_u32_e32 v23, 1, v19
	s_waitcnt lgkmcnt(0)
	v_bfe_i32 v24, v20, 0, 8
	v_bfe_i32 v25, v21, 0, 8
	v_cndmask_b32_e64 v22, v22, v18, s9
	v_cndmask_b32_e64 v23, v19, v23, s9
	s_delay_alu instid0(VALU_DEP_3) | instskip(NEXT) | instid1(VALU_DEP_3)
	v_cmp_lt_i16_e64 s11, v25, v24
                                        ; implicit-def: $vgpr24
	v_cmp_ge_i32_e64 s10, v22, v8
	s_delay_alu instid0(VALU_DEP_3) | instskip(NEXT) | instid1(VALU_DEP_2)
	v_cmp_lt_i32_e64 s12, v23, v9
	s_or_b32 s10, s10, s11
	s_delay_alu instid0(VALU_DEP_1) | instid1(SALU_CYCLE_1)
	s_and_b32 s10, s12, s10
	s_delay_alu instid0(SALU_CYCLE_1) | instskip(NEXT) | instid1(SALU_CYCLE_1)
	s_xor_b32 s11, s10, -1
	s_and_saveexec_b32 s12, s11
	s_delay_alu instid0(SALU_CYCLE_1)
	s_xor_b32 s11, exec_lo, s12
	s_cbranch_execz .LBB83_36
; %bb.35:
	v_add_nc_u32_e32 v24, v7, v22
	ds_load_u8 v24, v24 offset:1
.LBB83_36:
	s_or_saveexec_b32 s11, s11
	v_mov_b32_e32 v25, v21
	s_xor_b32 exec_lo, exec_lo, s11
	s_cbranch_execz .LBB83_38
; %bb.37:
	s_waitcnt lgkmcnt(0)
	v_add_nc_u32_e32 v24, v7, v23
	ds_load_u8 v25, v24 offset:1
	v_mov_b32_e32 v24, v20
.LBB83_38:
	s_or_b32 exec_lo, exec_lo, s11
	v_add_nc_u32_e32 v26, 1, v22
	v_add_nc_u32_e32 v27, 1, v23
	s_waitcnt lgkmcnt(0)
	v_bfe_i32 v28, v24, 0, 8
	v_bfe_i32 v29, v25, 0, 8
	v_cndmask_b32_e64 v26, v26, v22, s10
	v_cndmask_b32_e64 v27, v23, v27, s10
	s_delay_alu instid0(VALU_DEP_3) | instskip(NEXT) | instid1(VALU_DEP_3)
	v_cmp_lt_i16_e64 s12, v29, v28
                                        ; implicit-def: $vgpr28
	v_cmp_ge_i32_e64 s11, v26, v8
	s_delay_alu instid0(VALU_DEP_3) | instskip(NEXT) | instid1(VALU_DEP_2)
	v_cmp_lt_i32_e64 s13, v27, v9
	s_or_b32 s11, s11, s12
	s_delay_alu instid0(VALU_DEP_1) | instid1(SALU_CYCLE_1)
	s_and_b32 s11, s13, s11
	s_delay_alu instid0(SALU_CYCLE_1) | instskip(NEXT) | instid1(SALU_CYCLE_1)
	s_xor_b32 s12, s11, -1
	s_and_saveexec_b32 s13, s12
	s_delay_alu instid0(SALU_CYCLE_1)
	s_xor_b32 s12, exec_lo, s13
	s_cbranch_execz .LBB83_40
; %bb.39:
	v_add_nc_u32_e32 v28, v7, v26
	ds_load_u8 v28, v28 offset:1
.LBB83_40:
	s_or_saveexec_b32 s12, s12
	v_mov_b32_e32 v29, v25
	s_xor_b32 exec_lo, exec_lo, s12
	s_cbranch_execz .LBB83_42
; %bb.41:
	s_waitcnt lgkmcnt(0)
	v_add_nc_u32_e32 v28, v7, v27
	ds_load_u8 v29, v28 offset:1
	v_mov_b32_e32 v28, v24
.LBB83_42:
	s_or_b32 exec_lo, exec_lo, s12
	v_add_nc_u32_e32 v30, 1, v26
	v_add_nc_u32_e32 v31, 1, v27
	s_waitcnt lgkmcnt(0)
	v_bfe_i32 v32, v28, 0, 8
	v_bfe_i32 v33, v29, 0, 8
	v_cndmask_b32_e64 v30, v30, v26, s11
	v_cndmask_b32_e64 v31, v27, v31, s11
	s_delay_alu instid0(VALU_DEP_3) | instskip(NEXT) | instid1(VALU_DEP_3)
	v_cmp_lt_i16_e64 s13, v33, v32
                                        ; implicit-def: $vgpr32
	v_cmp_ge_i32_e64 s12, v30, v8
	s_delay_alu instid0(VALU_DEP_3) | instskip(NEXT) | instid1(VALU_DEP_2)
	v_cmp_lt_i32_e64 s14, v31, v9
	s_or_b32 s12, s12, s13
	s_delay_alu instid0(VALU_DEP_1) | instid1(SALU_CYCLE_1)
	s_and_b32 s12, s14, s12
	s_delay_alu instid0(SALU_CYCLE_1) | instskip(NEXT) | instid1(SALU_CYCLE_1)
	s_xor_b32 s13, s12, -1
	s_and_saveexec_b32 s14, s13
	s_delay_alu instid0(SALU_CYCLE_1)
	s_xor_b32 s13, exec_lo, s14
	s_cbranch_execz .LBB83_44
; %bb.43:
	v_add_nc_u32_e32 v32, v7, v30
	ds_load_u8 v32, v32 offset:1
.LBB83_44:
	s_or_saveexec_b32 s13, s13
	v_mov_b32_e32 v34, v29
	s_xor_b32 exec_lo, exec_lo, s13
	s_cbranch_execz .LBB83_46
; %bb.45:
	s_waitcnt lgkmcnt(0)
	v_add_nc_u32_e32 v32, v7, v31
	ds_load_u8 v34, v32 offset:1
	v_mov_b32_e32 v32, v28
.LBB83_46:
	s_or_b32 exec_lo, exec_lo, s13
	v_add_nc_u32_e32 v33, 1, v30
	v_add_nc_u32_e32 v35, 1, v31
	s_waitcnt lgkmcnt(0)
	v_bfe_i32 v38, v32, 0, 8
	s_delay_alu instid0(VALU_DEP_3) | instskip(SKIP_2) | instid1(VALU_DEP_3)
	v_cndmask_b32_e64 v36, v33, v30, s12
	v_bfe_i32 v33, v34, 0, 8
	v_cndmask_b32_e64 v37, v31, v35, s12
	v_cmp_ge_i32_e64 s13, v36, v8
	s_delay_alu instid0(VALU_DEP_3) | instskip(NEXT) | instid1(VALU_DEP_3)
	v_cmp_lt_i16_e64 s14, v33, v38
	v_cmp_lt_i32_e64 s15, v37, v9
                                        ; implicit-def: $vgpr33
	s_delay_alu instid0(VALU_DEP_2)
	s_or_b32 s13, s13, s14
	s_delay_alu instid0(VALU_DEP_1) | instid1(SALU_CYCLE_1)
	s_and_b32 s13, s15, s13
	s_delay_alu instid0(SALU_CYCLE_1) | instskip(NEXT) | instid1(SALU_CYCLE_1)
	s_xor_b32 s14, s13, -1
	s_and_saveexec_b32 s15, s14
	s_delay_alu instid0(SALU_CYCLE_1)
	s_xor_b32 s14, exec_lo, s15
	s_cbranch_execz .LBB83_48
; %bb.47:
	v_add_nc_u32_e32 v33, v7, v36
	ds_load_u8 v33, v33 offset:1
.LBB83_48:
	s_or_saveexec_b32 s14, s14
	v_mov_b32_e32 v35, v34
	s_xor_b32 exec_lo, exec_lo, s14
	s_cbranch_execz .LBB83_50
; %bb.49:
	s_waitcnt lgkmcnt(0)
	v_add_nc_u32_e32 v33, v7, v37
	ds_load_u8 v35, v33 offset:1
	v_mov_b32_e32 v33, v32
.LBB83_50:
	s_or_b32 exec_lo, exec_lo, s14
	v_add_nc_u32_e32 v39, 1, v36
	v_cndmask_b32_e64 v3, v2, v3, s7
	v_add_nc_u32_e32 v2, v7, v4
	v_add_nc_u32_e32 v38, 1, v37
	v_cndmask_b32_e64 v32, v32, v34, s13
	v_cndmask_b32_e64 v34, v36, v37, s13
	;; [unrolled: 1-line block ×5, first 2 shown]
	s_waitcnt lgkmcnt(0)
	v_bfe_i32 v22, v33, 0, 8
	v_bfe_i32 v23, v35, 0, 8
	; wave barrier
	ds_store_b64 v2, v[0:1]
	v_and_b32_e32 v0, 0xe0, v4
	v_cndmask_b32_e64 v37, v37, v38, s13
	v_cndmask_b32_e64 v16, v16, v17, s9
	;; [unrolled: 1-line block ×3, first 2 shown]
	v_cmp_ge_i32_e64 s9, v36, v8
	v_cmp_lt_i16_e64 s10, v23, v22
	v_cndmask_b32_e64 v8, v14, v15, s8
	v_min_i32_e32 v15, v6, v0
	v_cndmask_b32_e64 v12, v12, v13, s8
	v_cmp_lt_i32_e64 s8, v37, v9
	v_cndmask_b32_e64 v9, v10, v11, s7
	s_or_b32 s7, s9, s10
	v_add_nc_u32_e32 v0, 16, v15
	v_cndmask_b32_e64 v24, v24, v25, s11
	s_and_b32 s7, s8, s7
	v_cndmask_b32_e64 v25, v26, v27, s11
	v_cndmask_b32_e64 v28, v28, v29, s12
	;; [unrolled: 1-line block ×4, first 2 shown]
	v_add_nc_u32_e32 v1, v7, v3
	v_add_nc_u32_e32 v8, v7, v8
	v_min_i32_e32 v14, v6, v0
	v_add_nc_u32_e32 v11, v7, v17
	v_add_nc_u32_e32 v13, v7, v21
	;; [unrolled: 1-line block ×3, first 2 shown]
	; wave barrier
	v_add_nc_u32_e32 v19, v7, v29
	v_add_nc_u32_e32 v21, v7, v34
	;; [unrolled: 1-line block ×3, first 2 shown]
	v_lshlrev_b16 v23, 8, v12
	v_and_b32_e32 v25, 0xff, v9
	ds_load_u8 v3, v1
	ds_load_u8 v9, v8
	;; [unrolled: 1-line block ×8, first 2 shown]
	v_cndmask_b32_e64 v18, v33, v35, s7
	v_lshlrev_b16 v20, 8, v20
	v_and_b32_e32 v16, 0xff, v16
	v_add_nc_u32_e32 v1, 16, v14
	v_and_b32_e32 v21, 24, v4
	v_and_b32_e32 v22, 0xff, v32
	v_lshlrev_b16 v18, 8, v18
	v_or_b32_e32 v19, v16, v20
	v_lshlrev_b16 v16, 8, v28
	v_and_b32_e32 v20, 0xff, v24
	v_min_i32_e32 v1, v6, v1
	v_or_b32_e32 v17, v25, v23
	v_or_b32_e32 v18, v22, v18
	v_lshlrev_b32_e32 v19, 16, v19
	v_or_b32_e32 v20, v20, v16
	v_min_i32_e32 v16, v6, v21
	v_sub_nc_u32_e32 v21, v1, v14
	v_and_b32_e32 v17, 0xffff, v17
	v_sub_nc_u32_e32 v23, v14, v15
	v_and_b32_e32 v20, 0xffff, v20
	v_lshlrev_b32_e32 v24, 16, v18
	v_sub_nc_u32_e32 v22, v16, v21
	v_cmp_ge_i32_e64 s7, v16, v21
	v_or_b32_e32 v19, v17, v19
	v_min_i32_e32 v18, v16, v23
	v_or_b32_e32 v20, v20, v24
	s_mov_b32 s9, 0
	v_cndmask_b32_e64 v17, 0, v22, s7
	s_mov_b32 s8, exec_lo
	; wave barrier
	ds_store_b64 v2, v[19:20]
	; wave barrier
	v_cmpx_lt_i32_e64 v17, v18
	s_cbranch_execz .LBB83_54
; %bb.51:
	v_add_nc_u32_e32 v19, v7, v15
	v_add3_u32 v20, v7, v14, v16
	.p2align	6
.LBB83_52:                              ; =>This Inner Loop Header: Depth=1
	v_sub_nc_u32_e32 v21, v18, v17
	s_delay_alu instid0(VALU_DEP_1) | instskip(NEXT) | instid1(VALU_DEP_1)
	v_lshrrev_b32_e32 v22, 31, v21
	v_add_nc_u32_e32 v21, v21, v22
	s_delay_alu instid0(VALU_DEP_1) | instskip(NEXT) | instid1(VALU_DEP_1)
	v_ashrrev_i32_e32 v21, 1, v21
	v_add_nc_u32_e32 v21, v21, v17
	s_delay_alu instid0(VALU_DEP_1)
	v_add_nc_u32_e32 v22, v19, v21
	v_xad_u32 v23, v21, -1, v20
	v_add_nc_u32_e32 v24, 1, v21
	ds_load_i8 v22, v22
	ds_load_i8 v23, v23
	s_waitcnt lgkmcnt(0)
	v_cmp_lt_i16_e64 s7, v23, v22
	s_delay_alu instid0(VALU_DEP_1) | instskip(SKIP_1) | instid1(VALU_DEP_1)
	v_cndmask_b32_e64 v18, v18, v21, s7
	v_cndmask_b32_e64 v17, v24, v17, s7
	v_cmp_ge_i32_e64 s7, v17, v18
	s_delay_alu instid0(VALU_DEP_1) | instskip(NEXT) | instid1(SALU_CYCLE_1)
	s_or_b32 s9, s7, s9
	s_and_not1_b32 exec_lo, exec_lo, s9
	s_cbranch_execnz .LBB83_52
; %bb.53:
	s_or_b32 exec_lo, exec_lo, s9
.LBB83_54:
	s_delay_alu instid0(SALU_CYCLE_1) | instskip(SKIP_2) | instid1(VALU_DEP_2)
	s_or_b32 exec_lo, exec_lo, s8
	v_add_nc_u32_e32 v16, v14, v16
	v_add_nc_u32_e32 v15, v17, v15
                                        ; implicit-def: $vgpr19
	v_sub_nc_u32_e32 v16, v16, v17
	s_delay_alu instid0(VALU_DEP_2) | instskip(SKIP_1) | instid1(VALU_DEP_3)
	v_add_nc_u32_e32 v20, v7, v15
	v_cmp_le_i32_e64 s7, v14, v15
	v_add_nc_u32_e32 v21, v7, v16
	v_cmp_gt_i32_e64 s9, v1, v16
	ds_load_u8 v17, v20
	ds_load_u8 v18, v21
	s_waitcnt lgkmcnt(1)
	v_bfe_i32 v17, v17, 0, 8
	s_waitcnt lgkmcnt(0)
	v_bfe_i32 v18, v18, 0, 8
	s_delay_alu instid0(VALU_DEP_1) | instskip(NEXT) | instid1(VALU_DEP_1)
	v_cmp_lt_i16_e64 s8, v18, v17
	s_or_b32 s7, s7, s8
	s_delay_alu instid0(SALU_CYCLE_1) | instskip(NEXT) | instid1(SALU_CYCLE_1)
	s_and_b32 s7, s9, s7
	s_xor_b32 s8, s7, -1
	s_delay_alu instid0(SALU_CYCLE_1) | instskip(NEXT) | instid1(SALU_CYCLE_1)
	s_and_saveexec_b32 s9, s8
	s_xor_b32 s8, exec_lo, s9
	s_cbranch_execz .LBB83_56
; %bb.55:
	ds_load_u8 v19, v20 offset:1
                                        ; implicit-def: $vgpr21
.LBB83_56:
	s_or_saveexec_b32 s8, s8
	v_mov_b32_e32 v20, v18
	s_xor_b32 exec_lo, exec_lo, s8
	s_cbranch_execz .LBB83_58
; %bb.57:
	ds_load_u8 v20, v21 offset:1
	s_waitcnt lgkmcnt(1)
	v_mov_b32_e32 v19, v17
.LBB83_58:
	s_or_b32 exec_lo, exec_lo, s8
	v_add_nc_u32_e32 v21, 1, v15
	v_add_nc_u32_e32 v22, 1, v16
	s_waitcnt lgkmcnt(0)
	v_bfe_i32 v23, v19, 0, 8
	v_bfe_i32 v24, v20, 0, 8
	v_cndmask_b32_e64 v21, v21, v15, s7
	v_cndmask_b32_e64 v22, v16, v22, s7
	s_delay_alu instid0(VALU_DEP_3) | instskip(NEXT) | instid1(VALU_DEP_3)
	v_cmp_lt_i16_e64 s9, v24, v23
                                        ; implicit-def: $vgpr23
	v_cmp_ge_i32_e64 s8, v21, v14
	s_delay_alu instid0(VALU_DEP_3) | instskip(NEXT) | instid1(VALU_DEP_2)
	v_cmp_lt_i32_e64 s10, v22, v1
	s_or_b32 s8, s8, s9
	s_delay_alu instid0(VALU_DEP_1) | instid1(SALU_CYCLE_1)
	s_and_b32 s8, s10, s8
	s_delay_alu instid0(SALU_CYCLE_1) | instskip(NEXT) | instid1(SALU_CYCLE_1)
	s_xor_b32 s9, s8, -1
	s_and_saveexec_b32 s10, s9
	s_delay_alu instid0(SALU_CYCLE_1)
	s_xor_b32 s9, exec_lo, s10
	s_cbranch_execz .LBB83_60
; %bb.59:
	v_add_nc_u32_e32 v23, v7, v21
	ds_load_u8 v23, v23 offset:1
.LBB83_60:
	s_or_saveexec_b32 s9, s9
	v_mov_b32_e32 v24, v20
	s_xor_b32 exec_lo, exec_lo, s9
	s_cbranch_execz .LBB83_62
; %bb.61:
	s_waitcnt lgkmcnt(0)
	v_add_nc_u32_e32 v23, v7, v22
	ds_load_u8 v24, v23 offset:1
	v_mov_b32_e32 v23, v19
.LBB83_62:
	s_or_b32 exec_lo, exec_lo, s9
	v_add_nc_u32_e32 v25, 1, v21
	v_add_nc_u32_e32 v26, 1, v22
	s_waitcnt lgkmcnt(0)
	v_bfe_i32 v27, v23, 0, 8
	v_bfe_i32 v28, v24, 0, 8
	v_cndmask_b32_e64 v25, v25, v21, s8
	v_cndmask_b32_e64 v26, v22, v26, s8
	s_delay_alu instid0(VALU_DEP_3) | instskip(NEXT) | instid1(VALU_DEP_3)
	v_cmp_lt_i16_e64 s10, v28, v27
                                        ; implicit-def: $vgpr27
	v_cmp_ge_i32_e64 s9, v25, v14
	s_delay_alu instid0(VALU_DEP_3) | instskip(NEXT) | instid1(VALU_DEP_2)
	v_cmp_lt_i32_e64 s11, v26, v1
	s_or_b32 s9, s9, s10
	s_delay_alu instid0(VALU_DEP_1) | instid1(SALU_CYCLE_1)
	s_and_b32 s9, s11, s9
	s_delay_alu instid0(SALU_CYCLE_1) | instskip(NEXT) | instid1(SALU_CYCLE_1)
	s_xor_b32 s10, s9, -1
	s_and_saveexec_b32 s11, s10
	s_delay_alu instid0(SALU_CYCLE_1)
	s_xor_b32 s10, exec_lo, s11
	s_cbranch_execz .LBB83_64
; %bb.63:
	v_add_nc_u32_e32 v27, v7, v25
	ds_load_u8 v27, v27 offset:1
.LBB83_64:
	s_or_saveexec_b32 s10, s10
	v_mov_b32_e32 v28, v24
	s_xor_b32 exec_lo, exec_lo, s10
	s_cbranch_execz .LBB83_66
; %bb.65:
	s_waitcnt lgkmcnt(0)
	v_add_nc_u32_e32 v27, v7, v26
	ds_load_u8 v28, v27 offset:1
	v_mov_b32_e32 v27, v23
.LBB83_66:
	s_or_b32 exec_lo, exec_lo, s10
	v_add_nc_u32_e32 v29, 1, v25
	v_add_nc_u32_e32 v30, 1, v26
	s_waitcnt lgkmcnt(0)
	v_bfe_i32 v31, v27, 0, 8
	v_bfe_i32 v32, v28, 0, 8
	v_cndmask_b32_e64 v29, v29, v25, s9
	v_cndmask_b32_e64 v30, v26, v30, s9
	s_delay_alu instid0(VALU_DEP_3) | instskip(NEXT) | instid1(VALU_DEP_3)
	v_cmp_lt_i16_e64 s11, v32, v31
                                        ; implicit-def: $vgpr31
	v_cmp_ge_i32_e64 s10, v29, v14
	s_delay_alu instid0(VALU_DEP_3) | instskip(NEXT) | instid1(VALU_DEP_2)
	v_cmp_lt_i32_e64 s12, v30, v1
	s_or_b32 s10, s10, s11
	s_delay_alu instid0(VALU_DEP_1) | instid1(SALU_CYCLE_1)
	s_and_b32 s10, s12, s10
	s_delay_alu instid0(SALU_CYCLE_1) | instskip(NEXT) | instid1(SALU_CYCLE_1)
	s_xor_b32 s11, s10, -1
	s_and_saveexec_b32 s12, s11
	s_delay_alu instid0(SALU_CYCLE_1)
	s_xor_b32 s11, exec_lo, s12
	s_cbranch_execz .LBB83_68
; %bb.67:
	v_add_nc_u32_e32 v31, v7, v29
	ds_load_u8 v31, v31 offset:1
.LBB83_68:
	s_or_saveexec_b32 s11, s11
	v_mov_b32_e32 v32, v28
	s_xor_b32 exec_lo, exec_lo, s11
	s_cbranch_execz .LBB83_70
; %bb.69:
	s_waitcnt lgkmcnt(0)
	v_add_nc_u32_e32 v31, v7, v30
	ds_load_u8 v32, v31 offset:1
	v_mov_b32_e32 v31, v27
.LBB83_70:
	s_or_b32 exec_lo, exec_lo, s11
	v_add_nc_u32_e32 v33, 1, v29
	v_add_nc_u32_e32 v34, 1, v30
	s_waitcnt lgkmcnt(0)
	v_bfe_i32 v35, v31, 0, 8
	v_bfe_i32 v36, v32, 0, 8
	v_cndmask_b32_e64 v33, v33, v29, s10
	v_cndmask_b32_e64 v34, v30, v34, s10
	s_delay_alu instid0(VALU_DEP_3) | instskip(NEXT) | instid1(VALU_DEP_3)
	v_cmp_lt_i16_e64 s12, v36, v35
                                        ; implicit-def: $vgpr35
	v_cmp_ge_i32_e64 s11, v33, v14
	s_delay_alu instid0(VALU_DEP_3) | instskip(NEXT) | instid1(VALU_DEP_2)
	v_cmp_lt_i32_e64 s13, v34, v1
	s_or_b32 s11, s11, s12
	s_delay_alu instid0(VALU_DEP_1) | instid1(SALU_CYCLE_1)
	s_and_b32 s11, s13, s11
	s_delay_alu instid0(SALU_CYCLE_1) | instskip(NEXT) | instid1(SALU_CYCLE_1)
	s_xor_b32 s12, s11, -1
	s_and_saveexec_b32 s13, s12
	s_delay_alu instid0(SALU_CYCLE_1)
	s_xor_b32 s12, exec_lo, s13
	s_cbranch_execz .LBB83_72
; %bb.71:
	v_add_nc_u32_e32 v35, v7, v33
	ds_load_u8 v35, v35 offset:1
.LBB83_72:
	s_or_saveexec_b32 s12, s12
	v_mov_b32_e32 v36, v32
	s_xor_b32 exec_lo, exec_lo, s12
	s_cbranch_execz .LBB83_74
; %bb.73:
	s_waitcnt lgkmcnt(0)
	v_add_nc_u32_e32 v35, v7, v34
	ds_load_u8 v36, v35 offset:1
	v_mov_b32_e32 v35, v31
.LBB83_74:
	s_or_b32 exec_lo, exec_lo, s12
	v_add_nc_u32_e32 v37, 1, v33
	v_add_nc_u32_e32 v38, 1, v34
	s_waitcnt lgkmcnt(0)
	v_bfe_i32 v39, v35, 0, 8
	v_bfe_i32 v40, v36, 0, 8
	v_cndmask_b32_e64 v37, v37, v33, s11
	v_cndmask_b32_e64 v38, v34, v38, s11
	s_delay_alu instid0(VALU_DEP_3) | instskip(NEXT) | instid1(VALU_DEP_3)
	v_cmp_lt_i16_e64 s13, v40, v39
                                        ; implicit-def: $vgpr40
	v_cmp_ge_i32_e64 s12, v37, v14
	s_delay_alu instid0(VALU_DEP_3) | instskip(NEXT) | instid1(VALU_DEP_2)
	v_cmp_lt_i32_e64 s14, v38, v1
	s_or_b32 s12, s12, s13
	s_delay_alu instid0(VALU_DEP_1) | instid1(SALU_CYCLE_1)
	s_and_b32 s12, s14, s12
	s_delay_alu instid0(SALU_CYCLE_1) | instskip(NEXT) | instid1(SALU_CYCLE_1)
	s_xor_b32 s13, s12, -1
	s_and_saveexec_b32 s14, s13
	s_delay_alu instid0(SALU_CYCLE_1)
	s_xor_b32 s13, exec_lo, s14
	s_cbranch_execz .LBB83_76
; %bb.75:
	v_add_nc_u32_e32 v39, v7, v37
	ds_load_u8 v40, v39 offset:1
.LBB83_76:
	s_or_saveexec_b32 s13, s13
	v_mov_b32_e32 v42, v36
	s_xor_b32 exec_lo, exec_lo, s13
	s_cbranch_execz .LBB83_78
; %bb.77:
	v_add_nc_u32_e32 v39, v7, v38
	s_waitcnt lgkmcnt(0)
	v_mov_b32_e32 v40, v35
	ds_load_u8 v42, v39 offset:1
.LBB83_78:
	s_or_b32 exec_lo, exec_lo, s13
	v_add_nc_u32_e32 v39, 1, v37
	v_add_nc_u32_e32 v41, 1, v38
	s_waitcnt lgkmcnt(0)
	v_bfe_i32 v45, v40, 0, 8
	s_delay_alu instid0(VALU_DEP_3) | instskip(SKIP_2) | instid1(VALU_DEP_3)
	v_cndmask_b32_e64 v43, v39, v37, s12
	v_bfe_i32 v39, v42, 0, 8
	v_cndmask_b32_e64 v44, v38, v41, s12
	v_cmp_ge_i32_e64 s13, v43, v14
	s_delay_alu instid0(VALU_DEP_3) | instskip(NEXT) | instid1(VALU_DEP_3)
	v_cmp_lt_i16_e64 s14, v39, v45
	v_cmp_lt_i32_e64 s15, v44, v1
                                        ; implicit-def: $vgpr39
	s_delay_alu instid0(VALU_DEP_2)
	s_or_b32 s13, s13, s14
	s_delay_alu instid0(VALU_DEP_1) | instid1(SALU_CYCLE_1)
	s_and_b32 s13, s15, s13
	s_delay_alu instid0(SALU_CYCLE_1) | instskip(NEXT) | instid1(SALU_CYCLE_1)
	s_xor_b32 s14, s13, -1
	s_and_saveexec_b32 s15, s14
	s_delay_alu instid0(SALU_CYCLE_1)
	s_xor_b32 s14, exec_lo, s15
	s_cbranch_execz .LBB83_80
; %bb.79:
	v_add_nc_u32_e32 v39, v7, v43
	ds_load_u8 v39, v39 offset:1
.LBB83_80:
	s_or_saveexec_b32 s14, s14
	v_mov_b32_e32 v41, v42
	s_xor_b32 exec_lo, exec_lo, s14
	s_cbranch_execz .LBB83_82
; %bb.81:
	s_waitcnt lgkmcnt(0)
	v_add_nc_u32_e32 v39, v7, v44
	ds_load_u8 v41, v39 offset:1
	v_mov_b32_e32 v39, v40
.LBB83_82:
	s_or_b32 exec_lo, exec_lo, s14
	v_lshlrev_b16 v13, 8, v13
	v_and_b32_e32 v11, 0xff, v11
	v_lshlrev_b16 v12, 8, v12
	v_and_b32_e32 v10, 0xff, v10
	;; [unrolled: 2-line block ×4, first 2 shown]
	v_add_nc_u32_e32 v45, 1, v44
	v_or_b32_e32 v11, v11, v13
	v_or_b32_e32 v10, v10, v12
	;; [unrolled: 1-line block ×4, first 2 shown]
	v_add_nc_u32_e32 v46, 1, v43
	v_cndmask_b32_e64 v40, v40, v42, s13
	v_cndmask_b32_e64 v42, v43, v44, s13
	;; [unrolled: 1-line block ×3, first 2 shown]
	v_and_b32_e32 v8, 0xffff, v11
	v_lshlrev_b32_e32 v9, 16, v10
	v_and_b32_e32 v3, 0xffff, v3
	v_lshlrev_b32_e32 v0, 16, v0
	v_cndmask_b32_e64 v43, v46, v43, s13
	v_cndmask_b32_e64 v27, v27, v28, s10
	;; [unrolled: 1-line block ×3, first 2 shown]
	v_cmp_lt_i32_e64 s10, v44, v1
	v_or_b32_e32 v1, v8, v9
	v_or_b32_e32 v0, v3, v0
	v_cndmask_b32_e64 v19, v19, v20, s8
	v_cndmask_b32_e64 v20, v21, v22, s8
	;; [unrolled: 1-line block ×3, first 2 shown]
	v_cmp_ge_i32_e64 s8, v43, v14
	s_waitcnt lgkmcnt(0)
	v_bfe_i32 v14, v39, 0, 8
	v_bfe_i32 v18, v41, 0, 8
	; wave barrier
	ds_store_b64 v2, v[0:1]
	v_and_b32_e32 v0, 0xc0, v4
	v_cndmask_b32_e64 v23, v23, v24, s9
	v_cndmask_b32_e64 v24, v25, v26, s9
	v_cmp_lt_i16_e64 s9, v18, v14
	v_cndmask_b32_e64 v10, v15, v16, s7
	v_min_i32_e32 v15, v6, v0
	v_cndmask_b32_e64 v35, v35, v36, s12
	v_cndmask_b32_e64 v36, v37, v38, s12
	s_or_b32 s7, s8, s9
	v_cndmask_b32_e64 v31, v31, v32, s11
	v_add_nc_u32_e32 v0, 32, v15
	s_and_b32 s7, s10, s7
	v_cndmask_b32_e64 v32, v33, v34, s11
	v_cndmask_b32_e64 v3, v43, v44, s7
	v_add_nc_u32_e32 v1, v7, v10
	v_add_nc_u32_e32 v8, v7, v20
	v_min_i32_e32 v14, v6, v0
	v_add_nc_u32_e32 v10, v7, v24
	v_add_nc_u32_e32 v11, v7, v28
	v_add_nc_u32_e32 v12, v7, v32
	v_add_nc_u32_e32 v13, v7, v36
	; wave barrier
	v_add_nc_u32_e32 v18, v7, v42
	v_add_nc_u32_e32 v20, v7, v3
	ds_load_u8 v3, v1
	ds_load_u8 v9, v8
	ds_load_u8 v0, v10
	ds_load_u8 v8, v11
	ds_load_u8 v11, v12
	ds_load_u8 v13, v13
	ds_load_u8 v10, v18
	ds_load_u8 v12, v20
	v_cndmask_b32_e64 v16, v39, v41, s7
	v_lshlrev_b16 v19, 8, v19
	v_and_b32_e32 v17, 0xff, v17
	v_lshlrev_b16 v21, 8, v27
	v_and_b32_e32 v22, 0xff, v23
	v_add_nc_u32_e32 v1, 32, v14
	v_and_b32_e32 v20, 0xff, v31
	v_or_b32_e32 v17, v17, v19
	v_lshlrev_b16 v19, 8, v35
	v_or_b32_e32 v18, v22, v21
	v_and_b32_e32 v21, 56, v4
	v_min_i32_e32 v1, v6, v1
	v_and_b32_e32 v22, 0xff, v40
	v_lshlrev_b16 v23, 8, v16
	v_or_b32_e32 v19, v20, v19
	v_min_i32_e32 v16, v6, v21
	v_sub_nc_u32_e32 v20, v1, v14
	v_and_b32_e32 v17, 0xffff, v17
	v_or_b32_e32 v21, v22, v23
	v_lshlrev_b32_e32 v18, 16, v18
	v_and_b32_e32 v22, 0xffff, v19
	v_sub_nc_u32_e32 v23, v16, v20
	v_sub_nc_u32_e32 v24, v14, v15
	v_lshlrev_b32_e32 v21, 16, v21
	v_cmp_ge_i32_e64 s7, v16, v20
	v_or_b32_e32 v19, v17, v18
	s_mov_b32 s9, 0
	v_min_i32_e32 v18, v16, v24
	v_or_b32_e32 v20, v22, v21
	v_cndmask_b32_e64 v17, 0, v23, s7
	s_mov_b32 s8, exec_lo
	; wave barrier
	ds_store_b64 v2, v[19:20]
	; wave barrier
	v_cmpx_lt_i32_e64 v17, v18
	s_cbranch_execz .LBB83_86
; %bb.83:
	v_add_nc_u32_e32 v19, v7, v15
	v_add3_u32 v20, v7, v14, v16
	.p2align	6
.LBB83_84:                              ; =>This Inner Loop Header: Depth=1
	v_sub_nc_u32_e32 v21, v18, v17
	s_delay_alu instid0(VALU_DEP_1) | instskip(NEXT) | instid1(VALU_DEP_1)
	v_lshrrev_b32_e32 v22, 31, v21
	v_add_nc_u32_e32 v21, v21, v22
	s_delay_alu instid0(VALU_DEP_1) | instskip(NEXT) | instid1(VALU_DEP_1)
	v_ashrrev_i32_e32 v21, 1, v21
	v_add_nc_u32_e32 v21, v21, v17
	s_delay_alu instid0(VALU_DEP_1)
	v_add_nc_u32_e32 v22, v19, v21
	v_xad_u32 v23, v21, -1, v20
	v_add_nc_u32_e32 v24, 1, v21
	ds_load_i8 v22, v22
	ds_load_i8 v23, v23
	s_waitcnt lgkmcnt(0)
	v_cmp_lt_i16_e64 s7, v23, v22
	s_delay_alu instid0(VALU_DEP_1) | instskip(SKIP_1) | instid1(VALU_DEP_1)
	v_cndmask_b32_e64 v18, v18, v21, s7
	v_cndmask_b32_e64 v17, v24, v17, s7
	v_cmp_ge_i32_e64 s7, v17, v18
	s_delay_alu instid0(VALU_DEP_1) | instskip(NEXT) | instid1(SALU_CYCLE_1)
	s_or_b32 s9, s7, s9
	s_and_not1_b32 exec_lo, exec_lo, s9
	s_cbranch_execnz .LBB83_84
; %bb.85:
	s_or_b32 exec_lo, exec_lo, s9
.LBB83_86:
	s_delay_alu instid0(SALU_CYCLE_1) | instskip(SKIP_2) | instid1(VALU_DEP_2)
	s_or_b32 exec_lo, exec_lo, s8
	v_add_nc_u32_e32 v16, v14, v16
	v_add_nc_u32_e32 v15, v17, v15
                                        ; implicit-def: $vgpr19
	v_sub_nc_u32_e32 v16, v16, v17
	s_delay_alu instid0(VALU_DEP_2) | instskip(SKIP_1) | instid1(VALU_DEP_3)
	v_add_nc_u32_e32 v20, v7, v15
	v_cmp_le_i32_e64 s7, v14, v15
	v_add_nc_u32_e32 v21, v7, v16
	v_cmp_gt_i32_e64 s9, v1, v16
	ds_load_u8 v17, v20
	ds_load_u8 v18, v21
	s_waitcnt lgkmcnt(1)
	v_bfe_i32 v17, v17, 0, 8
	s_waitcnt lgkmcnt(0)
	v_bfe_i32 v18, v18, 0, 8
	s_delay_alu instid0(VALU_DEP_1) | instskip(NEXT) | instid1(VALU_DEP_1)
	v_cmp_lt_i16_e64 s8, v18, v17
	s_or_b32 s7, s7, s8
	s_delay_alu instid0(SALU_CYCLE_1) | instskip(NEXT) | instid1(SALU_CYCLE_1)
	s_and_b32 s7, s9, s7
	s_xor_b32 s8, s7, -1
	s_delay_alu instid0(SALU_CYCLE_1) | instskip(NEXT) | instid1(SALU_CYCLE_1)
	s_and_saveexec_b32 s9, s8
	s_xor_b32 s8, exec_lo, s9
	s_cbranch_execz .LBB83_88
; %bb.87:
	ds_load_u8 v19, v20 offset:1
                                        ; implicit-def: $vgpr21
.LBB83_88:
	s_or_saveexec_b32 s8, s8
	v_mov_b32_e32 v20, v18
	s_xor_b32 exec_lo, exec_lo, s8
	s_cbranch_execz .LBB83_90
; %bb.89:
	ds_load_u8 v20, v21 offset:1
	s_waitcnt lgkmcnt(1)
	v_mov_b32_e32 v19, v17
.LBB83_90:
	s_or_b32 exec_lo, exec_lo, s8
	v_add_nc_u32_e32 v21, 1, v15
	v_add_nc_u32_e32 v22, 1, v16
	s_waitcnt lgkmcnt(0)
	v_bfe_i32 v23, v19, 0, 8
	v_bfe_i32 v24, v20, 0, 8
	v_cndmask_b32_e64 v21, v21, v15, s7
	v_cndmask_b32_e64 v22, v16, v22, s7
	s_delay_alu instid0(VALU_DEP_3) | instskip(NEXT) | instid1(VALU_DEP_3)
	v_cmp_lt_i16_e64 s9, v24, v23
                                        ; implicit-def: $vgpr23
	v_cmp_ge_i32_e64 s8, v21, v14
	s_delay_alu instid0(VALU_DEP_3) | instskip(NEXT) | instid1(VALU_DEP_2)
	v_cmp_lt_i32_e64 s10, v22, v1
	s_or_b32 s8, s8, s9
	s_delay_alu instid0(VALU_DEP_1) | instid1(SALU_CYCLE_1)
	s_and_b32 s8, s10, s8
	s_delay_alu instid0(SALU_CYCLE_1) | instskip(NEXT) | instid1(SALU_CYCLE_1)
	s_xor_b32 s9, s8, -1
	s_and_saveexec_b32 s10, s9
	s_delay_alu instid0(SALU_CYCLE_1)
	s_xor_b32 s9, exec_lo, s10
	s_cbranch_execz .LBB83_92
; %bb.91:
	v_add_nc_u32_e32 v23, v7, v21
	ds_load_u8 v23, v23 offset:1
.LBB83_92:
	s_or_saveexec_b32 s9, s9
	v_mov_b32_e32 v24, v20
	s_xor_b32 exec_lo, exec_lo, s9
	s_cbranch_execz .LBB83_94
; %bb.93:
	s_waitcnt lgkmcnt(0)
	v_add_nc_u32_e32 v23, v7, v22
	ds_load_u8 v24, v23 offset:1
	v_mov_b32_e32 v23, v19
.LBB83_94:
	s_or_b32 exec_lo, exec_lo, s9
	v_add_nc_u32_e32 v25, 1, v21
	v_add_nc_u32_e32 v26, 1, v22
	s_waitcnt lgkmcnt(0)
	v_bfe_i32 v27, v23, 0, 8
	v_bfe_i32 v28, v24, 0, 8
	v_cndmask_b32_e64 v25, v25, v21, s8
	v_cndmask_b32_e64 v26, v22, v26, s8
	s_delay_alu instid0(VALU_DEP_3) | instskip(NEXT) | instid1(VALU_DEP_3)
	v_cmp_lt_i16_e64 s10, v28, v27
                                        ; implicit-def: $vgpr27
	v_cmp_ge_i32_e64 s9, v25, v14
	s_delay_alu instid0(VALU_DEP_3) | instskip(NEXT) | instid1(VALU_DEP_2)
	v_cmp_lt_i32_e64 s11, v26, v1
	s_or_b32 s9, s9, s10
	s_delay_alu instid0(VALU_DEP_1) | instid1(SALU_CYCLE_1)
	s_and_b32 s9, s11, s9
	s_delay_alu instid0(SALU_CYCLE_1) | instskip(NEXT) | instid1(SALU_CYCLE_1)
	s_xor_b32 s10, s9, -1
	s_and_saveexec_b32 s11, s10
	s_delay_alu instid0(SALU_CYCLE_1)
	s_xor_b32 s10, exec_lo, s11
	s_cbranch_execz .LBB83_96
; %bb.95:
	v_add_nc_u32_e32 v27, v7, v25
	ds_load_u8 v27, v27 offset:1
.LBB83_96:
	s_or_saveexec_b32 s10, s10
	v_mov_b32_e32 v28, v24
	s_xor_b32 exec_lo, exec_lo, s10
	s_cbranch_execz .LBB83_98
; %bb.97:
	s_waitcnt lgkmcnt(0)
	v_add_nc_u32_e32 v27, v7, v26
	ds_load_u8 v28, v27 offset:1
	v_mov_b32_e32 v27, v23
.LBB83_98:
	s_or_b32 exec_lo, exec_lo, s10
	v_add_nc_u32_e32 v29, 1, v25
	v_add_nc_u32_e32 v30, 1, v26
	s_waitcnt lgkmcnt(0)
	v_bfe_i32 v31, v27, 0, 8
	v_bfe_i32 v32, v28, 0, 8
	v_cndmask_b32_e64 v29, v29, v25, s9
	v_cndmask_b32_e64 v30, v26, v30, s9
	s_delay_alu instid0(VALU_DEP_3) | instskip(NEXT) | instid1(VALU_DEP_3)
	v_cmp_lt_i16_e64 s11, v32, v31
                                        ; implicit-def: $vgpr31
	v_cmp_ge_i32_e64 s10, v29, v14
	s_delay_alu instid0(VALU_DEP_3) | instskip(NEXT) | instid1(VALU_DEP_2)
	v_cmp_lt_i32_e64 s12, v30, v1
	s_or_b32 s10, s10, s11
	s_delay_alu instid0(VALU_DEP_1) | instid1(SALU_CYCLE_1)
	s_and_b32 s10, s12, s10
	s_delay_alu instid0(SALU_CYCLE_1) | instskip(NEXT) | instid1(SALU_CYCLE_1)
	s_xor_b32 s11, s10, -1
	s_and_saveexec_b32 s12, s11
	s_delay_alu instid0(SALU_CYCLE_1)
	s_xor_b32 s11, exec_lo, s12
	s_cbranch_execz .LBB83_100
; %bb.99:
	v_add_nc_u32_e32 v31, v7, v29
	ds_load_u8 v31, v31 offset:1
.LBB83_100:
	s_or_saveexec_b32 s11, s11
	v_mov_b32_e32 v32, v28
	s_xor_b32 exec_lo, exec_lo, s11
	s_cbranch_execz .LBB83_102
; %bb.101:
	s_waitcnt lgkmcnt(0)
	v_add_nc_u32_e32 v31, v7, v30
	ds_load_u8 v32, v31 offset:1
	v_mov_b32_e32 v31, v27
.LBB83_102:
	s_or_b32 exec_lo, exec_lo, s11
	v_add_nc_u32_e32 v33, 1, v29
	v_add_nc_u32_e32 v34, 1, v30
	s_waitcnt lgkmcnt(0)
	v_bfe_i32 v35, v31, 0, 8
	v_bfe_i32 v36, v32, 0, 8
	v_cndmask_b32_e64 v33, v33, v29, s10
	v_cndmask_b32_e64 v34, v30, v34, s10
	s_delay_alu instid0(VALU_DEP_3) | instskip(NEXT) | instid1(VALU_DEP_3)
	v_cmp_lt_i16_e64 s12, v36, v35
                                        ; implicit-def: $vgpr35
	v_cmp_ge_i32_e64 s11, v33, v14
	s_delay_alu instid0(VALU_DEP_3) | instskip(NEXT) | instid1(VALU_DEP_2)
	v_cmp_lt_i32_e64 s13, v34, v1
	s_or_b32 s11, s11, s12
	s_delay_alu instid0(VALU_DEP_1) | instid1(SALU_CYCLE_1)
	s_and_b32 s11, s13, s11
	s_delay_alu instid0(SALU_CYCLE_1) | instskip(NEXT) | instid1(SALU_CYCLE_1)
	s_xor_b32 s12, s11, -1
	s_and_saveexec_b32 s13, s12
	s_delay_alu instid0(SALU_CYCLE_1)
	s_xor_b32 s12, exec_lo, s13
	s_cbranch_execz .LBB83_104
; %bb.103:
	v_add_nc_u32_e32 v35, v7, v33
	ds_load_u8 v35, v35 offset:1
.LBB83_104:
	s_or_saveexec_b32 s12, s12
	v_mov_b32_e32 v36, v32
	s_xor_b32 exec_lo, exec_lo, s12
	s_cbranch_execz .LBB83_106
; %bb.105:
	s_waitcnt lgkmcnt(0)
	v_add_nc_u32_e32 v35, v7, v34
	ds_load_u8 v36, v35 offset:1
	v_mov_b32_e32 v35, v31
.LBB83_106:
	s_or_b32 exec_lo, exec_lo, s12
	v_add_nc_u32_e32 v37, 1, v33
	v_add_nc_u32_e32 v38, 1, v34
	s_waitcnt lgkmcnt(0)
	v_bfe_i32 v39, v35, 0, 8
	v_bfe_i32 v40, v36, 0, 8
	v_cndmask_b32_e64 v37, v37, v33, s11
	v_cndmask_b32_e64 v38, v34, v38, s11
	s_delay_alu instid0(VALU_DEP_3) | instskip(NEXT) | instid1(VALU_DEP_3)
	v_cmp_lt_i16_e64 s13, v40, v39
                                        ; implicit-def: $vgpr40
	v_cmp_ge_i32_e64 s12, v37, v14
	s_delay_alu instid0(VALU_DEP_3) | instskip(NEXT) | instid1(VALU_DEP_2)
	v_cmp_lt_i32_e64 s14, v38, v1
	s_or_b32 s12, s12, s13
	s_delay_alu instid0(VALU_DEP_1) | instid1(SALU_CYCLE_1)
	s_and_b32 s12, s14, s12
	s_delay_alu instid0(SALU_CYCLE_1) | instskip(NEXT) | instid1(SALU_CYCLE_1)
	s_xor_b32 s13, s12, -1
	s_and_saveexec_b32 s14, s13
	s_delay_alu instid0(SALU_CYCLE_1)
	s_xor_b32 s13, exec_lo, s14
	s_cbranch_execz .LBB83_108
; %bb.107:
	v_add_nc_u32_e32 v39, v7, v37
	ds_load_u8 v40, v39 offset:1
.LBB83_108:
	s_or_saveexec_b32 s13, s13
	v_mov_b32_e32 v42, v36
	s_xor_b32 exec_lo, exec_lo, s13
	s_cbranch_execz .LBB83_110
; %bb.109:
	v_add_nc_u32_e32 v39, v7, v38
	s_waitcnt lgkmcnt(0)
	v_mov_b32_e32 v40, v35
	ds_load_u8 v42, v39 offset:1
.LBB83_110:
	s_or_b32 exec_lo, exec_lo, s13
	v_add_nc_u32_e32 v39, 1, v37
	v_add_nc_u32_e32 v41, 1, v38
	s_waitcnt lgkmcnt(0)
	v_bfe_i32 v45, v40, 0, 8
	s_delay_alu instid0(VALU_DEP_3) | instskip(SKIP_2) | instid1(VALU_DEP_3)
	v_cndmask_b32_e64 v43, v39, v37, s12
	v_bfe_i32 v39, v42, 0, 8
	v_cndmask_b32_e64 v44, v38, v41, s12
	v_cmp_ge_i32_e64 s13, v43, v14
	s_delay_alu instid0(VALU_DEP_3) | instskip(NEXT) | instid1(VALU_DEP_3)
	v_cmp_lt_i16_e64 s14, v39, v45
	v_cmp_lt_i32_e64 s15, v44, v1
                                        ; implicit-def: $vgpr39
	s_delay_alu instid0(VALU_DEP_2)
	s_or_b32 s13, s13, s14
	s_delay_alu instid0(VALU_DEP_1) | instid1(SALU_CYCLE_1)
	s_and_b32 s13, s15, s13
	s_delay_alu instid0(SALU_CYCLE_1) | instskip(NEXT) | instid1(SALU_CYCLE_1)
	s_xor_b32 s14, s13, -1
	s_and_saveexec_b32 s15, s14
	s_delay_alu instid0(SALU_CYCLE_1)
	s_xor_b32 s14, exec_lo, s15
	s_cbranch_execz .LBB83_112
; %bb.111:
	v_add_nc_u32_e32 v39, v7, v43
	ds_load_u8 v39, v39 offset:1
.LBB83_112:
	s_or_saveexec_b32 s14, s14
	v_mov_b32_e32 v41, v42
	s_xor_b32 exec_lo, exec_lo, s14
	s_cbranch_execz .LBB83_114
; %bb.113:
	s_waitcnt lgkmcnt(0)
	v_add_nc_u32_e32 v39, v7, v44
	ds_load_u8 v41, v39 offset:1
	v_mov_b32_e32 v39, v40
.LBB83_114:
	s_or_b32 exec_lo, exec_lo, s14
	v_lshlrev_b16 v13, 8, v13
	v_and_b32_e32 v11, 0xff, v11
	v_lshlrev_b16 v12, 8, v12
	v_and_b32_e32 v10, 0xff, v10
	;; [unrolled: 2-line block ×4, first 2 shown]
	v_add_nc_u32_e32 v45, 1, v44
	v_or_b32_e32 v11, v11, v13
	v_or_b32_e32 v10, v10, v12
	;; [unrolled: 1-line block ×4, first 2 shown]
	v_add_nc_u32_e32 v46, 1, v43
	v_cndmask_b32_e64 v40, v40, v42, s13
	v_cndmask_b32_e64 v42, v43, v44, s13
	;; [unrolled: 1-line block ×3, first 2 shown]
	v_and_b32_e32 v8, 0xffff, v11
	v_lshlrev_b32_e32 v9, 16, v10
	v_and_b32_e32 v3, 0xffff, v3
	v_lshlrev_b32_e32 v0, 16, v0
	v_cndmask_b32_e64 v43, v46, v43, s13
	v_cndmask_b32_e64 v27, v27, v28, s10
	;; [unrolled: 1-line block ×3, first 2 shown]
	v_cmp_lt_i32_e64 s10, v44, v1
	v_or_b32_e32 v1, v8, v9
	v_or_b32_e32 v0, v3, v0
	v_cndmask_b32_e64 v19, v19, v20, s8
	v_cndmask_b32_e64 v20, v21, v22, s8
	;; [unrolled: 1-line block ×3, first 2 shown]
	v_cmp_ge_i32_e64 s8, v43, v14
	s_waitcnt lgkmcnt(0)
	v_bfe_i32 v14, v39, 0, 8
	v_bfe_i32 v18, v41, 0, 8
	; wave barrier
	ds_store_b64 v2, v[0:1]
	v_and_b32_e32 v0, 0x80, v4
	v_cndmask_b32_e64 v23, v23, v24, s9
	v_cndmask_b32_e64 v24, v25, v26, s9
	v_cmp_lt_i16_e64 s9, v18, v14
	v_cndmask_b32_e64 v10, v15, v16, s7
	v_min_i32_e32 v15, v6, v0
	v_cndmask_b32_e64 v35, v35, v36, s12
	v_cndmask_b32_e64 v36, v37, v38, s12
	s_or_b32 s7, s8, s9
	v_cndmask_b32_e64 v31, v31, v32, s11
	v_add_nc_u32_e32 v0, 64, v15
	s_and_b32 s7, s10, s7
	v_cndmask_b32_e64 v32, v33, v34, s11
	v_cndmask_b32_e64 v3, v43, v44, s7
	v_add_nc_u32_e32 v1, v7, v10
	v_add_nc_u32_e32 v8, v7, v20
	v_min_i32_e32 v14, v6, v0
	v_add_nc_u32_e32 v10, v7, v24
	v_add_nc_u32_e32 v11, v7, v28
	;; [unrolled: 1-line block ×4, first 2 shown]
	; wave barrier
	v_add_nc_u32_e32 v18, v7, v42
	v_add_nc_u32_e32 v20, v7, v3
	ds_load_u8 v3, v1
	ds_load_u8 v9, v8
	;; [unrolled: 1-line block ×8, first 2 shown]
	v_cndmask_b32_e64 v16, v39, v41, s7
	v_lshlrev_b16 v19, 8, v19
	v_and_b32_e32 v17, 0xff, v17
	v_lshlrev_b16 v21, 8, v27
	v_and_b32_e32 v22, 0xff, v23
	v_add_nc_u32_e32 v1, 64, v14
	v_and_b32_e32 v20, 0xff, v31
	v_or_b32_e32 v17, v17, v19
	v_lshlrev_b16 v19, 8, v35
	v_or_b32_e32 v18, v22, v21
	v_and_b32_e32 v21, 0x78, v4
	v_min_i32_e32 v1, v6, v1
	v_and_b32_e32 v22, 0xff, v40
	v_lshlrev_b16 v23, 8, v16
	v_or_b32_e32 v19, v20, v19
	v_min_i32_e32 v16, v6, v21
	v_sub_nc_u32_e32 v20, v1, v14
	v_and_b32_e32 v17, 0xffff, v17
	v_or_b32_e32 v21, v22, v23
	v_lshlrev_b32_e32 v18, 16, v18
	v_and_b32_e32 v22, 0xffff, v19
	v_sub_nc_u32_e32 v23, v16, v20
	v_sub_nc_u32_e32 v24, v14, v15
	v_lshlrev_b32_e32 v21, 16, v21
	v_cmp_ge_i32_e64 s7, v16, v20
	v_or_b32_e32 v19, v17, v18
	s_mov_b32 s9, 0
	v_min_i32_e32 v18, v16, v24
	v_or_b32_e32 v20, v22, v21
	v_cndmask_b32_e64 v17, 0, v23, s7
	s_mov_b32 s8, exec_lo
	; wave barrier
	ds_store_b64 v2, v[19:20]
	; wave barrier
	v_cmpx_lt_i32_e64 v17, v18
	s_cbranch_execz .LBB83_118
; %bb.115:
	v_add_nc_u32_e32 v19, v7, v15
	v_add3_u32 v20, v7, v14, v16
	.p2align	6
.LBB83_116:                             ; =>This Inner Loop Header: Depth=1
	v_sub_nc_u32_e32 v21, v18, v17
	s_delay_alu instid0(VALU_DEP_1) | instskip(NEXT) | instid1(VALU_DEP_1)
	v_lshrrev_b32_e32 v22, 31, v21
	v_add_nc_u32_e32 v21, v21, v22
	s_delay_alu instid0(VALU_DEP_1) | instskip(NEXT) | instid1(VALU_DEP_1)
	v_ashrrev_i32_e32 v21, 1, v21
	v_add_nc_u32_e32 v21, v21, v17
	s_delay_alu instid0(VALU_DEP_1)
	v_add_nc_u32_e32 v22, v19, v21
	v_xad_u32 v23, v21, -1, v20
	v_add_nc_u32_e32 v24, 1, v21
	ds_load_i8 v22, v22
	ds_load_i8 v23, v23
	s_waitcnt lgkmcnt(0)
	v_cmp_lt_i16_e64 s7, v23, v22
	s_delay_alu instid0(VALU_DEP_1) | instskip(SKIP_1) | instid1(VALU_DEP_1)
	v_cndmask_b32_e64 v18, v18, v21, s7
	v_cndmask_b32_e64 v17, v24, v17, s7
	v_cmp_ge_i32_e64 s7, v17, v18
	s_delay_alu instid0(VALU_DEP_1) | instskip(NEXT) | instid1(SALU_CYCLE_1)
	s_or_b32 s9, s7, s9
	s_and_not1_b32 exec_lo, exec_lo, s9
	s_cbranch_execnz .LBB83_116
; %bb.117:
	s_or_b32 exec_lo, exec_lo, s9
.LBB83_118:
	s_delay_alu instid0(SALU_CYCLE_1) | instskip(SKIP_2) | instid1(VALU_DEP_2)
	s_or_b32 exec_lo, exec_lo, s8
	v_add_nc_u32_e32 v16, v14, v16
	v_add_nc_u32_e32 v15, v17, v15
                                        ; implicit-def: $vgpr19
	v_sub_nc_u32_e32 v16, v16, v17
	s_delay_alu instid0(VALU_DEP_2) | instskip(SKIP_1) | instid1(VALU_DEP_3)
	v_add_nc_u32_e32 v20, v7, v15
	v_cmp_le_i32_e64 s7, v14, v15
	v_add_nc_u32_e32 v21, v7, v16
	v_cmp_gt_i32_e64 s9, v1, v16
	ds_load_u8 v17, v20
	ds_load_u8 v18, v21
	s_waitcnt lgkmcnt(1)
	v_bfe_i32 v17, v17, 0, 8
	s_waitcnt lgkmcnt(0)
	v_bfe_i32 v18, v18, 0, 8
	s_delay_alu instid0(VALU_DEP_1) | instskip(NEXT) | instid1(VALU_DEP_1)
	v_cmp_lt_i16_e64 s8, v18, v17
	s_or_b32 s7, s7, s8
	s_delay_alu instid0(SALU_CYCLE_1) | instskip(NEXT) | instid1(SALU_CYCLE_1)
	s_and_b32 s7, s9, s7
	s_xor_b32 s8, s7, -1
	s_delay_alu instid0(SALU_CYCLE_1) | instskip(NEXT) | instid1(SALU_CYCLE_1)
	s_and_saveexec_b32 s9, s8
	s_xor_b32 s8, exec_lo, s9
	s_cbranch_execz .LBB83_120
; %bb.119:
	ds_load_u8 v19, v20 offset:1
                                        ; implicit-def: $vgpr21
.LBB83_120:
	s_or_saveexec_b32 s8, s8
	v_mov_b32_e32 v20, v18
	s_xor_b32 exec_lo, exec_lo, s8
	s_cbranch_execz .LBB83_122
; %bb.121:
	ds_load_u8 v20, v21 offset:1
	s_waitcnt lgkmcnt(1)
	v_mov_b32_e32 v19, v17
.LBB83_122:
	s_or_b32 exec_lo, exec_lo, s8
	v_add_nc_u32_e32 v21, 1, v15
	v_add_nc_u32_e32 v22, 1, v16
	s_waitcnt lgkmcnt(0)
	v_bfe_i32 v23, v19, 0, 8
	v_bfe_i32 v24, v20, 0, 8
	v_cndmask_b32_e64 v21, v21, v15, s7
	v_cndmask_b32_e64 v22, v16, v22, s7
	s_delay_alu instid0(VALU_DEP_3) | instskip(NEXT) | instid1(VALU_DEP_3)
	v_cmp_lt_i16_e64 s9, v24, v23
                                        ; implicit-def: $vgpr23
	v_cmp_ge_i32_e64 s8, v21, v14
	s_delay_alu instid0(VALU_DEP_3) | instskip(NEXT) | instid1(VALU_DEP_2)
	v_cmp_lt_i32_e64 s10, v22, v1
	s_or_b32 s8, s8, s9
	s_delay_alu instid0(VALU_DEP_1) | instid1(SALU_CYCLE_1)
	s_and_b32 s8, s10, s8
	s_delay_alu instid0(SALU_CYCLE_1) | instskip(NEXT) | instid1(SALU_CYCLE_1)
	s_xor_b32 s9, s8, -1
	s_and_saveexec_b32 s10, s9
	s_delay_alu instid0(SALU_CYCLE_1)
	s_xor_b32 s9, exec_lo, s10
	s_cbranch_execz .LBB83_124
; %bb.123:
	v_add_nc_u32_e32 v23, v7, v21
	ds_load_u8 v23, v23 offset:1
.LBB83_124:
	s_or_saveexec_b32 s9, s9
	v_mov_b32_e32 v24, v20
	s_xor_b32 exec_lo, exec_lo, s9
	s_cbranch_execz .LBB83_126
; %bb.125:
	s_waitcnt lgkmcnt(0)
	v_add_nc_u32_e32 v23, v7, v22
	ds_load_u8 v24, v23 offset:1
	v_mov_b32_e32 v23, v19
.LBB83_126:
	s_or_b32 exec_lo, exec_lo, s9
	v_add_nc_u32_e32 v25, 1, v21
	v_add_nc_u32_e32 v26, 1, v22
	s_waitcnt lgkmcnt(0)
	v_bfe_i32 v27, v23, 0, 8
	v_bfe_i32 v28, v24, 0, 8
	v_cndmask_b32_e64 v25, v25, v21, s8
	v_cndmask_b32_e64 v26, v22, v26, s8
	s_delay_alu instid0(VALU_DEP_3) | instskip(NEXT) | instid1(VALU_DEP_3)
	v_cmp_lt_i16_e64 s10, v28, v27
                                        ; implicit-def: $vgpr27
	v_cmp_ge_i32_e64 s9, v25, v14
	s_delay_alu instid0(VALU_DEP_3) | instskip(NEXT) | instid1(VALU_DEP_2)
	v_cmp_lt_i32_e64 s11, v26, v1
	s_or_b32 s9, s9, s10
	s_delay_alu instid0(VALU_DEP_1) | instid1(SALU_CYCLE_1)
	s_and_b32 s9, s11, s9
	s_delay_alu instid0(SALU_CYCLE_1) | instskip(NEXT) | instid1(SALU_CYCLE_1)
	s_xor_b32 s10, s9, -1
	s_and_saveexec_b32 s11, s10
	s_delay_alu instid0(SALU_CYCLE_1)
	s_xor_b32 s10, exec_lo, s11
	s_cbranch_execz .LBB83_128
; %bb.127:
	v_add_nc_u32_e32 v27, v7, v25
	ds_load_u8 v27, v27 offset:1
.LBB83_128:
	s_or_saveexec_b32 s10, s10
	v_mov_b32_e32 v28, v24
	s_xor_b32 exec_lo, exec_lo, s10
	s_cbranch_execz .LBB83_130
; %bb.129:
	s_waitcnt lgkmcnt(0)
	v_add_nc_u32_e32 v27, v7, v26
	ds_load_u8 v28, v27 offset:1
	v_mov_b32_e32 v27, v23
.LBB83_130:
	s_or_b32 exec_lo, exec_lo, s10
	v_add_nc_u32_e32 v29, 1, v25
	v_add_nc_u32_e32 v30, 1, v26
	s_waitcnt lgkmcnt(0)
	v_bfe_i32 v31, v27, 0, 8
	v_bfe_i32 v32, v28, 0, 8
	v_cndmask_b32_e64 v29, v29, v25, s9
	v_cndmask_b32_e64 v30, v26, v30, s9
	s_delay_alu instid0(VALU_DEP_3) | instskip(NEXT) | instid1(VALU_DEP_3)
	v_cmp_lt_i16_e64 s11, v32, v31
                                        ; implicit-def: $vgpr31
	v_cmp_ge_i32_e64 s10, v29, v14
	s_delay_alu instid0(VALU_DEP_3) | instskip(NEXT) | instid1(VALU_DEP_2)
	v_cmp_lt_i32_e64 s12, v30, v1
	s_or_b32 s10, s10, s11
	s_delay_alu instid0(VALU_DEP_1) | instid1(SALU_CYCLE_1)
	s_and_b32 s10, s12, s10
	s_delay_alu instid0(SALU_CYCLE_1) | instskip(NEXT) | instid1(SALU_CYCLE_1)
	s_xor_b32 s11, s10, -1
	s_and_saveexec_b32 s12, s11
	s_delay_alu instid0(SALU_CYCLE_1)
	s_xor_b32 s11, exec_lo, s12
	s_cbranch_execz .LBB83_132
; %bb.131:
	v_add_nc_u32_e32 v31, v7, v29
	ds_load_u8 v31, v31 offset:1
.LBB83_132:
	s_or_saveexec_b32 s11, s11
	v_mov_b32_e32 v32, v28
	s_xor_b32 exec_lo, exec_lo, s11
	s_cbranch_execz .LBB83_134
; %bb.133:
	s_waitcnt lgkmcnt(0)
	v_add_nc_u32_e32 v31, v7, v30
	ds_load_u8 v32, v31 offset:1
	v_mov_b32_e32 v31, v27
.LBB83_134:
	s_or_b32 exec_lo, exec_lo, s11
	v_add_nc_u32_e32 v33, 1, v29
	v_add_nc_u32_e32 v34, 1, v30
	s_waitcnt lgkmcnt(0)
	v_bfe_i32 v35, v31, 0, 8
	v_bfe_i32 v36, v32, 0, 8
	v_cndmask_b32_e64 v33, v33, v29, s10
	v_cndmask_b32_e64 v34, v30, v34, s10
	s_delay_alu instid0(VALU_DEP_3) | instskip(NEXT) | instid1(VALU_DEP_3)
	v_cmp_lt_i16_e64 s12, v36, v35
                                        ; implicit-def: $vgpr35
	v_cmp_ge_i32_e64 s11, v33, v14
	s_delay_alu instid0(VALU_DEP_3) | instskip(NEXT) | instid1(VALU_DEP_2)
	v_cmp_lt_i32_e64 s13, v34, v1
	s_or_b32 s11, s11, s12
	s_delay_alu instid0(VALU_DEP_1) | instid1(SALU_CYCLE_1)
	s_and_b32 s11, s13, s11
	s_delay_alu instid0(SALU_CYCLE_1) | instskip(NEXT) | instid1(SALU_CYCLE_1)
	s_xor_b32 s12, s11, -1
	s_and_saveexec_b32 s13, s12
	s_delay_alu instid0(SALU_CYCLE_1)
	s_xor_b32 s12, exec_lo, s13
	s_cbranch_execz .LBB83_136
; %bb.135:
	v_add_nc_u32_e32 v35, v7, v33
	ds_load_u8 v35, v35 offset:1
.LBB83_136:
	s_or_saveexec_b32 s12, s12
	v_mov_b32_e32 v36, v32
	s_xor_b32 exec_lo, exec_lo, s12
	s_cbranch_execz .LBB83_138
; %bb.137:
	s_waitcnt lgkmcnt(0)
	v_add_nc_u32_e32 v35, v7, v34
	ds_load_u8 v36, v35 offset:1
	v_mov_b32_e32 v35, v31
.LBB83_138:
	s_or_b32 exec_lo, exec_lo, s12
	v_add_nc_u32_e32 v37, 1, v33
	v_add_nc_u32_e32 v38, 1, v34
	s_waitcnt lgkmcnt(0)
	v_bfe_i32 v39, v35, 0, 8
	v_bfe_i32 v40, v36, 0, 8
	v_cndmask_b32_e64 v37, v37, v33, s11
	v_cndmask_b32_e64 v38, v34, v38, s11
	s_delay_alu instid0(VALU_DEP_3) | instskip(NEXT) | instid1(VALU_DEP_3)
	v_cmp_lt_i16_e64 s13, v40, v39
                                        ; implicit-def: $vgpr40
	v_cmp_ge_i32_e64 s12, v37, v14
	s_delay_alu instid0(VALU_DEP_3) | instskip(NEXT) | instid1(VALU_DEP_2)
	v_cmp_lt_i32_e64 s14, v38, v1
	s_or_b32 s12, s12, s13
	s_delay_alu instid0(VALU_DEP_1) | instid1(SALU_CYCLE_1)
	s_and_b32 s12, s14, s12
	s_delay_alu instid0(SALU_CYCLE_1) | instskip(NEXT) | instid1(SALU_CYCLE_1)
	s_xor_b32 s13, s12, -1
	s_and_saveexec_b32 s14, s13
	s_delay_alu instid0(SALU_CYCLE_1)
	s_xor_b32 s13, exec_lo, s14
	s_cbranch_execz .LBB83_140
; %bb.139:
	v_add_nc_u32_e32 v39, v7, v37
	ds_load_u8 v40, v39 offset:1
.LBB83_140:
	s_or_saveexec_b32 s13, s13
	v_mov_b32_e32 v42, v36
	s_xor_b32 exec_lo, exec_lo, s13
	s_cbranch_execz .LBB83_142
; %bb.141:
	v_add_nc_u32_e32 v39, v7, v38
	s_waitcnt lgkmcnt(0)
	v_mov_b32_e32 v40, v35
	ds_load_u8 v42, v39 offset:1
.LBB83_142:
	s_or_b32 exec_lo, exec_lo, s13
	v_add_nc_u32_e32 v39, 1, v37
	v_add_nc_u32_e32 v41, 1, v38
	s_waitcnt lgkmcnt(0)
	v_bfe_i32 v45, v40, 0, 8
	s_delay_alu instid0(VALU_DEP_3) | instskip(SKIP_2) | instid1(VALU_DEP_3)
	v_cndmask_b32_e64 v43, v39, v37, s12
	v_bfe_i32 v39, v42, 0, 8
	v_cndmask_b32_e64 v44, v38, v41, s12
	v_cmp_ge_i32_e64 s13, v43, v14
	s_delay_alu instid0(VALU_DEP_3) | instskip(NEXT) | instid1(VALU_DEP_3)
	v_cmp_lt_i16_e64 s14, v39, v45
	v_cmp_lt_i32_e64 s15, v44, v1
                                        ; implicit-def: $vgpr39
	s_delay_alu instid0(VALU_DEP_2)
	s_or_b32 s13, s13, s14
	s_delay_alu instid0(VALU_DEP_1) | instid1(SALU_CYCLE_1)
	s_and_b32 s13, s15, s13
	s_delay_alu instid0(SALU_CYCLE_1) | instskip(NEXT) | instid1(SALU_CYCLE_1)
	s_xor_b32 s14, s13, -1
	s_and_saveexec_b32 s15, s14
	s_delay_alu instid0(SALU_CYCLE_1)
	s_xor_b32 s14, exec_lo, s15
	s_cbranch_execz .LBB83_144
; %bb.143:
	v_add_nc_u32_e32 v39, v7, v43
	ds_load_u8 v39, v39 offset:1
.LBB83_144:
	s_or_saveexec_b32 s14, s14
	v_mov_b32_e32 v41, v42
	s_xor_b32 exec_lo, exec_lo, s14
	s_cbranch_execz .LBB83_146
; %bb.145:
	s_waitcnt lgkmcnt(0)
	v_add_nc_u32_e32 v39, v7, v44
	ds_load_u8 v41, v39 offset:1
	v_mov_b32_e32 v39, v40
.LBB83_146:
	s_or_b32 exec_lo, exec_lo, s14
	v_add_nc_u32_e32 v46, 1, v43
	v_lshlrev_b16 v13, 8, v13
	v_and_b32_e32 v11, 0xff, v11
	v_lshlrev_b16 v12, 8, v12
	v_and_b32_e32 v10, 0xff, v10
	;; [unrolled: 2-line block ×4, first 2 shown]
	v_add_nc_u32_e32 v45, 1, v44
	v_cndmask_b32_e64 v40, v40, v42, s13
	v_cndmask_b32_e64 v42, v43, v44, s13
	;; [unrolled: 1-line block ×3, first 2 shown]
	v_or_b32_e32 v11, v11, v13
	v_or_b32_e32 v10, v10, v12
	;; [unrolled: 1-line block ×4, first 2 shown]
	v_cndmask_b32_e64 v44, v44, v45, s13
	v_cndmask_b32_e64 v19, v19, v20, s8
	;; [unrolled: 1-line block ×4, first 2 shown]
	v_cmp_ge_i32_e64 s8, v43, v14
	s_waitcnt lgkmcnt(0)
	v_bfe_i32 v14, v39, 0, 8
	v_bfe_i32 v18, v41, 0, 8
	v_and_b32_e32 v8, 0xffff, v11
	v_lshlrev_b32_e32 v9, 16, v10
	v_and_b32_e32 v3, 0xffff, v3
	v_lshlrev_b32_e32 v0, 16, v0
	v_cndmask_b32_e64 v27, v27, v28, s10
	v_cndmask_b32_e64 v28, v29, v30, s10
	;; [unrolled: 1-line block ×4, first 2 shown]
	v_cmp_lt_i16_e64 s9, v18, v14
	v_cmp_lt_i32_e64 s10, v44, v1
	v_cndmask_b32_e64 v10, v15, v16, s7
	v_or_b32_e32 v1, v8, v9
	v_or_b32_e32 v0, v3, v0
	v_min_i32_e32 v15, 0, v6
	s_or_b32 s7, s8, s9
	; wave barrier
	ds_store_b64 v2, v[0:1]
	v_add_nc_u32_e32 v0, 0x80, v15
	s_and_b32 s7, s10, s7
	v_cndmask_b32_e64 v35, v35, v36, s12
	v_cndmask_b32_e64 v36, v37, v38, s12
	;; [unrolled: 1-line block ×5, first 2 shown]
	v_add_nc_u32_e32 v1, v7, v10
	v_add_nc_u32_e32 v9, v7, v20
	v_min_i32_e32 v0, v6, v0
	v_add_nc_u32_e32 v11, v7, v24
	v_add_nc_u32_e32 v12, v7, v28
	;; [unrolled: 1-line block ×4, first 2 shown]
	; wave barrier
	v_add_nc_u32_e32 v18, v7, v42
	v_add_nc_u32_e32 v3, v7, v3
	ds_load_u8 v8, v1
	ds_load_u8 v10, v9
	;; [unrolled: 1-line block ×8, first 2 shown]
	v_cndmask_b32_e64 v16, v39, v41, s7
	v_lshlrev_b16 v19, 8, v19
	v_and_b32_e32 v17, 0xff, v17
	v_lshlrev_b16 v20, 8, v27
	v_and_b32_e32 v21, 0xff, v23
	v_add_nc_u32_e32 v3, 0x80, v0
	v_and_b32_e32 v22, 0xff, v40
	v_or_b32_e32 v17, v17, v19
	v_lshlrev_b16 v19, 8, v35
	v_or_b32_e32 v18, v21, v20
	v_and_b32_e32 v20, 0xff, v31
	v_and_b32_e32 v21, 0xf8, v4
	v_min_i32_e32 v3, v6, v3
	v_lshlrev_b16 v16, 8, v16
	v_and_b32_e32 v17, 0xffff, v17
	v_or_b32_e32 v19, v20, v19
	v_min_i32_e32 v6, v6, v21
	v_sub_nc_u32_e32 v20, v3, v0
	v_or_b32_e32 v16, v22, v16
	v_lshlrev_b32_e32 v18, 16, v18
	v_and_b32_e32 v19, 0xffff, v19
	v_sub_nc_u32_e32 v22, v0, v15
	v_sub_nc_u32_e32 v21, v6, v20
	v_lshlrev_b32_e32 v23, 16, v16
	v_cmp_ge_i32_e64 s7, v6, v20
	v_or_b32_e32 v18, v17, v18
	v_min_i32_e32 v17, v6, v22
	s_mov_b32 s9, 0
	v_or_b32_e32 v19, v19, v23
	v_cndmask_b32_e64 v16, 0, v21, s7
	s_mov_b32 s8, exec_lo
	; wave barrier
	ds_store_b64 v2, v[18:19]
	; wave barrier
	v_cmpx_lt_i32_e64 v16, v17
	s_cbranch_execz .LBB83_150
; %bb.147:
	v_add_nc_u32_e32 v18, v7, v15
	v_add3_u32 v19, v7, v0, v6
	.p2align	6
.LBB83_148:                             ; =>This Inner Loop Header: Depth=1
	v_sub_nc_u32_e32 v20, v17, v16
	s_delay_alu instid0(VALU_DEP_1) | instskip(NEXT) | instid1(VALU_DEP_1)
	v_lshrrev_b32_e32 v21, 31, v20
	v_add_nc_u32_e32 v20, v20, v21
	s_delay_alu instid0(VALU_DEP_1) | instskip(NEXT) | instid1(VALU_DEP_1)
	v_ashrrev_i32_e32 v20, 1, v20
	v_add_nc_u32_e32 v20, v20, v16
	s_delay_alu instid0(VALU_DEP_1)
	v_add_nc_u32_e32 v21, v18, v20
	v_xad_u32 v22, v20, -1, v19
	v_add_nc_u32_e32 v23, 1, v20
	ds_load_i8 v21, v21
	ds_load_i8 v22, v22
	s_waitcnt lgkmcnt(0)
	v_cmp_lt_i16_e64 s7, v22, v21
	s_delay_alu instid0(VALU_DEP_1) | instskip(SKIP_1) | instid1(VALU_DEP_1)
	v_cndmask_b32_e64 v17, v17, v20, s7
	v_cndmask_b32_e64 v16, v23, v16, s7
	v_cmp_ge_i32_e64 s7, v16, v17
	s_delay_alu instid0(VALU_DEP_1) | instskip(NEXT) | instid1(SALU_CYCLE_1)
	s_or_b32 s9, s7, s9
	s_and_not1_b32 exec_lo, exec_lo, s9
	s_cbranch_execnz .LBB83_148
; %bb.149:
	s_or_b32 exec_lo, exec_lo, s9
.LBB83_150:
	s_delay_alu instid0(SALU_CYCLE_1) | instskip(SKIP_2) | instid1(VALU_DEP_2)
	s_or_b32 exec_lo, exec_lo, s8
	v_add_nc_u32_e32 v17, v0, v6
	v_add_nc_u32_e32 v6, v16, v15
                                        ; implicit-def: $vgpr20
	v_sub_nc_u32_e32 v15, v17, v16
	s_delay_alu instid0(VALU_DEP_2) | instskip(SKIP_1) | instid1(VALU_DEP_3)
	v_add_nc_u32_e32 v19, v7, v6
	v_cmp_le_i32_e64 s7, v0, v6
	v_add_nc_u32_e32 v18, v7, v15
	v_cmp_gt_i32_e64 s9, v3, v15
	ds_load_u8 v16, v19
	ds_load_u8 v17, v18
	s_waitcnt lgkmcnt(1)
	v_bfe_i32 v16, v16, 0, 8
	s_waitcnt lgkmcnt(0)
	v_bfe_i32 v17, v17, 0, 8
	s_delay_alu instid0(VALU_DEP_1) | instskip(NEXT) | instid1(VALU_DEP_1)
	v_cmp_lt_i16_e64 s8, v17, v16
	s_or_b32 s7, s7, s8
	s_delay_alu instid0(SALU_CYCLE_1) | instskip(NEXT) | instid1(SALU_CYCLE_1)
	s_and_b32 s7, s9, s7
	s_xor_b32 s8, s7, -1
	s_delay_alu instid0(SALU_CYCLE_1) | instskip(NEXT) | instid1(SALU_CYCLE_1)
	s_and_saveexec_b32 s9, s8
	s_xor_b32 s8, exec_lo, s9
	s_cbranch_execz .LBB83_152
; %bb.151:
	ds_load_u8 v20, v19 offset:1
                                        ; implicit-def: $vgpr18
.LBB83_152:
	s_or_saveexec_b32 s8, s8
	v_mov_b32_e32 v21, v17
	s_xor_b32 exec_lo, exec_lo, s8
	s_cbranch_execz .LBB83_154
; %bb.153:
	ds_load_u8 v21, v18 offset:1
	s_waitcnt lgkmcnt(1)
	v_mov_b32_e32 v20, v16
.LBB83_154:
	s_or_b32 exec_lo, exec_lo, s8
	v_add_nc_u32_e32 v18, 1, v6
	v_add_nc_u32_e32 v19, 1, v15
	s_waitcnt lgkmcnt(0)
	v_bfe_i32 v24, v20, 0, 8
	s_delay_alu instid0(VALU_DEP_3) | instskip(SKIP_2) | instid1(VALU_DEP_3)
	v_cndmask_b32_e64 v22, v18, v6, s7
	v_bfe_i32 v18, v21, 0, 8
	v_cndmask_b32_e64 v23, v15, v19, s7
	v_cmp_ge_i32_e64 s8, v22, v0
	s_delay_alu instid0(VALU_DEP_3) | instskip(NEXT) | instid1(VALU_DEP_3)
	v_cmp_lt_i16_e64 s9, v18, v24
	v_cmp_lt_i32_e64 s10, v23, v3
                                        ; implicit-def: $vgpr24
	s_delay_alu instid0(VALU_DEP_2)
	s_or_b32 s8, s8, s9
	s_delay_alu instid0(VALU_DEP_1) | instid1(SALU_CYCLE_1)
	s_and_b32 s9, s10, s8
	s_delay_alu instid0(SALU_CYCLE_1) | instskip(NEXT) | instid1(SALU_CYCLE_1)
	s_xor_b32 s8, s9, -1
	s_and_saveexec_b32 s10, s8
	s_delay_alu instid0(SALU_CYCLE_1)
	s_xor_b32 s8, exec_lo, s10
	s_cbranch_execz .LBB83_156
; %bb.155:
	v_add_nc_u32_e32 v18, v7, v22
	ds_load_u8 v24, v18 offset:1
.LBB83_156:
	s_or_saveexec_b32 s8, s8
	v_mov_b32_e32 v25, v21
	s_xor_b32 exec_lo, exec_lo, s8
	s_cbranch_execz .LBB83_158
; %bb.157:
	v_add_nc_u32_e32 v18, v7, v23
	s_waitcnt lgkmcnt(0)
	v_mov_b32_e32 v24, v20
	ds_load_u8 v25, v18 offset:1
.LBB83_158:
	s_or_b32 exec_lo, exec_lo, s8
	v_add_nc_u32_e32 v18, 1, v22
	v_add_nc_u32_e32 v19, 1, v23
	s_waitcnt lgkmcnt(0)
	v_bfe_i32 v26, v24, 0, 8
	v_bfe_i32 v27, v25, 0, 8
	v_cndmask_b32_e64 v18, v18, v22, s9
	v_cndmask_b32_e64 v19, v23, v19, s9
	s_delay_alu instid0(VALU_DEP_3) | instskip(NEXT) | instid1(VALU_DEP_3)
	v_cmp_lt_i16_e64 s10, v27, v26
                                        ; implicit-def: $vgpr26
	v_cmp_ge_i32_e64 s8, v18, v0
	s_delay_alu instid0(VALU_DEP_3) | instskip(NEXT) | instid1(VALU_DEP_2)
	v_cmp_lt_i32_e64 s11, v19, v3
	s_or_b32 s8, s8, s10
	s_delay_alu instid0(VALU_DEP_1) | instid1(SALU_CYCLE_1)
	s_and_b32 s8, s11, s8
	s_delay_alu instid0(SALU_CYCLE_1) | instskip(NEXT) | instid1(SALU_CYCLE_1)
	s_xor_b32 s10, s8, -1
	s_and_saveexec_b32 s11, s10
	s_delay_alu instid0(SALU_CYCLE_1)
	s_xor_b32 s10, exec_lo, s11
	s_cbranch_execz .LBB83_160
; %bb.159:
	v_add_nc_u32_e32 v26, v7, v18
	ds_load_u8 v26, v26 offset:1
.LBB83_160:
	s_or_saveexec_b32 s10, s10
	v_mov_b32_e32 v27, v25
	s_xor_b32 exec_lo, exec_lo, s10
	s_cbranch_execz .LBB83_162
; %bb.161:
	s_waitcnt lgkmcnt(0)
	v_add_nc_u32_e32 v26, v7, v19
	ds_load_u8 v27, v26 offset:1
	v_mov_b32_e32 v26, v24
.LBB83_162:
	s_or_b32 exec_lo, exec_lo, s10
	v_add_nc_u32_e32 v28, 1, v18
	v_add_nc_u32_e32 v29, 1, v19
	s_waitcnt lgkmcnt(0)
	v_bfe_i32 v30, v26, 0, 8
	v_bfe_i32 v31, v27, 0, 8
	v_cndmask_b32_e64 v28, v28, v18, s8
	v_cndmask_b32_e64 v29, v19, v29, s8
	s_delay_alu instid0(VALU_DEP_3) | instskip(NEXT) | instid1(VALU_DEP_3)
	v_cmp_lt_i16_e64 s11, v31, v30
                                        ; implicit-def: $vgpr30
	v_cmp_ge_i32_e64 s10, v28, v0
	s_delay_alu instid0(VALU_DEP_3) | instskip(NEXT) | instid1(VALU_DEP_2)
	v_cmp_lt_i32_e64 s12, v29, v3
	s_or_b32 s10, s10, s11
	s_delay_alu instid0(VALU_DEP_1) | instid1(SALU_CYCLE_1)
	s_and_b32 s10, s12, s10
	s_delay_alu instid0(SALU_CYCLE_1) | instskip(NEXT) | instid1(SALU_CYCLE_1)
	s_xor_b32 s11, s10, -1
	s_and_saveexec_b32 s12, s11
	s_delay_alu instid0(SALU_CYCLE_1)
	s_xor_b32 s11, exec_lo, s12
	s_cbranch_execz .LBB83_164
; %bb.163:
	v_add_nc_u32_e32 v30, v7, v28
	ds_load_u8 v30, v30 offset:1
.LBB83_164:
	s_or_saveexec_b32 s11, s11
	v_mov_b32_e32 v31, v27
	s_xor_b32 exec_lo, exec_lo, s11
	s_cbranch_execz .LBB83_166
; %bb.165:
	s_waitcnt lgkmcnt(0)
	v_add_nc_u32_e32 v30, v7, v29
	ds_load_u8 v31, v30 offset:1
	v_mov_b32_e32 v30, v26
.LBB83_166:
	s_or_b32 exec_lo, exec_lo, s11
	v_add_nc_u32_e32 v32, 1, v28
	v_add_nc_u32_e32 v33, 1, v29
	s_waitcnt lgkmcnt(0)
	v_bfe_i32 v34, v30, 0, 8
	v_bfe_i32 v35, v31, 0, 8
	v_cndmask_b32_e64 v32, v32, v28, s10
	v_cndmask_b32_e64 v33, v29, v33, s10
	s_delay_alu instid0(VALU_DEP_3) | instskip(NEXT) | instid1(VALU_DEP_3)
	v_cmp_lt_i16_e64 s12, v35, v34
                                        ; implicit-def: $vgpr35
	v_cmp_ge_i32_e64 s11, v32, v0
	s_delay_alu instid0(VALU_DEP_3) | instskip(NEXT) | instid1(VALU_DEP_2)
	v_cmp_lt_i32_e64 s13, v33, v3
	s_or_b32 s11, s11, s12
	s_delay_alu instid0(VALU_DEP_1) | instid1(SALU_CYCLE_1)
	s_and_b32 s11, s13, s11
	s_delay_alu instid0(SALU_CYCLE_1) | instskip(NEXT) | instid1(SALU_CYCLE_1)
	s_xor_b32 s12, s11, -1
	s_and_saveexec_b32 s13, s12
	s_delay_alu instid0(SALU_CYCLE_1)
	s_xor_b32 s12, exec_lo, s13
	s_cbranch_execz .LBB83_168
; %bb.167:
	v_add_nc_u32_e32 v34, v7, v32
	ds_load_u8 v35, v34 offset:1
.LBB83_168:
	s_or_saveexec_b32 s12, s12
	v_mov_b32_e32 v36, v31
	s_xor_b32 exec_lo, exec_lo, s12
	s_cbranch_execz .LBB83_170
; %bb.169:
	s_waitcnt lgkmcnt(0)
	v_dual_mov_b32 v35, v30 :: v_dual_add_nc_u32 v34, v7, v33
	ds_load_u8 v36, v34 offset:1
.LBB83_170:
	s_or_b32 exec_lo, exec_lo, s12
	v_add_nc_u32_e32 v34, 1, v32
	v_add_nc_u32_e32 v37, 1, v33
	s_waitcnt lgkmcnt(0)
	v_bfe_i32 v38, v35, 0, 8
                                        ; implicit-def: $vgpr43
	s_delay_alu instid0(VALU_DEP_3) | instskip(SKIP_2) | instid1(VALU_DEP_3)
	v_cndmask_b32_e64 v40, v34, v32, s11
	v_bfe_i32 v34, v36, 0, 8
	v_cndmask_b32_e64 v41, v33, v37, s11
	v_cmp_ge_i32_e64 s12, v40, v0
	s_delay_alu instid0(VALU_DEP_3) | instskip(NEXT) | instid1(VALU_DEP_3)
	v_cmp_lt_i16_e64 s13, v34, v38
	v_cmp_lt_i32_e64 s14, v41, v3
	s_delay_alu instid0(VALU_DEP_2)
	s_or_b32 s12, s12, s13
	s_delay_alu instid0(VALU_DEP_1) | instid1(SALU_CYCLE_1)
	s_and_b32 s12, s14, s12
	s_delay_alu instid0(SALU_CYCLE_1) | instskip(NEXT) | instid1(SALU_CYCLE_1)
	s_xor_b32 s13, s12, -1
	s_and_saveexec_b32 s14, s13
	s_delay_alu instid0(SALU_CYCLE_1)
	s_xor_b32 s13, exec_lo, s14
	s_cbranch_execz .LBB83_172
; %bb.171:
	v_add_nc_u32_e32 v34, v7, v40
	ds_load_u8 v43, v34 offset:1
.LBB83_172:
	s_or_saveexec_b32 s13, s13
	v_mov_b32_e32 v44, v36
	s_xor_b32 exec_lo, exec_lo, s13
	s_cbranch_execz .LBB83_174
; %bb.173:
	v_add_nc_u32_e32 v34, v7, v41
	s_waitcnt lgkmcnt(0)
	v_mov_b32_e32 v43, v35
	ds_load_u8 v44, v34 offset:1
.LBB83_174:
	s_or_b32 exec_lo, exec_lo, s13
	v_add_nc_u32_e32 v34, 1, v40
	v_add_nc_u32_e32 v37, 1, v41
	s_waitcnt lgkmcnt(0)
	v_bfe_i32 v38, v43, 0, 8
	v_bfe_i32 v39, v44, 0, 8
	v_cndmask_b32_e64 v45, v34, v40, s12
	v_cndmask_b32_e64 v34, v41, v37, s12
                                        ; implicit-def: $vgpr37
	s_delay_alu instid0(VALU_DEP_3) | instskip(NEXT) | instid1(VALU_DEP_3)
	v_cmp_lt_i16_e64 s14, v39, v38
                                        ; implicit-def: $vgpr38
	v_cmp_ge_i32_e64 s13, v45, v0
	s_delay_alu instid0(VALU_DEP_3) | instskip(NEXT) | instid1(VALU_DEP_2)
	v_cmp_lt_i32_e64 s15, v34, v3
	s_or_b32 s13, s13, s14
	s_delay_alu instid0(VALU_DEP_1) | instid1(SALU_CYCLE_1)
	s_and_b32 s13, s15, s13
	s_delay_alu instid0(SALU_CYCLE_1) | instskip(NEXT) | instid1(SALU_CYCLE_1)
	s_xor_b32 s14, s13, -1
	s_and_saveexec_b32 s15, s14
	s_delay_alu instid0(SALU_CYCLE_1)
	s_xor_b32 s14, exec_lo, s15
	s_cbranch_execz .LBB83_176
; %bb.175:
	v_add_nc_u32_e32 v37, v7, v45
	ds_load_u8 v38, v37 offset:1
	v_add_nc_u32_e32 v37, 1, v45
.LBB83_176:
	s_or_saveexec_b32 s14, s14
	v_dual_mov_b32 v39, v45 :: v_dual_mov_b32 v42, v44
	s_xor_b32 exec_lo, exec_lo, s14
	s_cbranch_execz .LBB83_178
; %bb.177:
	s_waitcnt lgkmcnt(0)
	v_dual_mov_b32 v39, v34 :: v_dual_add_nc_u32 v38, 1, v34
	s_delay_alu instid0(VALU_DEP_1)
	v_dual_mov_b32 v34, v38 :: v_dual_add_nc_u32 v37, v7, v34
	v_mov_b32_e32 v38, v43
	ds_load_u8 v42, v37 offset:1
	v_mov_b32_e32 v37, v45
.LBB83_178:
	s_or_b32 exec_lo, exec_lo, s14
	v_lshlrev_b16 v14, 8, v14
	v_and_b32_e32 v12, 0xff, v12
	v_lshlrev_b16 v13, 8, v13
	v_and_b32_e32 v11, 0xff, v11
	;; [unrolled: 2-line block ×4, first 2 shown]
	v_or_b32_e32 v12, v12, v14
	v_or_b32_e32 v11, v11, v13
	;; [unrolled: 1-line block ×3, first 2 shown]
	v_cndmask_b32_e64 v6, v6, v15, s7
	v_or_b32_e32 v1, v1, v9
	v_and_b32_e32 v10, 0xffff, v12
	v_lshlrev_b32_e32 v11, 16, v11
	v_and_b32_e32 v8, 0xffff, v8
	v_cndmask_b32_e64 v16, v16, v17, s7
	v_lshlrev_b32_e32 v12, 16, v1
	v_cndmask_b32_e64 v17, v20, v21, s9
	v_cndmask_b32_e64 v22, v22, v23, s9
	v_cmp_lt_i32_e64 s7, v34, v3
	v_cmp_ge_i32_e64 s9, v37, v0
	v_or_b32_e32 v1, v10, v11
	v_or_b32_e32 v0, v8, v12
	v_add_nc_u32_e32 v3, v7, v6
	; wave barrier
	s_waitcnt lgkmcnt(0)
	v_bfe_i32 v9, v38, 0, 8
	ds_store_b64 v2, v[0:1]
	; wave barrier
	ds_load_u8 v0, v3
	v_bfe_i32 v13, v42, 0, 8
	v_cndmask_b32_e64 v21, v26, v27, s10
	v_cndmask_b32_e64 v28, v28, v29, s10
	;; [unrolled: 1-line block ×4, first 2 shown]
	v_cmp_lt_i16_e64 s10, v13, v9
	v_cndmask_b32_e64 v24, v30, v31, s11
	v_cndmask_b32_e64 v30, v32, v33, s11
	;; [unrolled: 1-line block ×3, first 2 shown]
	v_add_nc_u32_e32 v6, v7, v22
	s_or_b32 s9, s9, s10
	v_add_nc_u32_e32 v1, v7, v1
	s_and_b32 s7, s7, s9
	v_add_nc_u32_e32 v8, v7, v28
	v_cndmask_b32_e64 v3, v37, v34, s7
	v_add_nc_u32_e32 v9, v7, v30
	v_add_nc_u32_e32 v10, v7, v27
	;; [unrolled: 1-line block ×3, first 2 shown]
	v_and_b32_e32 v12, 0xff, v16
	s_waitcnt lgkmcnt(0)
	v_add_nc_u16 v0, v0, v16
	v_add_nc_u32_e32 v3, v7, v3
	ds_load_u8 v6, v6
	ds_load_u8 v1, v1
	;; [unrolled: 1-line block ×7, first 2 shown]
	v_lshlrev_b16 v11, 8, v17
	v_lshlrev_b16 v13, 8, v21
	v_and_b32_e32 v14, 0xff, v20
	v_and_b32_e32 v0, 0xff, v0
	v_cndmask_b32_e64 v25, v35, v36, s12
	v_cndmask_b32_e64 v26, v43, v44, s13
	;; [unrolled: 1-line block ×3, first 2 shown]
	v_or_b32_e32 v12, v12, v11
	v_or_b32_e32 v13, v14, v13
	;; [unrolled: 1-line block ×3, first 2 shown]
	v_lshlrev_b16 v15, 8, v25
	v_and_b32_e32 v16, 0xff, v24
	v_and_b32_e32 v11, 0xff, v26
	v_lshlrev_b16 v2, 8, v2
	v_and_b32_e32 v12, 0xffff, v12
	v_lshlrev_b32_e32 v13, 16, v13
	v_and_b32_e32 v0, 0xffff, v0
	v_or_b32_e32 v14, v16, v15
	v_or_b32_e32 v2, v11, v2
	v_add_co_u32 v5, s7, s18, v5
	v_or_b32_e32 v11, v12, v13
	v_or_b32_e32 v0, v0, v13
	v_and_b32_e32 v12, 0xffff, v14
	v_lshlrev_b32_e32 v2, 16, v2
	s_waitcnt lgkmcnt(3)
	v_add_nc_u16 v8, v14, v8
	v_cndmask_b32_e32 v0, v11, v0, vcc_lo
	s_delay_alu instid0(VALU_DEP_3) | instskip(NEXT) | instid1(VALU_DEP_2)
	v_or_b32_e32 v2, v12, v2
	v_lshrrev_b32_e32 v11, 8, v0
	s_delay_alu instid0(VALU_DEP_2) | instskip(NEXT) | instid1(VALU_DEP_2)
	v_perm_b32 v8, v8, v2, 0x3020104
	v_add_nc_u16 v6, v11, v6
	s_delay_alu instid0(VALU_DEP_2) | instskip(SKIP_1) | instid1(VALU_DEP_3)
	v_cndmask_b32_e64 v2, v2, v8, s3
	v_and_b32_e32 v8, 0xff, v0
	v_lshlrev_b16 v6, 8, v6
	s_delay_alu instid0(VALU_DEP_3) | instskip(NEXT) | instid1(VALU_DEP_2)
	v_lshrrev_b32_e32 v11, 8, v2
	v_or_b32_e32 v6, v8, v6
	s_waitcnt lgkmcnt(2)
	s_delay_alu instid0(VALU_DEP_2) | instskip(SKIP_1) | instid1(VALU_DEP_3)
	v_add_nc_u16 v8, v11, v9
	v_and_b32_e32 v9, 0xff, v2
	v_and_b32_e32 v6, 0xffff, v6
	s_delay_alu instid0(VALU_DEP_3) | instskip(NEXT) | instid1(VALU_DEP_2)
	v_lshlrev_b16 v8, 8, v8
	v_and_or_b32 v6, 0xffff0000, v0, v6
	s_delay_alu instid0(VALU_DEP_2) | instskip(NEXT) | instid1(VALU_DEP_2)
	v_or_b32_e32 v8, v9, v8
	v_cndmask_b32_e64 v0, v0, v6, s0
	s_delay_alu instid0(VALU_DEP_2) | instskip(NEXT) | instid1(VALU_DEP_2)
	v_and_b32_e32 v6, 0xffff, v8
	v_lshrrev_b32_e32 v8, 16, v0
	s_delay_alu instid0(VALU_DEP_2) | instskip(NEXT) | instid1(VALU_DEP_2)
	v_and_or_b32 v6, 0xffff0000, v2, v6
	v_add_nc_u16 v1, v8, v1
	s_delay_alu instid0(VALU_DEP_2) | instskip(SKIP_1) | instid1(VALU_DEP_3)
	v_cndmask_b32_e64 v2, v2, v6, s4
	v_and_b32_e32 v6, 0xffffff00, v8
	v_and_b32_e32 v1, 0xff, v1
	s_delay_alu instid0(VALU_DEP_3) | instskip(NEXT) | instid1(VALU_DEP_2)
	v_lshrrev_b32_e32 v8, 16, v2
	v_or_b32_e32 v1, v1, v6
	s_waitcnt lgkmcnt(1)
	s_delay_alu instid0(VALU_DEP_2) | instskip(NEXT) | instid1(VALU_DEP_2)
	v_add_nc_u16 v6, v8, v10
	v_lshlrev_b32_e32 v1, 16, v1
	s_delay_alu instid0(VALU_DEP_2) | instskip(NEXT) | instid1(VALU_DEP_2)
	v_perm_b32 v6, v2, v6, 0x7000504
	v_and_or_b32 v1, 0xffff, v0, v1
	s_delay_alu instid0(VALU_DEP_2) | instskip(NEXT) | instid1(VALU_DEP_2)
	v_cndmask_b32_e64 v2, v2, v6, s5
	v_cndmask_b32_e64 v0, v0, v1, s1
	s_delay_alu instid0(VALU_DEP_2) | instskip(SKIP_1) | instid1(VALU_DEP_3)
	v_lshrrev_b32_e32 v1, 24, v2
	v_lshrrev_b32_e32 v8, 16, v2
	;; [unrolled: 1-line block ×3, first 2 shown]
	s_waitcnt lgkmcnt(0)
	s_delay_alu instid0(VALU_DEP_3) | instskip(SKIP_1) | instid1(VALU_DEP_3)
	v_add_nc_u16 v1, v1, v3
	v_lshrrev_b32_e32 v3, 16, v0
	v_add_nc_u16 v6, v6, v7
	v_and_b32_e32 v7, 0xff, v8
	s_delay_alu instid0(VALU_DEP_4) | instskip(NEXT) | instid1(VALU_DEP_4)
	v_lshlrev_b16 v1, 8, v1
	v_and_b32_e32 v3, 0xff, v3
	s_delay_alu instid0(VALU_DEP_4) | instskip(NEXT) | instid1(VALU_DEP_3)
	v_lshlrev_b16 v6, 8, v6
	v_or_b32_e32 v1, v7, v1
	s_delay_alu instid0(VALU_DEP_2) | instskip(SKIP_1) | instid1(VALU_DEP_3)
	v_or_b32_e32 v3, v3, v6
	v_add_co_ci_u32_e64 v6, null, s19, 0, s7
	v_lshlrev_b32_e32 v1, 16, v1
	s_delay_alu instid0(VALU_DEP_3) | instskip(NEXT) | instid1(VALU_DEP_2)
	v_lshlrev_b32_e32 v3, 16, v3
	v_and_or_b32 v1, 0xffff, v2, v1
	s_delay_alu instid0(VALU_DEP_2) | instskip(NEXT) | instid1(VALU_DEP_2)
	v_and_or_b32 v3, 0xffff, v0, v3
	v_cndmask_b32_e64 v2, v2, v1, s6
	s_delay_alu instid0(VALU_DEP_2) | instskip(SKIP_1) | instid1(VALU_DEP_1)
	v_cndmask_b32_e64 v3, v0, v3, s2
	v_add_co_u32 v0, s7, v5, v4
	v_add_co_ci_u32_e64 v1, s7, 0, v6, s7
	s_and_saveexec_b32 s7, vcc_lo
	s_cbranch_execnz .LBB83_187
; %bb.179:
	s_or_b32 exec_lo, exec_lo, s7
	s_and_saveexec_b32 s7, s0
	s_cbranch_execnz .LBB83_188
.LBB83_180:
	s_or_b32 exec_lo, exec_lo, s7
	s_and_saveexec_b32 s0, s1
	s_cbranch_execnz .LBB83_189
.LBB83_181:
	s_or_b32 exec_lo, exec_lo, s0
	s_and_saveexec_b32 s0, s2
	s_cbranch_execnz .LBB83_190
.LBB83_182:
	s_or_b32 exec_lo, exec_lo, s0
	s_and_saveexec_b32 s0, s3
	s_cbranch_execnz .LBB83_191
.LBB83_183:
	s_or_b32 exec_lo, exec_lo, s0
	s_and_saveexec_b32 s0, s4
	s_cbranch_execnz .LBB83_192
.LBB83_184:
	s_or_b32 exec_lo, exec_lo, s0
	s_and_saveexec_b32 s0, s5
	s_cbranch_execnz .LBB83_193
.LBB83_185:
	s_or_b32 exec_lo, exec_lo, s0
	s_and_saveexec_b32 s0, s6
	s_cbranch_execnz .LBB83_194
.LBB83_186:
	s_nop 0
	s_sendmsg sendmsg(MSG_DEALLOC_VGPRS)
	s_endpgm
.LBB83_187:
	global_store_b8 v[0:1], v3, off
	s_or_b32 exec_lo, exec_lo, s7
	s_and_saveexec_b32 s7, s0
	s_cbranch_execz .LBB83_180
.LBB83_188:
	v_lshrrev_b32_e32 v4, 8, v3
	global_store_b8 v[0:1], v4, off offset:1
	s_or_b32 exec_lo, exec_lo, s7
	s_and_saveexec_b32 s0, s1
	s_cbranch_execz .LBB83_181
.LBB83_189:
	global_store_d16_hi_b8 v[0:1], v3, off offset:2
	s_or_b32 exec_lo, exec_lo, s0
	s_and_saveexec_b32 s0, s2
	s_cbranch_execz .LBB83_182
.LBB83_190:
	v_lshrrev_b32_e32 v3, 24, v3
	global_store_b8 v[0:1], v3, off offset:3
	s_or_b32 exec_lo, exec_lo, s0
	s_and_saveexec_b32 s0, s3
	s_cbranch_execz .LBB83_183
.LBB83_191:
	global_store_b8 v[0:1], v2, off offset:4
	s_or_b32 exec_lo, exec_lo, s0
	s_and_saveexec_b32 s0, s4
	s_cbranch_execz .LBB83_184
.LBB83_192:
	v_lshrrev_b32_e32 v3, 8, v2
	global_store_b8 v[0:1], v3, off offset:5
	s_or_b32 exec_lo, exec_lo, s0
	s_and_saveexec_b32 s0, s5
	s_cbranch_execz .LBB83_185
.LBB83_193:
	global_store_d16_hi_b8 v[0:1], v2, off offset:6
	s_or_b32 exec_lo, exec_lo, s0
	s_and_saveexec_b32 s0, s6
	s_cbranch_execz .LBB83_186
.LBB83_194:
	v_lshrrev_b32_e32 v2, 24, v2
	global_store_b8 v[0:1], v2, off offset:7
	s_nop 0
	s_sendmsg sendmsg(MSG_DEALLOC_VGPRS)
	s_endpgm
	.section	.rodata,"a",@progbits
	.p2align	6, 0x0
	.amdhsa_kernel _Z20sort_pairs_segmentedILj256ELj32ELj8EaN10test_utils4lessEEvPKT2_PS2_PKjT3_
		.amdhsa_group_segment_fixed_size 2056
		.amdhsa_private_segment_fixed_size 0
		.amdhsa_kernarg_size 28
		.amdhsa_user_sgpr_count 15
		.amdhsa_user_sgpr_dispatch_ptr 0
		.amdhsa_user_sgpr_queue_ptr 0
		.amdhsa_user_sgpr_kernarg_segment_ptr 1
		.amdhsa_user_sgpr_dispatch_id 0
		.amdhsa_user_sgpr_private_segment_size 0
		.amdhsa_wavefront_size32 1
		.amdhsa_uses_dynamic_stack 0
		.amdhsa_enable_private_segment 0
		.amdhsa_system_sgpr_workgroup_id_x 1
		.amdhsa_system_sgpr_workgroup_id_y 0
		.amdhsa_system_sgpr_workgroup_id_z 0
		.amdhsa_system_sgpr_workgroup_info 0
		.amdhsa_system_vgpr_workitem_id 0
		.amdhsa_next_free_vgpr 47
		.amdhsa_next_free_sgpr 20
		.amdhsa_reserve_vcc 1
		.amdhsa_float_round_mode_32 0
		.amdhsa_float_round_mode_16_64 0
		.amdhsa_float_denorm_mode_32 3
		.amdhsa_float_denorm_mode_16_64 3
		.amdhsa_dx10_clamp 1
		.amdhsa_ieee_mode 1
		.amdhsa_fp16_overflow 0
		.amdhsa_workgroup_processor_mode 1
		.amdhsa_memory_ordered 1
		.amdhsa_forward_progress 0
		.amdhsa_shared_vgpr_count 0
		.amdhsa_exception_fp_ieee_invalid_op 0
		.amdhsa_exception_fp_denorm_src 0
		.amdhsa_exception_fp_ieee_div_zero 0
		.amdhsa_exception_fp_ieee_overflow 0
		.amdhsa_exception_fp_ieee_underflow 0
		.amdhsa_exception_fp_ieee_inexact 0
		.amdhsa_exception_int_div_zero 0
	.end_amdhsa_kernel
	.section	.text._Z20sort_pairs_segmentedILj256ELj32ELj8EaN10test_utils4lessEEvPKT2_PS2_PKjT3_,"axG",@progbits,_Z20sort_pairs_segmentedILj256ELj32ELj8EaN10test_utils4lessEEvPKT2_PS2_PKjT3_,comdat
.Lfunc_end83:
	.size	_Z20sort_pairs_segmentedILj256ELj32ELj8EaN10test_utils4lessEEvPKT2_PS2_PKjT3_, .Lfunc_end83-_Z20sort_pairs_segmentedILj256ELj32ELj8EaN10test_utils4lessEEvPKT2_PS2_PKjT3_
                                        ; -- End function
	.section	.AMDGPU.csdata,"",@progbits
; Kernel info:
; codeLenInByte = 14592
; NumSgprs: 22
; NumVgprs: 47
; ScratchSize: 0
; MemoryBound: 0
; FloatMode: 240
; IeeeMode: 1
; LDSByteSize: 2056 bytes/workgroup (compile time only)
; SGPRBlocks: 2
; VGPRBlocks: 5
; NumSGPRsForWavesPerEU: 22
; NumVGPRsForWavesPerEU: 47
; Occupancy: 16
; WaveLimiterHint : 0
; COMPUTE_PGM_RSRC2:SCRATCH_EN: 0
; COMPUTE_PGM_RSRC2:USER_SGPR: 15
; COMPUTE_PGM_RSRC2:TRAP_HANDLER: 0
; COMPUTE_PGM_RSRC2:TGID_X_EN: 1
; COMPUTE_PGM_RSRC2:TGID_Y_EN: 0
; COMPUTE_PGM_RSRC2:TGID_Z_EN: 0
; COMPUTE_PGM_RSRC2:TIDIG_COMP_CNT: 0
	.section	.text._Z9sort_keysILj256ELj64ELj1EaN10test_utils4lessEEvPKT2_PS2_T3_,"axG",@progbits,_Z9sort_keysILj256ELj64ELj1EaN10test_utils4lessEEvPKT2_PS2_T3_,comdat
	.protected	_Z9sort_keysILj256ELj64ELj1EaN10test_utils4lessEEvPKT2_PS2_T3_ ; -- Begin function _Z9sort_keysILj256ELj64ELj1EaN10test_utils4lessEEvPKT2_PS2_T3_
	.globl	_Z9sort_keysILj256ELj64ELj1EaN10test_utils4lessEEvPKT2_PS2_T3_
	.p2align	8
	.type	_Z9sort_keysILj256ELj64ELj1EaN10test_utils4lessEEvPKT2_PS2_T3_,@function
_Z9sort_keysILj256ELj64ELj1EaN10test_utils4lessEEvPKT2_PS2_T3_: ; @_Z9sort_keysILj256ELj64ELj1EaN10test_utils4lessEEvPKT2_PS2_T3_
; %bb.0:
	s_endpgm
	.section	.rodata,"a",@progbits
	.p2align	6, 0x0
	.amdhsa_kernel _Z9sort_keysILj256ELj64ELj1EaN10test_utils4lessEEvPKT2_PS2_T3_
		.amdhsa_group_segment_fixed_size 0
		.amdhsa_private_segment_fixed_size 0
		.amdhsa_kernarg_size 20
		.amdhsa_user_sgpr_count 15
		.amdhsa_user_sgpr_dispatch_ptr 0
		.amdhsa_user_sgpr_queue_ptr 0
		.amdhsa_user_sgpr_kernarg_segment_ptr 1
		.amdhsa_user_sgpr_dispatch_id 0
		.amdhsa_user_sgpr_private_segment_size 0
		.amdhsa_wavefront_size32 1
		.amdhsa_uses_dynamic_stack 0
		.amdhsa_enable_private_segment 0
		.amdhsa_system_sgpr_workgroup_id_x 1
		.amdhsa_system_sgpr_workgroup_id_y 0
		.amdhsa_system_sgpr_workgroup_id_z 0
		.amdhsa_system_sgpr_workgroup_info 0
		.amdhsa_system_vgpr_workitem_id 0
		.amdhsa_next_free_vgpr 1
		.amdhsa_next_free_sgpr 1
		.amdhsa_reserve_vcc 0
		.amdhsa_float_round_mode_32 0
		.amdhsa_float_round_mode_16_64 0
		.amdhsa_float_denorm_mode_32 3
		.amdhsa_float_denorm_mode_16_64 3
		.amdhsa_dx10_clamp 1
		.amdhsa_ieee_mode 1
		.amdhsa_fp16_overflow 0
		.amdhsa_workgroup_processor_mode 1
		.amdhsa_memory_ordered 1
		.amdhsa_forward_progress 0
		.amdhsa_shared_vgpr_count 0
		.amdhsa_exception_fp_ieee_invalid_op 0
		.amdhsa_exception_fp_denorm_src 0
		.amdhsa_exception_fp_ieee_div_zero 0
		.amdhsa_exception_fp_ieee_overflow 0
		.amdhsa_exception_fp_ieee_underflow 0
		.amdhsa_exception_fp_ieee_inexact 0
		.amdhsa_exception_int_div_zero 0
	.end_amdhsa_kernel
	.section	.text._Z9sort_keysILj256ELj64ELj1EaN10test_utils4lessEEvPKT2_PS2_T3_,"axG",@progbits,_Z9sort_keysILj256ELj64ELj1EaN10test_utils4lessEEvPKT2_PS2_T3_,comdat
.Lfunc_end84:
	.size	_Z9sort_keysILj256ELj64ELj1EaN10test_utils4lessEEvPKT2_PS2_T3_, .Lfunc_end84-_Z9sort_keysILj256ELj64ELj1EaN10test_utils4lessEEvPKT2_PS2_T3_
                                        ; -- End function
	.section	.AMDGPU.csdata,"",@progbits
; Kernel info:
; codeLenInByte = 4
; NumSgprs: 0
; NumVgprs: 0
; ScratchSize: 0
; MemoryBound: 0
; FloatMode: 240
; IeeeMode: 1
; LDSByteSize: 0 bytes/workgroup (compile time only)
; SGPRBlocks: 0
; VGPRBlocks: 0
; NumSGPRsForWavesPerEU: 1
; NumVGPRsForWavesPerEU: 1
; Occupancy: 16
; WaveLimiterHint : 0
; COMPUTE_PGM_RSRC2:SCRATCH_EN: 0
; COMPUTE_PGM_RSRC2:USER_SGPR: 15
; COMPUTE_PGM_RSRC2:TRAP_HANDLER: 0
; COMPUTE_PGM_RSRC2:TGID_X_EN: 1
; COMPUTE_PGM_RSRC2:TGID_Y_EN: 0
; COMPUTE_PGM_RSRC2:TGID_Z_EN: 0
; COMPUTE_PGM_RSRC2:TIDIG_COMP_CNT: 0
	.section	.text._Z10sort_pairsILj256ELj64ELj1EaN10test_utils4lessEEvPKT2_PS2_T3_,"axG",@progbits,_Z10sort_pairsILj256ELj64ELj1EaN10test_utils4lessEEvPKT2_PS2_T3_,comdat
	.protected	_Z10sort_pairsILj256ELj64ELj1EaN10test_utils4lessEEvPKT2_PS2_T3_ ; -- Begin function _Z10sort_pairsILj256ELj64ELj1EaN10test_utils4lessEEvPKT2_PS2_T3_
	.globl	_Z10sort_pairsILj256ELj64ELj1EaN10test_utils4lessEEvPKT2_PS2_T3_
	.p2align	8
	.type	_Z10sort_pairsILj256ELj64ELj1EaN10test_utils4lessEEvPKT2_PS2_T3_,@function
_Z10sort_pairsILj256ELj64ELj1EaN10test_utils4lessEEvPKT2_PS2_T3_: ; @_Z10sort_pairsILj256ELj64ELj1EaN10test_utils4lessEEvPKT2_PS2_T3_
; %bb.0:
	s_endpgm
	.section	.rodata,"a",@progbits
	.p2align	6, 0x0
	.amdhsa_kernel _Z10sort_pairsILj256ELj64ELj1EaN10test_utils4lessEEvPKT2_PS2_T3_
		.amdhsa_group_segment_fixed_size 0
		.amdhsa_private_segment_fixed_size 0
		.amdhsa_kernarg_size 20
		.amdhsa_user_sgpr_count 15
		.amdhsa_user_sgpr_dispatch_ptr 0
		.amdhsa_user_sgpr_queue_ptr 0
		.amdhsa_user_sgpr_kernarg_segment_ptr 1
		.amdhsa_user_sgpr_dispatch_id 0
		.amdhsa_user_sgpr_private_segment_size 0
		.amdhsa_wavefront_size32 1
		.amdhsa_uses_dynamic_stack 0
		.amdhsa_enable_private_segment 0
		.amdhsa_system_sgpr_workgroup_id_x 1
		.amdhsa_system_sgpr_workgroup_id_y 0
		.amdhsa_system_sgpr_workgroup_id_z 0
		.amdhsa_system_sgpr_workgroup_info 0
		.amdhsa_system_vgpr_workitem_id 0
		.amdhsa_next_free_vgpr 1
		.amdhsa_next_free_sgpr 1
		.amdhsa_reserve_vcc 0
		.amdhsa_float_round_mode_32 0
		.amdhsa_float_round_mode_16_64 0
		.amdhsa_float_denorm_mode_32 3
		.amdhsa_float_denorm_mode_16_64 3
		.amdhsa_dx10_clamp 1
		.amdhsa_ieee_mode 1
		.amdhsa_fp16_overflow 0
		.amdhsa_workgroup_processor_mode 1
		.amdhsa_memory_ordered 1
		.amdhsa_forward_progress 0
		.amdhsa_shared_vgpr_count 0
		.amdhsa_exception_fp_ieee_invalid_op 0
		.amdhsa_exception_fp_denorm_src 0
		.amdhsa_exception_fp_ieee_div_zero 0
		.amdhsa_exception_fp_ieee_overflow 0
		.amdhsa_exception_fp_ieee_underflow 0
		.amdhsa_exception_fp_ieee_inexact 0
		.amdhsa_exception_int_div_zero 0
	.end_amdhsa_kernel
	.section	.text._Z10sort_pairsILj256ELj64ELj1EaN10test_utils4lessEEvPKT2_PS2_T3_,"axG",@progbits,_Z10sort_pairsILj256ELj64ELj1EaN10test_utils4lessEEvPKT2_PS2_T3_,comdat
.Lfunc_end85:
	.size	_Z10sort_pairsILj256ELj64ELj1EaN10test_utils4lessEEvPKT2_PS2_T3_, .Lfunc_end85-_Z10sort_pairsILj256ELj64ELj1EaN10test_utils4lessEEvPKT2_PS2_T3_
                                        ; -- End function
	.section	.AMDGPU.csdata,"",@progbits
; Kernel info:
; codeLenInByte = 4
; NumSgprs: 0
; NumVgprs: 0
; ScratchSize: 0
; MemoryBound: 0
; FloatMode: 240
; IeeeMode: 1
; LDSByteSize: 0 bytes/workgroup (compile time only)
; SGPRBlocks: 0
; VGPRBlocks: 0
; NumSGPRsForWavesPerEU: 1
; NumVGPRsForWavesPerEU: 1
; Occupancy: 16
; WaveLimiterHint : 0
; COMPUTE_PGM_RSRC2:SCRATCH_EN: 0
; COMPUTE_PGM_RSRC2:USER_SGPR: 15
; COMPUTE_PGM_RSRC2:TRAP_HANDLER: 0
; COMPUTE_PGM_RSRC2:TGID_X_EN: 1
; COMPUTE_PGM_RSRC2:TGID_Y_EN: 0
; COMPUTE_PGM_RSRC2:TGID_Z_EN: 0
; COMPUTE_PGM_RSRC2:TIDIG_COMP_CNT: 0
	.section	.text._Z19sort_keys_segmentedILj256ELj64ELj1EaN10test_utils4lessEEvPKT2_PS2_PKjT3_,"axG",@progbits,_Z19sort_keys_segmentedILj256ELj64ELj1EaN10test_utils4lessEEvPKT2_PS2_PKjT3_,comdat
	.protected	_Z19sort_keys_segmentedILj256ELj64ELj1EaN10test_utils4lessEEvPKT2_PS2_PKjT3_ ; -- Begin function _Z19sort_keys_segmentedILj256ELj64ELj1EaN10test_utils4lessEEvPKT2_PS2_PKjT3_
	.globl	_Z19sort_keys_segmentedILj256ELj64ELj1EaN10test_utils4lessEEvPKT2_PS2_PKjT3_
	.p2align	8
	.type	_Z19sort_keys_segmentedILj256ELj64ELj1EaN10test_utils4lessEEvPKT2_PS2_PKjT3_,@function
_Z19sort_keys_segmentedILj256ELj64ELj1EaN10test_utils4lessEEvPKT2_PS2_PKjT3_: ; @_Z19sort_keys_segmentedILj256ELj64ELj1EaN10test_utils4lessEEvPKT2_PS2_PKjT3_
; %bb.0:
	s_endpgm
	.section	.rodata,"a",@progbits
	.p2align	6, 0x0
	.amdhsa_kernel _Z19sort_keys_segmentedILj256ELj64ELj1EaN10test_utils4lessEEvPKT2_PS2_PKjT3_
		.amdhsa_group_segment_fixed_size 0
		.amdhsa_private_segment_fixed_size 0
		.amdhsa_kernarg_size 28
		.amdhsa_user_sgpr_count 15
		.amdhsa_user_sgpr_dispatch_ptr 0
		.amdhsa_user_sgpr_queue_ptr 0
		.amdhsa_user_sgpr_kernarg_segment_ptr 1
		.amdhsa_user_sgpr_dispatch_id 0
		.amdhsa_user_sgpr_private_segment_size 0
		.amdhsa_wavefront_size32 1
		.amdhsa_uses_dynamic_stack 0
		.amdhsa_enable_private_segment 0
		.amdhsa_system_sgpr_workgroup_id_x 1
		.amdhsa_system_sgpr_workgroup_id_y 0
		.amdhsa_system_sgpr_workgroup_id_z 0
		.amdhsa_system_sgpr_workgroup_info 0
		.amdhsa_system_vgpr_workitem_id 0
		.amdhsa_next_free_vgpr 1
		.amdhsa_next_free_sgpr 1
		.amdhsa_reserve_vcc 0
		.amdhsa_float_round_mode_32 0
		.amdhsa_float_round_mode_16_64 0
		.amdhsa_float_denorm_mode_32 3
		.amdhsa_float_denorm_mode_16_64 3
		.amdhsa_dx10_clamp 1
		.amdhsa_ieee_mode 1
		.amdhsa_fp16_overflow 0
		.amdhsa_workgroup_processor_mode 1
		.amdhsa_memory_ordered 1
		.amdhsa_forward_progress 0
		.amdhsa_shared_vgpr_count 0
		.amdhsa_exception_fp_ieee_invalid_op 0
		.amdhsa_exception_fp_denorm_src 0
		.amdhsa_exception_fp_ieee_div_zero 0
		.amdhsa_exception_fp_ieee_overflow 0
		.amdhsa_exception_fp_ieee_underflow 0
		.amdhsa_exception_fp_ieee_inexact 0
		.amdhsa_exception_int_div_zero 0
	.end_amdhsa_kernel
	.section	.text._Z19sort_keys_segmentedILj256ELj64ELj1EaN10test_utils4lessEEvPKT2_PS2_PKjT3_,"axG",@progbits,_Z19sort_keys_segmentedILj256ELj64ELj1EaN10test_utils4lessEEvPKT2_PS2_PKjT3_,comdat
.Lfunc_end86:
	.size	_Z19sort_keys_segmentedILj256ELj64ELj1EaN10test_utils4lessEEvPKT2_PS2_PKjT3_, .Lfunc_end86-_Z19sort_keys_segmentedILj256ELj64ELj1EaN10test_utils4lessEEvPKT2_PS2_PKjT3_
                                        ; -- End function
	.section	.AMDGPU.csdata,"",@progbits
; Kernel info:
; codeLenInByte = 4
; NumSgprs: 0
; NumVgprs: 0
; ScratchSize: 0
; MemoryBound: 0
; FloatMode: 240
; IeeeMode: 1
; LDSByteSize: 0 bytes/workgroup (compile time only)
; SGPRBlocks: 0
; VGPRBlocks: 0
; NumSGPRsForWavesPerEU: 1
; NumVGPRsForWavesPerEU: 1
; Occupancy: 16
; WaveLimiterHint : 0
; COMPUTE_PGM_RSRC2:SCRATCH_EN: 0
; COMPUTE_PGM_RSRC2:USER_SGPR: 15
; COMPUTE_PGM_RSRC2:TRAP_HANDLER: 0
; COMPUTE_PGM_RSRC2:TGID_X_EN: 1
; COMPUTE_PGM_RSRC2:TGID_Y_EN: 0
; COMPUTE_PGM_RSRC2:TGID_Z_EN: 0
; COMPUTE_PGM_RSRC2:TIDIG_COMP_CNT: 0
	.section	.text._Z20sort_pairs_segmentedILj256ELj64ELj1EaN10test_utils4lessEEvPKT2_PS2_PKjT3_,"axG",@progbits,_Z20sort_pairs_segmentedILj256ELj64ELj1EaN10test_utils4lessEEvPKT2_PS2_PKjT3_,comdat
	.protected	_Z20sort_pairs_segmentedILj256ELj64ELj1EaN10test_utils4lessEEvPKT2_PS2_PKjT3_ ; -- Begin function _Z20sort_pairs_segmentedILj256ELj64ELj1EaN10test_utils4lessEEvPKT2_PS2_PKjT3_
	.globl	_Z20sort_pairs_segmentedILj256ELj64ELj1EaN10test_utils4lessEEvPKT2_PS2_PKjT3_
	.p2align	8
	.type	_Z20sort_pairs_segmentedILj256ELj64ELj1EaN10test_utils4lessEEvPKT2_PS2_PKjT3_,@function
_Z20sort_pairs_segmentedILj256ELj64ELj1EaN10test_utils4lessEEvPKT2_PS2_PKjT3_: ; @_Z20sort_pairs_segmentedILj256ELj64ELj1EaN10test_utils4lessEEvPKT2_PS2_PKjT3_
; %bb.0:
	s_endpgm
	.section	.rodata,"a",@progbits
	.p2align	6, 0x0
	.amdhsa_kernel _Z20sort_pairs_segmentedILj256ELj64ELj1EaN10test_utils4lessEEvPKT2_PS2_PKjT3_
		.amdhsa_group_segment_fixed_size 0
		.amdhsa_private_segment_fixed_size 0
		.amdhsa_kernarg_size 28
		.amdhsa_user_sgpr_count 15
		.amdhsa_user_sgpr_dispatch_ptr 0
		.amdhsa_user_sgpr_queue_ptr 0
		.amdhsa_user_sgpr_kernarg_segment_ptr 1
		.amdhsa_user_sgpr_dispatch_id 0
		.amdhsa_user_sgpr_private_segment_size 0
		.amdhsa_wavefront_size32 1
		.amdhsa_uses_dynamic_stack 0
		.amdhsa_enable_private_segment 0
		.amdhsa_system_sgpr_workgroup_id_x 1
		.amdhsa_system_sgpr_workgroup_id_y 0
		.amdhsa_system_sgpr_workgroup_id_z 0
		.amdhsa_system_sgpr_workgroup_info 0
		.amdhsa_system_vgpr_workitem_id 0
		.amdhsa_next_free_vgpr 1
		.amdhsa_next_free_sgpr 1
		.amdhsa_reserve_vcc 0
		.amdhsa_float_round_mode_32 0
		.amdhsa_float_round_mode_16_64 0
		.amdhsa_float_denorm_mode_32 3
		.amdhsa_float_denorm_mode_16_64 3
		.amdhsa_dx10_clamp 1
		.amdhsa_ieee_mode 1
		.amdhsa_fp16_overflow 0
		.amdhsa_workgroup_processor_mode 1
		.amdhsa_memory_ordered 1
		.amdhsa_forward_progress 0
		.amdhsa_shared_vgpr_count 0
		.amdhsa_exception_fp_ieee_invalid_op 0
		.amdhsa_exception_fp_denorm_src 0
		.amdhsa_exception_fp_ieee_div_zero 0
		.amdhsa_exception_fp_ieee_overflow 0
		.amdhsa_exception_fp_ieee_underflow 0
		.amdhsa_exception_fp_ieee_inexact 0
		.amdhsa_exception_int_div_zero 0
	.end_amdhsa_kernel
	.section	.text._Z20sort_pairs_segmentedILj256ELj64ELj1EaN10test_utils4lessEEvPKT2_PS2_PKjT3_,"axG",@progbits,_Z20sort_pairs_segmentedILj256ELj64ELj1EaN10test_utils4lessEEvPKT2_PS2_PKjT3_,comdat
.Lfunc_end87:
	.size	_Z20sort_pairs_segmentedILj256ELj64ELj1EaN10test_utils4lessEEvPKT2_PS2_PKjT3_, .Lfunc_end87-_Z20sort_pairs_segmentedILj256ELj64ELj1EaN10test_utils4lessEEvPKT2_PS2_PKjT3_
                                        ; -- End function
	.section	.AMDGPU.csdata,"",@progbits
; Kernel info:
; codeLenInByte = 4
; NumSgprs: 0
; NumVgprs: 0
; ScratchSize: 0
; MemoryBound: 0
; FloatMode: 240
; IeeeMode: 1
; LDSByteSize: 0 bytes/workgroup (compile time only)
; SGPRBlocks: 0
; VGPRBlocks: 0
; NumSGPRsForWavesPerEU: 1
; NumVGPRsForWavesPerEU: 1
; Occupancy: 16
; WaveLimiterHint : 0
; COMPUTE_PGM_RSRC2:SCRATCH_EN: 0
; COMPUTE_PGM_RSRC2:USER_SGPR: 15
; COMPUTE_PGM_RSRC2:TRAP_HANDLER: 0
; COMPUTE_PGM_RSRC2:TGID_X_EN: 1
; COMPUTE_PGM_RSRC2:TGID_Y_EN: 0
; COMPUTE_PGM_RSRC2:TGID_Z_EN: 0
; COMPUTE_PGM_RSRC2:TIDIG_COMP_CNT: 0
	.section	.text._Z9sort_keysILj256ELj64ELj4EaN10test_utils4lessEEvPKT2_PS2_T3_,"axG",@progbits,_Z9sort_keysILj256ELj64ELj4EaN10test_utils4lessEEvPKT2_PS2_T3_,comdat
	.protected	_Z9sort_keysILj256ELj64ELj4EaN10test_utils4lessEEvPKT2_PS2_T3_ ; -- Begin function _Z9sort_keysILj256ELj64ELj4EaN10test_utils4lessEEvPKT2_PS2_T3_
	.globl	_Z9sort_keysILj256ELj64ELj4EaN10test_utils4lessEEvPKT2_PS2_T3_
	.p2align	8
	.type	_Z9sort_keysILj256ELj64ELj4EaN10test_utils4lessEEvPKT2_PS2_T3_,@function
_Z9sort_keysILj256ELj64ELj4EaN10test_utils4lessEEvPKT2_PS2_T3_: ; @_Z9sort_keysILj256ELj64ELj4EaN10test_utils4lessEEvPKT2_PS2_T3_
; %bb.0:
	s_endpgm
	.section	.rodata,"a",@progbits
	.p2align	6, 0x0
	.amdhsa_kernel _Z9sort_keysILj256ELj64ELj4EaN10test_utils4lessEEvPKT2_PS2_T3_
		.amdhsa_group_segment_fixed_size 0
		.amdhsa_private_segment_fixed_size 0
		.amdhsa_kernarg_size 20
		.amdhsa_user_sgpr_count 15
		.amdhsa_user_sgpr_dispatch_ptr 0
		.amdhsa_user_sgpr_queue_ptr 0
		.amdhsa_user_sgpr_kernarg_segment_ptr 1
		.amdhsa_user_sgpr_dispatch_id 0
		.amdhsa_user_sgpr_private_segment_size 0
		.amdhsa_wavefront_size32 1
		.amdhsa_uses_dynamic_stack 0
		.amdhsa_enable_private_segment 0
		.amdhsa_system_sgpr_workgroup_id_x 1
		.amdhsa_system_sgpr_workgroup_id_y 0
		.amdhsa_system_sgpr_workgroup_id_z 0
		.amdhsa_system_sgpr_workgroup_info 0
		.amdhsa_system_vgpr_workitem_id 0
		.amdhsa_next_free_vgpr 1
		.amdhsa_next_free_sgpr 1
		.amdhsa_reserve_vcc 0
		.amdhsa_float_round_mode_32 0
		.amdhsa_float_round_mode_16_64 0
		.amdhsa_float_denorm_mode_32 3
		.amdhsa_float_denorm_mode_16_64 3
		.amdhsa_dx10_clamp 1
		.amdhsa_ieee_mode 1
		.amdhsa_fp16_overflow 0
		.amdhsa_workgroup_processor_mode 1
		.amdhsa_memory_ordered 1
		.amdhsa_forward_progress 0
		.amdhsa_shared_vgpr_count 0
		.amdhsa_exception_fp_ieee_invalid_op 0
		.amdhsa_exception_fp_denorm_src 0
		.amdhsa_exception_fp_ieee_div_zero 0
		.amdhsa_exception_fp_ieee_overflow 0
		.amdhsa_exception_fp_ieee_underflow 0
		.amdhsa_exception_fp_ieee_inexact 0
		.amdhsa_exception_int_div_zero 0
	.end_amdhsa_kernel
	.section	.text._Z9sort_keysILj256ELj64ELj4EaN10test_utils4lessEEvPKT2_PS2_T3_,"axG",@progbits,_Z9sort_keysILj256ELj64ELj4EaN10test_utils4lessEEvPKT2_PS2_T3_,comdat
.Lfunc_end88:
	.size	_Z9sort_keysILj256ELj64ELj4EaN10test_utils4lessEEvPKT2_PS2_T3_, .Lfunc_end88-_Z9sort_keysILj256ELj64ELj4EaN10test_utils4lessEEvPKT2_PS2_T3_
                                        ; -- End function
	.section	.AMDGPU.csdata,"",@progbits
; Kernel info:
; codeLenInByte = 4
; NumSgprs: 0
; NumVgprs: 0
; ScratchSize: 0
; MemoryBound: 0
; FloatMode: 240
; IeeeMode: 1
; LDSByteSize: 0 bytes/workgroup (compile time only)
; SGPRBlocks: 0
; VGPRBlocks: 0
; NumSGPRsForWavesPerEU: 1
; NumVGPRsForWavesPerEU: 1
; Occupancy: 16
; WaveLimiterHint : 0
; COMPUTE_PGM_RSRC2:SCRATCH_EN: 0
; COMPUTE_PGM_RSRC2:USER_SGPR: 15
; COMPUTE_PGM_RSRC2:TRAP_HANDLER: 0
; COMPUTE_PGM_RSRC2:TGID_X_EN: 1
; COMPUTE_PGM_RSRC2:TGID_Y_EN: 0
; COMPUTE_PGM_RSRC2:TGID_Z_EN: 0
; COMPUTE_PGM_RSRC2:TIDIG_COMP_CNT: 0
	.section	.text._Z10sort_pairsILj256ELj64ELj4EaN10test_utils4lessEEvPKT2_PS2_T3_,"axG",@progbits,_Z10sort_pairsILj256ELj64ELj4EaN10test_utils4lessEEvPKT2_PS2_T3_,comdat
	.protected	_Z10sort_pairsILj256ELj64ELj4EaN10test_utils4lessEEvPKT2_PS2_T3_ ; -- Begin function _Z10sort_pairsILj256ELj64ELj4EaN10test_utils4lessEEvPKT2_PS2_T3_
	.globl	_Z10sort_pairsILj256ELj64ELj4EaN10test_utils4lessEEvPKT2_PS2_T3_
	.p2align	8
	.type	_Z10sort_pairsILj256ELj64ELj4EaN10test_utils4lessEEvPKT2_PS2_T3_,@function
_Z10sort_pairsILj256ELj64ELj4EaN10test_utils4lessEEvPKT2_PS2_T3_: ; @_Z10sort_pairsILj256ELj64ELj4EaN10test_utils4lessEEvPKT2_PS2_T3_
; %bb.0:
	s_endpgm
	.section	.rodata,"a",@progbits
	.p2align	6, 0x0
	.amdhsa_kernel _Z10sort_pairsILj256ELj64ELj4EaN10test_utils4lessEEvPKT2_PS2_T3_
		.amdhsa_group_segment_fixed_size 0
		.amdhsa_private_segment_fixed_size 0
		.amdhsa_kernarg_size 20
		.amdhsa_user_sgpr_count 15
		.amdhsa_user_sgpr_dispatch_ptr 0
		.amdhsa_user_sgpr_queue_ptr 0
		.amdhsa_user_sgpr_kernarg_segment_ptr 1
		.amdhsa_user_sgpr_dispatch_id 0
		.amdhsa_user_sgpr_private_segment_size 0
		.amdhsa_wavefront_size32 1
		.amdhsa_uses_dynamic_stack 0
		.amdhsa_enable_private_segment 0
		.amdhsa_system_sgpr_workgroup_id_x 1
		.amdhsa_system_sgpr_workgroup_id_y 0
		.amdhsa_system_sgpr_workgroup_id_z 0
		.amdhsa_system_sgpr_workgroup_info 0
		.amdhsa_system_vgpr_workitem_id 0
		.amdhsa_next_free_vgpr 1
		.amdhsa_next_free_sgpr 1
		.amdhsa_reserve_vcc 0
		.amdhsa_float_round_mode_32 0
		.amdhsa_float_round_mode_16_64 0
		.amdhsa_float_denorm_mode_32 3
		.amdhsa_float_denorm_mode_16_64 3
		.amdhsa_dx10_clamp 1
		.amdhsa_ieee_mode 1
		.amdhsa_fp16_overflow 0
		.amdhsa_workgroup_processor_mode 1
		.amdhsa_memory_ordered 1
		.amdhsa_forward_progress 0
		.amdhsa_shared_vgpr_count 0
		.amdhsa_exception_fp_ieee_invalid_op 0
		.amdhsa_exception_fp_denorm_src 0
		.amdhsa_exception_fp_ieee_div_zero 0
		.amdhsa_exception_fp_ieee_overflow 0
		.amdhsa_exception_fp_ieee_underflow 0
		.amdhsa_exception_fp_ieee_inexact 0
		.amdhsa_exception_int_div_zero 0
	.end_amdhsa_kernel
	.section	.text._Z10sort_pairsILj256ELj64ELj4EaN10test_utils4lessEEvPKT2_PS2_T3_,"axG",@progbits,_Z10sort_pairsILj256ELj64ELj4EaN10test_utils4lessEEvPKT2_PS2_T3_,comdat
.Lfunc_end89:
	.size	_Z10sort_pairsILj256ELj64ELj4EaN10test_utils4lessEEvPKT2_PS2_T3_, .Lfunc_end89-_Z10sort_pairsILj256ELj64ELj4EaN10test_utils4lessEEvPKT2_PS2_T3_
                                        ; -- End function
	.section	.AMDGPU.csdata,"",@progbits
; Kernel info:
; codeLenInByte = 4
; NumSgprs: 0
; NumVgprs: 0
; ScratchSize: 0
; MemoryBound: 0
; FloatMode: 240
; IeeeMode: 1
; LDSByteSize: 0 bytes/workgroup (compile time only)
; SGPRBlocks: 0
; VGPRBlocks: 0
; NumSGPRsForWavesPerEU: 1
; NumVGPRsForWavesPerEU: 1
; Occupancy: 16
; WaveLimiterHint : 0
; COMPUTE_PGM_RSRC2:SCRATCH_EN: 0
; COMPUTE_PGM_RSRC2:USER_SGPR: 15
; COMPUTE_PGM_RSRC2:TRAP_HANDLER: 0
; COMPUTE_PGM_RSRC2:TGID_X_EN: 1
; COMPUTE_PGM_RSRC2:TGID_Y_EN: 0
; COMPUTE_PGM_RSRC2:TGID_Z_EN: 0
; COMPUTE_PGM_RSRC2:TIDIG_COMP_CNT: 0
	.section	.text._Z19sort_keys_segmentedILj256ELj64ELj4EaN10test_utils4lessEEvPKT2_PS2_PKjT3_,"axG",@progbits,_Z19sort_keys_segmentedILj256ELj64ELj4EaN10test_utils4lessEEvPKT2_PS2_PKjT3_,comdat
	.protected	_Z19sort_keys_segmentedILj256ELj64ELj4EaN10test_utils4lessEEvPKT2_PS2_PKjT3_ ; -- Begin function _Z19sort_keys_segmentedILj256ELj64ELj4EaN10test_utils4lessEEvPKT2_PS2_PKjT3_
	.globl	_Z19sort_keys_segmentedILj256ELj64ELj4EaN10test_utils4lessEEvPKT2_PS2_PKjT3_
	.p2align	8
	.type	_Z19sort_keys_segmentedILj256ELj64ELj4EaN10test_utils4lessEEvPKT2_PS2_PKjT3_,@function
_Z19sort_keys_segmentedILj256ELj64ELj4EaN10test_utils4lessEEvPKT2_PS2_PKjT3_: ; @_Z19sort_keys_segmentedILj256ELj64ELj4EaN10test_utils4lessEEvPKT2_PS2_PKjT3_
; %bb.0:
	s_endpgm
	.section	.rodata,"a",@progbits
	.p2align	6, 0x0
	.amdhsa_kernel _Z19sort_keys_segmentedILj256ELj64ELj4EaN10test_utils4lessEEvPKT2_PS2_PKjT3_
		.amdhsa_group_segment_fixed_size 0
		.amdhsa_private_segment_fixed_size 0
		.amdhsa_kernarg_size 28
		.amdhsa_user_sgpr_count 15
		.amdhsa_user_sgpr_dispatch_ptr 0
		.amdhsa_user_sgpr_queue_ptr 0
		.amdhsa_user_sgpr_kernarg_segment_ptr 1
		.amdhsa_user_sgpr_dispatch_id 0
		.amdhsa_user_sgpr_private_segment_size 0
		.amdhsa_wavefront_size32 1
		.amdhsa_uses_dynamic_stack 0
		.amdhsa_enable_private_segment 0
		.amdhsa_system_sgpr_workgroup_id_x 1
		.amdhsa_system_sgpr_workgroup_id_y 0
		.amdhsa_system_sgpr_workgroup_id_z 0
		.amdhsa_system_sgpr_workgroup_info 0
		.amdhsa_system_vgpr_workitem_id 0
		.amdhsa_next_free_vgpr 1
		.amdhsa_next_free_sgpr 1
		.amdhsa_reserve_vcc 0
		.amdhsa_float_round_mode_32 0
		.amdhsa_float_round_mode_16_64 0
		.amdhsa_float_denorm_mode_32 3
		.amdhsa_float_denorm_mode_16_64 3
		.amdhsa_dx10_clamp 1
		.amdhsa_ieee_mode 1
		.amdhsa_fp16_overflow 0
		.amdhsa_workgroup_processor_mode 1
		.amdhsa_memory_ordered 1
		.amdhsa_forward_progress 0
		.amdhsa_shared_vgpr_count 0
		.amdhsa_exception_fp_ieee_invalid_op 0
		.amdhsa_exception_fp_denorm_src 0
		.amdhsa_exception_fp_ieee_div_zero 0
		.amdhsa_exception_fp_ieee_overflow 0
		.amdhsa_exception_fp_ieee_underflow 0
		.amdhsa_exception_fp_ieee_inexact 0
		.amdhsa_exception_int_div_zero 0
	.end_amdhsa_kernel
	.section	.text._Z19sort_keys_segmentedILj256ELj64ELj4EaN10test_utils4lessEEvPKT2_PS2_PKjT3_,"axG",@progbits,_Z19sort_keys_segmentedILj256ELj64ELj4EaN10test_utils4lessEEvPKT2_PS2_PKjT3_,comdat
.Lfunc_end90:
	.size	_Z19sort_keys_segmentedILj256ELj64ELj4EaN10test_utils4lessEEvPKT2_PS2_PKjT3_, .Lfunc_end90-_Z19sort_keys_segmentedILj256ELj64ELj4EaN10test_utils4lessEEvPKT2_PS2_PKjT3_
                                        ; -- End function
	.section	.AMDGPU.csdata,"",@progbits
; Kernel info:
; codeLenInByte = 4
; NumSgprs: 0
; NumVgprs: 0
; ScratchSize: 0
; MemoryBound: 0
; FloatMode: 240
; IeeeMode: 1
; LDSByteSize: 0 bytes/workgroup (compile time only)
; SGPRBlocks: 0
; VGPRBlocks: 0
; NumSGPRsForWavesPerEU: 1
; NumVGPRsForWavesPerEU: 1
; Occupancy: 16
; WaveLimiterHint : 0
; COMPUTE_PGM_RSRC2:SCRATCH_EN: 0
; COMPUTE_PGM_RSRC2:USER_SGPR: 15
; COMPUTE_PGM_RSRC2:TRAP_HANDLER: 0
; COMPUTE_PGM_RSRC2:TGID_X_EN: 1
; COMPUTE_PGM_RSRC2:TGID_Y_EN: 0
; COMPUTE_PGM_RSRC2:TGID_Z_EN: 0
; COMPUTE_PGM_RSRC2:TIDIG_COMP_CNT: 0
	.section	.text._Z20sort_pairs_segmentedILj256ELj64ELj4EaN10test_utils4lessEEvPKT2_PS2_PKjT3_,"axG",@progbits,_Z20sort_pairs_segmentedILj256ELj64ELj4EaN10test_utils4lessEEvPKT2_PS2_PKjT3_,comdat
	.protected	_Z20sort_pairs_segmentedILj256ELj64ELj4EaN10test_utils4lessEEvPKT2_PS2_PKjT3_ ; -- Begin function _Z20sort_pairs_segmentedILj256ELj64ELj4EaN10test_utils4lessEEvPKT2_PS2_PKjT3_
	.globl	_Z20sort_pairs_segmentedILj256ELj64ELj4EaN10test_utils4lessEEvPKT2_PS2_PKjT3_
	.p2align	8
	.type	_Z20sort_pairs_segmentedILj256ELj64ELj4EaN10test_utils4lessEEvPKT2_PS2_PKjT3_,@function
_Z20sort_pairs_segmentedILj256ELj64ELj4EaN10test_utils4lessEEvPKT2_PS2_PKjT3_: ; @_Z20sort_pairs_segmentedILj256ELj64ELj4EaN10test_utils4lessEEvPKT2_PS2_PKjT3_
; %bb.0:
	s_endpgm
	.section	.rodata,"a",@progbits
	.p2align	6, 0x0
	.amdhsa_kernel _Z20sort_pairs_segmentedILj256ELj64ELj4EaN10test_utils4lessEEvPKT2_PS2_PKjT3_
		.amdhsa_group_segment_fixed_size 0
		.amdhsa_private_segment_fixed_size 0
		.amdhsa_kernarg_size 28
		.amdhsa_user_sgpr_count 15
		.amdhsa_user_sgpr_dispatch_ptr 0
		.amdhsa_user_sgpr_queue_ptr 0
		.amdhsa_user_sgpr_kernarg_segment_ptr 1
		.amdhsa_user_sgpr_dispatch_id 0
		.amdhsa_user_sgpr_private_segment_size 0
		.amdhsa_wavefront_size32 1
		.amdhsa_uses_dynamic_stack 0
		.amdhsa_enable_private_segment 0
		.amdhsa_system_sgpr_workgroup_id_x 1
		.amdhsa_system_sgpr_workgroup_id_y 0
		.amdhsa_system_sgpr_workgroup_id_z 0
		.amdhsa_system_sgpr_workgroup_info 0
		.amdhsa_system_vgpr_workitem_id 0
		.amdhsa_next_free_vgpr 1
		.amdhsa_next_free_sgpr 1
		.amdhsa_reserve_vcc 0
		.amdhsa_float_round_mode_32 0
		.amdhsa_float_round_mode_16_64 0
		.amdhsa_float_denorm_mode_32 3
		.amdhsa_float_denorm_mode_16_64 3
		.amdhsa_dx10_clamp 1
		.amdhsa_ieee_mode 1
		.amdhsa_fp16_overflow 0
		.amdhsa_workgroup_processor_mode 1
		.amdhsa_memory_ordered 1
		.amdhsa_forward_progress 0
		.amdhsa_shared_vgpr_count 0
		.amdhsa_exception_fp_ieee_invalid_op 0
		.amdhsa_exception_fp_denorm_src 0
		.amdhsa_exception_fp_ieee_div_zero 0
		.amdhsa_exception_fp_ieee_overflow 0
		.amdhsa_exception_fp_ieee_underflow 0
		.amdhsa_exception_fp_ieee_inexact 0
		.amdhsa_exception_int_div_zero 0
	.end_amdhsa_kernel
	.section	.text._Z20sort_pairs_segmentedILj256ELj64ELj4EaN10test_utils4lessEEvPKT2_PS2_PKjT3_,"axG",@progbits,_Z20sort_pairs_segmentedILj256ELj64ELj4EaN10test_utils4lessEEvPKT2_PS2_PKjT3_,comdat
.Lfunc_end91:
	.size	_Z20sort_pairs_segmentedILj256ELj64ELj4EaN10test_utils4lessEEvPKT2_PS2_PKjT3_, .Lfunc_end91-_Z20sort_pairs_segmentedILj256ELj64ELj4EaN10test_utils4lessEEvPKT2_PS2_PKjT3_
                                        ; -- End function
	.section	.AMDGPU.csdata,"",@progbits
; Kernel info:
; codeLenInByte = 4
; NumSgprs: 0
; NumVgprs: 0
; ScratchSize: 0
; MemoryBound: 0
; FloatMode: 240
; IeeeMode: 1
; LDSByteSize: 0 bytes/workgroup (compile time only)
; SGPRBlocks: 0
; VGPRBlocks: 0
; NumSGPRsForWavesPerEU: 1
; NumVGPRsForWavesPerEU: 1
; Occupancy: 16
; WaveLimiterHint : 0
; COMPUTE_PGM_RSRC2:SCRATCH_EN: 0
; COMPUTE_PGM_RSRC2:USER_SGPR: 15
; COMPUTE_PGM_RSRC2:TRAP_HANDLER: 0
; COMPUTE_PGM_RSRC2:TGID_X_EN: 1
; COMPUTE_PGM_RSRC2:TGID_Y_EN: 0
; COMPUTE_PGM_RSRC2:TGID_Z_EN: 0
; COMPUTE_PGM_RSRC2:TIDIG_COMP_CNT: 0
	.section	.text._Z9sort_keysILj256ELj64ELj8EaN10test_utils4lessEEvPKT2_PS2_T3_,"axG",@progbits,_Z9sort_keysILj256ELj64ELj8EaN10test_utils4lessEEvPKT2_PS2_T3_,comdat
	.protected	_Z9sort_keysILj256ELj64ELj8EaN10test_utils4lessEEvPKT2_PS2_T3_ ; -- Begin function _Z9sort_keysILj256ELj64ELj8EaN10test_utils4lessEEvPKT2_PS2_T3_
	.globl	_Z9sort_keysILj256ELj64ELj8EaN10test_utils4lessEEvPKT2_PS2_T3_
	.p2align	8
	.type	_Z9sort_keysILj256ELj64ELj8EaN10test_utils4lessEEvPKT2_PS2_T3_,@function
_Z9sort_keysILj256ELj64ELj8EaN10test_utils4lessEEvPKT2_PS2_T3_: ; @_Z9sort_keysILj256ELj64ELj8EaN10test_utils4lessEEvPKT2_PS2_T3_
; %bb.0:
	s_endpgm
	.section	.rodata,"a",@progbits
	.p2align	6, 0x0
	.amdhsa_kernel _Z9sort_keysILj256ELj64ELj8EaN10test_utils4lessEEvPKT2_PS2_T3_
		.amdhsa_group_segment_fixed_size 0
		.amdhsa_private_segment_fixed_size 0
		.amdhsa_kernarg_size 20
		.amdhsa_user_sgpr_count 15
		.amdhsa_user_sgpr_dispatch_ptr 0
		.amdhsa_user_sgpr_queue_ptr 0
		.amdhsa_user_sgpr_kernarg_segment_ptr 1
		.amdhsa_user_sgpr_dispatch_id 0
		.amdhsa_user_sgpr_private_segment_size 0
		.amdhsa_wavefront_size32 1
		.amdhsa_uses_dynamic_stack 0
		.amdhsa_enable_private_segment 0
		.amdhsa_system_sgpr_workgroup_id_x 1
		.amdhsa_system_sgpr_workgroup_id_y 0
		.amdhsa_system_sgpr_workgroup_id_z 0
		.amdhsa_system_sgpr_workgroup_info 0
		.amdhsa_system_vgpr_workitem_id 0
		.amdhsa_next_free_vgpr 1
		.amdhsa_next_free_sgpr 1
		.amdhsa_reserve_vcc 0
		.amdhsa_float_round_mode_32 0
		.amdhsa_float_round_mode_16_64 0
		.amdhsa_float_denorm_mode_32 3
		.amdhsa_float_denorm_mode_16_64 3
		.amdhsa_dx10_clamp 1
		.amdhsa_ieee_mode 1
		.amdhsa_fp16_overflow 0
		.amdhsa_workgroup_processor_mode 1
		.amdhsa_memory_ordered 1
		.amdhsa_forward_progress 0
		.amdhsa_shared_vgpr_count 0
		.amdhsa_exception_fp_ieee_invalid_op 0
		.amdhsa_exception_fp_denorm_src 0
		.amdhsa_exception_fp_ieee_div_zero 0
		.amdhsa_exception_fp_ieee_overflow 0
		.amdhsa_exception_fp_ieee_underflow 0
		.amdhsa_exception_fp_ieee_inexact 0
		.amdhsa_exception_int_div_zero 0
	.end_amdhsa_kernel
	.section	.text._Z9sort_keysILj256ELj64ELj8EaN10test_utils4lessEEvPKT2_PS2_T3_,"axG",@progbits,_Z9sort_keysILj256ELj64ELj8EaN10test_utils4lessEEvPKT2_PS2_T3_,comdat
.Lfunc_end92:
	.size	_Z9sort_keysILj256ELj64ELj8EaN10test_utils4lessEEvPKT2_PS2_T3_, .Lfunc_end92-_Z9sort_keysILj256ELj64ELj8EaN10test_utils4lessEEvPKT2_PS2_T3_
                                        ; -- End function
	.section	.AMDGPU.csdata,"",@progbits
; Kernel info:
; codeLenInByte = 4
; NumSgprs: 0
; NumVgprs: 0
; ScratchSize: 0
; MemoryBound: 0
; FloatMode: 240
; IeeeMode: 1
; LDSByteSize: 0 bytes/workgroup (compile time only)
; SGPRBlocks: 0
; VGPRBlocks: 0
; NumSGPRsForWavesPerEU: 1
; NumVGPRsForWavesPerEU: 1
; Occupancy: 16
; WaveLimiterHint : 0
; COMPUTE_PGM_RSRC2:SCRATCH_EN: 0
; COMPUTE_PGM_RSRC2:USER_SGPR: 15
; COMPUTE_PGM_RSRC2:TRAP_HANDLER: 0
; COMPUTE_PGM_RSRC2:TGID_X_EN: 1
; COMPUTE_PGM_RSRC2:TGID_Y_EN: 0
; COMPUTE_PGM_RSRC2:TGID_Z_EN: 0
; COMPUTE_PGM_RSRC2:TIDIG_COMP_CNT: 0
	.section	.text._Z10sort_pairsILj256ELj64ELj8EaN10test_utils4lessEEvPKT2_PS2_T3_,"axG",@progbits,_Z10sort_pairsILj256ELj64ELj8EaN10test_utils4lessEEvPKT2_PS2_T3_,comdat
	.protected	_Z10sort_pairsILj256ELj64ELj8EaN10test_utils4lessEEvPKT2_PS2_T3_ ; -- Begin function _Z10sort_pairsILj256ELj64ELj8EaN10test_utils4lessEEvPKT2_PS2_T3_
	.globl	_Z10sort_pairsILj256ELj64ELj8EaN10test_utils4lessEEvPKT2_PS2_T3_
	.p2align	8
	.type	_Z10sort_pairsILj256ELj64ELj8EaN10test_utils4lessEEvPKT2_PS2_T3_,@function
_Z10sort_pairsILj256ELj64ELj8EaN10test_utils4lessEEvPKT2_PS2_T3_: ; @_Z10sort_pairsILj256ELj64ELj8EaN10test_utils4lessEEvPKT2_PS2_T3_
; %bb.0:
	s_endpgm
	.section	.rodata,"a",@progbits
	.p2align	6, 0x0
	.amdhsa_kernel _Z10sort_pairsILj256ELj64ELj8EaN10test_utils4lessEEvPKT2_PS2_T3_
		.amdhsa_group_segment_fixed_size 0
		.amdhsa_private_segment_fixed_size 0
		.amdhsa_kernarg_size 20
		.amdhsa_user_sgpr_count 15
		.amdhsa_user_sgpr_dispatch_ptr 0
		.amdhsa_user_sgpr_queue_ptr 0
		.amdhsa_user_sgpr_kernarg_segment_ptr 1
		.amdhsa_user_sgpr_dispatch_id 0
		.amdhsa_user_sgpr_private_segment_size 0
		.amdhsa_wavefront_size32 1
		.amdhsa_uses_dynamic_stack 0
		.amdhsa_enable_private_segment 0
		.amdhsa_system_sgpr_workgroup_id_x 1
		.amdhsa_system_sgpr_workgroup_id_y 0
		.amdhsa_system_sgpr_workgroup_id_z 0
		.amdhsa_system_sgpr_workgroup_info 0
		.amdhsa_system_vgpr_workitem_id 0
		.amdhsa_next_free_vgpr 1
		.amdhsa_next_free_sgpr 1
		.amdhsa_reserve_vcc 0
		.amdhsa_float_round_mode_32 0
		.amdhsa_float_round_mode_16_64 0
		.amdhsa_float_denorm_mode_32 3
		.amdhsa_float_denorm_mode_16_64 3
		.amdhsa_dx10_clamp 1
		.amdhsa_ieee_mode 1
		.amdhsa_fp16_overflow 0
		.amdhsa_workgroup_processor_mode 1
		.amdhsa_memory_ordered 1
		.amdhsa_forward_progress 0
		.amdhsa_shared_vgpr_count 0
		.amdhsa_exception_fp_ieee_invalid_op 0
		.amdhsa_exception_fp_denorm_src 0
		.amdhsa_exception_fp_ieee_div_zero 0
		.amdhsa_exception_fp_ieee_overflow 0
		.amdhsa_exception_fp_ieee_underflow 0
		.amdhsa_exception_fp_ieee_inexact 0
		.amdhsa_exception_int_div_zero 0
	.end_amdhsa_kernel
	.section	.text._Z10sort_pairsILj256ELj64ELj8EaN10test_utils4lessEEvPKT2_PS2_T3_,"axG",@progbits,_Z10sort_pairsILj256ELj64ELj8EaN10test_utils4lessEEvPKT2_PS2_T3_,comdat
.Lfunc_end93:
	.size	_Z10sort_pairsILj256ELj64ELj8EaN10test_utils4lessEEvPKT2_PS2_T3_, .Lfunc_end93-_Z10sort_pairsILj256ELj64ELj8EaN10test_utils4lessEEvPKT2_PS2_T3_
                                        ; -- End function
	.section	.AMDGPU.csdata,"",@progbits
; Kernel info:
; codeLenInByte = 4
; NumSgprs: 0
; NumVgprs: 0
; ScratchSize: 0
; MemoryBound: 0
; FloatMode: 240
; IeeeMode: 1
; LDSByteSize: 0 bytes/workgroup (compile time only)
; SGPRBlocks: 0
; VGPRBlocks: 0
; NumSGPRsForWavesPerEU: 1
; NumVGPRsForWavesPerEU: 1
; Occupancy: 16
; WaveLimiterHint : 0
; COMPUTE_PGM_RSRC2:SCRATCH_EN: 0
; COMPUTE_PGM_RSRC2:USER_SGPR: 15
; COMPUTE_PGM_RSRC2:TRAP_HANDLER: 0
; COMPUTE_PGM_RSRC2:TGID_X_EN: 1
; COMPUTE_PGM_RSRC2:TGID_Y_EN: 0
; COMPUTE_PGM_RSRC2:TGID_Z_EN: 0
; COMPUTE_PGM_RSRC2:TIDIG_COMP_CNT: 0
	.section	.text._Z19sort_keys_segmentedILj256ELj64ELj8EaN10test_utils4lessEEvPKT2_PS2_PKjT3_,"axG",@progbits,_Z19sort_keys_segmentedILj256ELj64ELj8EaN10test_utils4lessEEvPKT2_PS2_PKjT3_,comdat
	.protected	_Z19sort_keys_segmentedILj256ELj64ELj8EaN10test_utils4lessEEvPKT2_PS2_PKjT3_ ; -- Begin function _Z19sort_keys_segmentedILj256ELj64ELj8EaN10test_utils4lessEEvPKT2_PS2_PKjT3_
	.globl	_Z19sort_keys_segmentedILj256ELj64ELj8EaN10test_utils4lessEEvPKT2_PS2_PKjT3_
	.p2align	8
	.type	_Z19sort_keys_segmentedILj256ELj64ELj8EaN10test_utils4lessEEvPKT2_PS2_PKjT3_,@function
_Z19sort_keys_segmentedILj256ELj64ELj8EaN10test_utils4lessEEvPKT2_PS2_PKjT3_: ; @_Z19sort_keys_segmentedILj256ELj64ELj8EaN10test_utils4lessEEvPKT2_PS2_PKjT3_
; %bb.0:
	s_endpgm
	.section	.rodata,"a",@progbits
	.p2align	6, 0x0
	.amdhsa_kernel _Z19sort_keys_segmentedILj256ELj64ELj8EaN10test_utils4lessEEvPKT2_PS2_PKjT3_
		.amdhsa_group_segment_fixed_size 0
		.amdhsa_private_segment_fixed_size 0
		.amdhsa_kernarg_size 28
		.amdhsa_user_sgpr_count 15
		.amdhsa_user_sgpr_dispatch_ptr 0
		.amdhsa_user_sgpr_queue_ptr 0
		.amdhsa_user_sgpr_kernarg_segment_ptr 1
		.amdhsa_user_sgpr_dispatch_id 0
		.amdhsa_user_sgpr_private_segment_size 0
		.amdhsa_wavefront_size32 1
		.amdhsa_uses_dynamic_stack 0
		.amdhsa_enable_private_segment 0
		.amdhsa_system_sgpr_workgroup_id_x 1
		.amdhsa_system_sgpr_workgroup_id_y 0
		.amdhsa_system_sgpr_workgroup_id_z 0
		.amdhsa_system_sgpr_workgroup_info 0
		.amdhsa_system_vgpr_workitem_id 0
		.amdhsa_next_free_vgpr 1
		.amdhsa_next_free_sgpr 1
		.amdhsa_reserve_vcc 0
		.amdhsa_float_round_mode_32 0
		.amdhsa_float_round_mode_16_64 0
		.amdhsa_float_denorm_mode_32 3
		.amdhsa_float_denorm_mode_16_64 3
		.amdhsa_dx10_clamp 1
		.amdhsa_ieee_mode 1
		.amdhsa_fp16_overflow 0
		.amdhsa_workgroup_processor_mode 1
		.amdhsa_memory_ordered 1
		.amdhsa_forward_progress 0
		.amdhsa_shared_vgpr_count 0
		.amdhsa_exception_fp_ieee_invalid_op 0
		.amdhsa_exception_fp_denorm_src 0
		.amdhsa_exception_fp_ieee_div_zero 0
		.amdhsa_exception_fp_ieee_overflow 0
		.amdhsa_exception_fp_ieee_underflow 0
		.amdhsa_exception_fp_ieee_inexact 0
		.amdhsa_exception_int_div_zero 0
	.end_amdhsa_kernel
	.section	.text._Z19sort_keys_segmentedILj256ELj64ELj8EaN10test_utils4lessEEvPKT2_PS2_PKjT3_,"axG",@progbits,_Z19sort_keys_segmentedILj256ELj64ELj8EaN10test_utils4lessEEvPKT2_PS2_PKjT3_,comdat
.Lfunc_end94:
	.size	_Z19sort_keys_segmentedILj256ELj64ELj8EaN10test_utils4lessEEvPKT2_PS2_PKjT3_, .Lfunc_end94-_Z19sort_keys_segmentedILj256ELj64ELj8EaN10test_utils4lessEEvPKT2_PS2_PKjT3_
                                        ; -- End function
	.section	.AMDGPU.csdata,"",@progbits
; Kernel info:
; codeLenInByte = 4
; NumSgprs: 0
; NumVgprs: 0
; ScratchSize: 0
; MemoryBound: 0
; FloatMode: 240
; IeeeMode: 1
; LDSByteSize: 0 bytes/workgroup (compile time only)
; SGPRBlocks: 0
; VGPRBlocks: 0
; NumSGPRsForWavesPerEU: 1
; NumVGPRsForWavesPerEU: 1
; Occupancy: 16
; WaveLimiterHint : 0
; COMPUTE_PGM_RSRC2:SCRATCH_EN: 0
; COMPUTE_PGM_RSRC2:USER_SGPR: 15
; COMPUTE_PGM_RSRC2:TRAP_HANDLER: 0
; COMPUTE_PGM_RSRC2:TGID_X_EN: 1
; COMPUTE_PGM_RSRC2:TGID_Y_EN: 0
; COMPUTE_PGM_RSRC2:TGID_Z_EN: 0
; COMPUTE_PGM_RSRC2:TIDIG_COMP_CNT: 0
	.section	.text._Z20sort_pairs_segmentedILj256ELj64ELj8EaN10test_utils4lessEEvPKT2_PS2_PKjT3_,"axG",@progbits,_Z20sort_pairs_segmentedILj256ELj64ELj8EaN10test_utils4lessEEvPKT2_PS2_PKjT3_,comdat
	.protected	_Z20sort_pairs_segmentedILj256ELj64ELj8EaN10test_utils4lessEEvPKT2_PS2_PKjT3_ ; -- Begin function _Z20sort_pairs_segmentedILj256ELj64ELj8EaN10test_utils4lessEEvPKT2_PS2_PKjT3_
	.globl	_Z20sort_pairs_segmentedILj256ELj64ELj8EaN10test_utils4lessEEvPKT2_PS2_PKjT3_
	.p2align	8
	.type	_Z20sort_pairs_segmentedILj256ELj64ELj8EaN10test_utils4lessEEvPKT2_PS2_PKjT3_,@function
_Z20sort_pairs_segmentedILj256ELj64ELj8EaN10test_utils4lessEEvPKT2_PS2_PKjT3_: ; @_Z20sort_pairs_segmentedILj256ELj64ELj8EaN10test_utils4lessEEvPKT2_PS2_PKjT3_
; %bb.0:
	s_endpgm
	.section	.rodata,"a",@progbits
	.p2align	6, 0x0
	.amdhsa_kernel _Z20sort_pairs_segmentedILj256ELj64ELj8EaN10test_utils4lessEEvPKT2_PS2_PKjT3_
		.amdhsa_group_segment_fixed_size 0
		.amdhsa_private_segment_fixed_size 0
		.amdhsa_kernarg_size 28
		.amdhsa_user_sgpr_count 15
		.amdhsa_user_sgpr_dispatch_ptr 0
		.amdhsa_user_sgpr_queue_ptr 0
		.amdhsa_user_sgpr_kernarg_segment_ptr 1
		.amdhsa_user_sgpr_dispatch_id 0
		.amdhsa_user_sgpr_private_segment_size 0
		.amdhsa_wavefront_size32 1
		.amdhsa_uses_dynamic_stack 0
		.amdhsa_enable_private_segment 0
		.amdhsa_system_sgpr_workgroup_id_x 1
		.amdhsa_system_sgpr_workgroup_id_y 0
		.amdhsa_system_sgpr_workgroup_id_z 0
		.amdhsa_system_sgpr_workgroup_info 0
		.amdhsa_system_vgpr_workitem_id 0
		.amdhsa_next_free_vgpr 1
		.amdhsa_next_free_sgpr 1
		.amdhsa_reserve_vcc 0
		.amdhsa_float_round_mode_32 0
		.amdhsa_float_round_mode_16_64 0
		.amdhsa_float_denorm_mode_32 3
		.amdhsa_float_denorm_mode_16_64 3
		.amdhsa_dx10_clamp 1
		.amdhsa_ieee_mode 1
		.amdhsa_fp16_overflow 0
		.amdhsa_workgroup_processor_mode 1
		.amdhsa_memory_ordered 1
		.amdhsa_forward_progress 0
		.amdhsa_shared_vgpr_count 0
		.amdhsa_exception_fp_ieee_invalid_op 0
		.amdhsa_exception_fp_denorm_src 0
		.amdhsa_exception_fp_ieee_div_zero 0
		.amdhsa_exception_fp_ieee_overflow 0
		.amdhsa_exception_fp_ieee_underflow 0
		.amdhsa_exception_fp_ieee_inexact 0
		.amdhsa_exception_int_div_zero 0
	.end_amdhsa_kernel
	.section	.text._Z20sort_pairs_segmentedILj256ELj64ELj8EaN10test_utils4lessEEvPKT2_PS2_PKjT3_,"axG",@progbits,_Z20sort_pairs_segmentedILj256ELj64ELj8EaN10test_utils4lessEEvPKT2_PS2_PKjT3_,comdat
.Lfunc_end95:
	.size	_Z20sort_pairs_segmentedILj256ELj64ELj8EaN10test_utils4lessEEvPKT2_PS2_PKjT3_, .Lfunc_end95-_Z20sort_pairs_segmentedILj256ELj64ELj8EaN10test_utils4lessEEvPKT2_PS2_PKjT3_
                                        ; -- End function
	.section	.AMDGPU.csdata,"",@progbits
; Kernel info:
; codeLenInByte = 4
; NumSgprs: 0
; NumVgprs: 0
; ScratchSize: 0
; MemoryBound: 0
; FloatMode: 240
; IeeeMode: 1
; LDSByteSize: 0 bytes/workgroup (compile time only)
; SGPRBlocks: 0
; VGPRBlocks: 0
; NumSGPRsForWavesPerEU: 1
; NumVGPRsForWavesPerEU: 1
; Occupancy: 16
; WaveLimiterHint : 0
; COMPUTE_PGM_RSRC2:SCRATCH_EN: 0
; COMPUTE_PGM_RSRC2:USER_SGPR: 15
; COMPUTE_PGM_RSRC2:TRAP_HANDLER: 0
; COMPUTE_PGM_RSRC2:TGID_X_EN: 1
; COMPUTE_PGM_RSRC2:TGID_Y_EN: 0
; COMPUTE_PGM_RSRC2:TGID_Z_EN: 0
; COMPUTE_PGM_RSRC2:TIDIG_COMP_CNT: 0
	.section	.text._Z9sort_keysILj256ELj4ELj1EhN10test_utils4lessEEvPKT2_PS2_T3_,"axG",@progbits,_Z9sort_keysILj256ELj4ELj1EhN10test_utils4lessEEvPKT2_PS2_T3_,comdat
	.protected	_Z9sort_keysILj256ELj4ELj1EhN10test_utils4lessEEvPKT2_PS2_T3_ ; -- Begin function _Z9sort_keysILj256ELj4ELj1EhN10test_utils4lessEEvPKT2_PS2_T3_
	.globl	_Z9sort_keysILj256ELj4ELj1EhN10test_utils4lessEEvPKT2_PS2_T3_
	.p2align	8
	.type	_Z9sort_keysILj256ELj4ELj1EhN10test_utils4lessEEvPKT2_PS2_T3_,@function
_Z9sort_keysILj256ELj4ELj1EhN10test_utils4lessEEvPKT2_PS2_T3_: ; @_Z9sort_keysILj256ELj4ELj1EhN10test_utils4lessEEvPKT2_PS2_T3_
; %bb.0:
	s_load_b128 s[0:3], s[0:1], 0x0
	s_lshl_b32 s4, s15, 8
	v_mbcnt_lo_u32_b32 v1, -1, 0
	v_lshrrev_b32_e32 v10, 2, v0
	s_delay_alu instid0(VALU_DEP_2) | instskip(SKIP_2) | instid1(VALU_DEP_3)
	v_and_b32_e32 v5, 2, v1
	v_and_b32_e32 v6, 1, v1
	;; [unrolled: 1-line block ×3, first 2 shown]
	v_or_b32_e32 v4, 1, v5
	s_delay_alu instid0(VALU_DEP_1)
	v_sub_nc_u32_e32 v2, v5, v4
	v_sub_nc_u32_e32 v3, v4, v5
	s_waitcnt lgkmcnt(0)
	s_add_u32 s0, s0, s4
	s_addc_u32 s1, s1, 0
	v_add_nc_u32_e32 v2, 2, v2
	global_load_u8 v9, v0, s[0:1]
	s_mov_b32 s0, 0
	s_mov_b32 s1, exec_lo
	v_sub_nc_u32_e32 v7, v6, v2
	v_cmp_ge_i32_e32 vcc_lo, v6, v2
	v_mul_u32_u24_e32 v2, 5, v10
	; wave barrier
	s_delay_alu instid0(VALU_DEP_3)
	v_cndmask_b32_e32 v7, 0, v7, vcc_lo
	v_min_i32_e32 v8, v6, v3
	v_mad_u32_u24 v3, v10, 5, v1
	s_waitcnt vmcnt(0)
	ds_store_b8 v3, v9
	; wave barrier
	v_cmpx_lt_i32_e64 v7, v8
	s_cbranch_execz .LBB96_4
; %bb.1:
	v_add_nc_u32_e32 v9, v2, v5
	s_delay_alu instid0(VALU_DEP_1)
	v_add3_u32 v10, v9, v6, 1
	.p2align	6
.LBB96_2:                               ; =>This Inner Loop Header: Depth=1
	v_sub_nc_u32_e32 v11, v8, v7
	s_delay_alu instid0(VALU_DEP_1) | instskip(NEXT) | instid1(VALU_DEP_1)
	v_lshrrev_b32_e32 v12, 31, v11
	v_add_nc_u32_e32 v11, v11, v12
	s_delay_alu instid0(VALU_DEP_1) | instskip(NEXT) | instid1(VALU_DEP_1)
	v_ashrrev_i32_e32 v11, 1, v11
	v_add_nc_u32_e32 v11, v11, v7
	s_delay_alu instid0(VALU_DEP_1)
	v_add_nc_u32_e32 v12, v9, v11
	v_xad_u32 v13, v11, -1, v10
	v_add_nc_u32_e32 v14, 1, v11
	ds_load_u8 v12, v12
	ds_load_u8 v13, v13
	s_waitcnt lgkmcnt(0)
	v_cmp_lt_u16_e32 vcc_lo, v13, v12
	v_cndmask_b32_e32 v8, v8, v11, vcc_lo
	v_cndmask_b32_e32 v7, v14, v7, vcc_lo
	s_delay_alu instid0(VALU_DEP_1) | instskip(SKIP_1) | instid1(SALU_CYCLE_1)
	v_cmp_ge_i32_e32 vcc_lo, v7, v8
	s_or_b32 s0, vcc_lo, s0
	s_and_not1_b32 exec_lo, exec_lo, s0
	s_cbranch_execnz .LBB96_2
; %bb.3:
	s_or_b32 exec_lo, exec_lo, s0
.LBB96_4:
	s_delay_alu instid0(SALU_CYCLE_1) | instskip(SKIP_3) | instid1(VALU_DEP_3)
	s_or_b32 exec_lo, exec_lo, s1
	v_add_nc_u32_e32 v8, v5, v6
	v_add3_u32 v5, v2, v7, v5
	v_cmp_lt_i32_e32 vcc_lo, 0, v7
	v_sub_nc_u32_e32 v8, v8, v7
	s_delay_alu instid0(VALU_DEP_1) | instskip(SKIP_3) | instid1(VALU_DEP_1)
	v_add_nc_u32_e32 v8, v2, v8
	ds_load_u8 v9, v5
	ds_load_u8 v8, v8 offset:1
	v_add_nc_u32_e32 v5, v4, v6
	; wave barrier
	v_sub_nc_u32_e32 v5, v5, v7
	s_delay_alu instid0(VALU_DEP_1)
	v_cmp_ge_i32_e64 s1, v4, v5
	v_sub_nc_u32_e64 v4, v1, 2 clamp
	v_min_i32_e32 v5, 2, v1
	s_waitcnt lgkmcnt(1)
	v_and_b32_e32 v6, 0xff, v9
	s_waitcnt lgkmcnt(0)
	v_and_b32_e32 v10, 0xff, v8
	s_delay_alu instid0(VALU_DEP_1) | instskip(SKIP_1) | instid1(VALU_DEP_2)
	v_cmp_lt_u16_e64 s0, v10, v6
	v_add_nc_u32_e32 v6, v2, v1
	s_or_b32 s0, vcc_lo, s0
	s_delay_alu instid0(SALU_CYCLE_1)
	s_and_b32 vcc_lo, s1, s0
	s_mov_b32 s0, 0
	v_cndmask_b32_e32 v7, v9, v8, vcc_lo
	s_mov_b32 s1, exec_lo
	ds_store_b8 v6, v7
	; wave barrier
	v_cmpx_lt_u32_e64 v4, v5
	s_cbranch_execz .LBB96_7
	.p2align	6
.LBB96_5:                               ; =>This Inner Loop Header: Depth=1
	v_sub_nc_u32_e32 v6, v5, v4
	s_delay_alu instid0(VALU_DEP_1) | instskip(NEXT) | instid1(VALU_DEP_1)
	v_lshrrev_b32_e32 v7, 31, v6
	v_add_nc_u32_e32 v6, v6, v7
	s_delay_alu instid0(VALU_DEP_1) | instskip(NEXT) | instid1(VALU_DEP_1)
	v_ashrrev_i32_e32 v6, 1, v6
	v_add_nc_u32_e32 v6, v6, v4
	s_delay_alu instid0(VALU_DEP_1)
	v_add_nc_u32_e32 v9, 1, v6
	v_add_nc_u32_e32 v7, v2, v6
	v_xad_u32 v8, v6, -1, v3
	ds_load_u8 v7, v7
	ds_load_u8 v8, v8 offset:2
	s_waitcnt lgkmcnt(0)
	v_cmp_lt_u16_e32 vcc_lo, v8, v7
	v_cndmask_b32_e32 v4, v9, v4, vcc_lo
	v_cndmask_b32_e32 v5, v5, v6, vcc_lo
	s_delay_alu instid0(VALU_DEP_1) | instskip(SKIP_1) | instid1(SALU_CYCLE_1)
	v_cmp_ge_i32_e32 vcc_lo, v4, v5
	s_or_b32 s0, vcc_lo, s0
	s_and_not1_b32 exec_lo, exec_lo, s0
	s_cbranch_execnz .LBB96_5
; %bb.6:
	s_or_b32 exec_lo, exec_lo, s0
.LBB96_7:
	s_delay_alu instid0(SALU_CYCLE_1) | instskip(SKIP_3) | instid1(VALU_DEP_3)
	s_or_b32 exec_lo, exec_lo, s1
	v_sub_nc_u32_e32 v1, v1, v4
	v_add_nc_u32_e32 v3, v2, v4
	v_cmp_lt_i32_e32 vcc_lo, 1, v4
	v_add_nc_u32_e32 v2, v2, v1
	v_add_nc_u32_e32 v1, 2, v1
	ds_load_u8 v3, v3
	ds_load_u8 v2, v2 offset:2
	v_cmp_gt_i32_e64 s1, 4, v1
	s_waitcnt lgkmcnt(1)
	v_and_b32_e32 v5, 0xff, v3
	s_waitcnt lgkmcnt(0)
	v_and_b32_e32 v6, 0xff, v2
	s_delay_alu instid0(VALU_DEP_1) | instskip(NEXT) | instid1(VALU_DEP_1)
	v_cmp_lt_u16_e64 s0, v6, v5
	s_or_b32 s0, vcc_lo, s0
	s_delay_alu instid0(SALU_CYCLE_1) | instskip(SKIP_4) | instid1(VALU_DEP_1)
	s_and_b32 vcc_lo, s1, s0
	s_add_u32 s0, s2, s4
	v_cndmask_b32_e32 v2, v3, v2, vcc_lo
	s_addc_u32 s1, s3, 0
	v_add_co_u32 v0, s0, s0, v0
	v_add_co_ci_u32_e64 v1, null, s1, 0, s0
	global_store_b8 v[0:1], v2, off
	s_nop 0
	s_sendmsg sendmsg(MSG_DEALLOC_VGPRS)
	s_endpgm
	.section	.rodata,"a",@progbits
	.p2align	6, 0x0
	.amdhsa_kernel _Z9sort_keysILj256ELj4ELj1EhN10test_utils4lessEEvPKT2_PS2_T3_
		.amdhsa_group_segment_fixed_size 320
		.amdhsa_private_segment_fixed_size 0
		.amdhsa_kernarg_size 20
		.amdhsa_user_sgpr_count 15
		.amdhsa_user_sgpr_dispatch_ptr 0
		.amdhsa_user_sgpr_queue_ptr 0
		.amdhsa_user_sgpr_kernarg_segment_ptr 1
		.amdhsa_user_sgpr_dispatch_id 0
		.amdhsa_user_sgpr_private_segment_size 0
		.amdhsa_wavefront_size32 1
		.amdhsa_uses_dynamic_stack 0
		.amdhsa_enable_private_segment 0
		.amdhsa_system_sgpr_workgroup_id_x 1
		.amdhsa_system_sgpr_workgroup_id_y 0
		.amdhsa_system_sgpr_workgroup_id_z 0
		.amdhsa_system_sgpr_workgroup_info 0
		.amdhsa_system_vgpr_workitem_id 0
		.amdhsa_next_free_vgpr 15
		.amdhsa_next_free_sgpr 16
		.amdhsa_reserve_vcc 1
		.amdhsa_float_round_mode_32 0
		.amdhsa_float_round_mode_16_64 0
		.amdhsa_float_denorm_mode_32 3
		.amdhsa_float_denorm_mode_16_64 3
		.amdhsa_dx10_clamp 1
		.amdhsa_ieee_mode 1
		.amdhsa_fp16_overflow 0
		.amdhsa_workgroup_processor_mode 1
		.amdhsa_memory_ordered 1
		.amdhsa_forward_progress 0
		.amdhsa_shared_vgpr_count 0
		.amdhsa_exception_fp_ieee_invalid_op 0
		.amdhsa_exception_fp_denorm_src 0
		.amdhsa_exception_fp_ieee_div_zero 0
		.amdhsa_exception_fp_ieee_overflow 0
		.amdhsa_exception_fp_ieee_underflow 0
		.amdhsa_exception_fp_ieee_inexact 0
		.amdhsa_exception_int_div_zero 0
	.end_amdhsa_kernel
	.section	.text._Z9sort_keysILj256ELj4ELj1EhN10test_utils4lessEEvPKT2_PS2_T3_,"axG",@progbits,_Z9sort_keysILj256ELj4ELj1EhN10test_utils4lessEEvPKT2_PS2_T3_,comdat
.Lfunc_end96:
	.size	_Z9sort_keysILj256ELj4ELj1EhN10test_utils4lessEEvPKT2_PS2_T3_, .Lfunc_end96-_Z9sort_keysILj256ELj4ELj1EhN10test_utils4lessEEvPKT2_PS2_T3_
                                        ; -- End function
	.section	.AMDGPU.csdata,"",@progbits
; Kernel info:
; codeLenInByte = 684
; NumSgprs: 18
; NumVgprs: 15
; ScratchSize: 0
; MemoryBound: 0
; FloatMode: 240
; IeeeMode: 1
; LDSByteSize: 320 bytes/workgroup (compile time only)
; SGPRBlocks: 2
; VGPRBlocks: 1
; NumSGPRsForWavesPerEU: 18
; NumVGPRsForWavesPerEU: 15
; Occupancy: 16
; WaveLimiterHint : 0
; COMPUTE_PGM_RSRC2:SCRATCH_EN: 0
; COMPUTE_PGM_RSRC2:USER_SGPR: 15
; COMPUTE_PGM_RSRC2:TRAP_HANDLER: 0
; COMPUTE_PGM_RSRC2:TGID_X_EN: 1
; COMPUTE_PGM_RSRC2:TGID_Y_EN: 0
; COMPUTE_PGM_RSRC2:TGID_Z_EN: 0
; COMPUTE_PGM_RSRC2:TIDIG_COMP_CNT: 0
	.section	.text._Z10sort_pairsILj256ELj4ELj1EhN10test_utils4lessEEvPKT2_PS2_T3_,"axG",@progbits,_Z10sort_pairsILj256ELj4ELj1EhN10test_utils4lessEEvPKT2_PS2_T3_,comdat
	.protected	_Z10sort_pairsILj256ELj4ELj1EhN10test_utils4lessEEvPKT2_PS2_T3_ ; -- Begin function _Z10sort_pairsILj256ELj4ELj1EhN10test_utils4lessEEvPKT2_PS2_T3_
	.globl	_Z10sort_pairsILj256ELj4ELj1EhN10test_utils4lessEEvPKT2_PS2_T3_
	.p2align	8
	.type	_Z10sort_pairsILj256ELj4ELj1EhN10test_utils4lessEEvPKT2_PS2_T3_,@function
_Z10sort_pairsILj256ELj4ELj1EhN10test_utils4lessEEvPKT2_PS2_T3_: ; @_Z10sort_pairsILj256ELj4ELj1EhN10test_utils4lessEEvPKT2_PS2_T3_
; %bb.0:
	s_load_b128 s[0:3], s[0:1], 0x0
	s_lshl_b32 s4, s15, 8
	v_mbcnt_lo_u32_b32 v1, -1, 0
	v_lshrrev_b32_e32 v11, 2, v0
	s_delay_alu instid0(VALU_DEP_2) | instskip(SKIP_1) | instid1(VALU_DEP_2)
	v_and_b32_e32 v7, 2, v1
	v_and_b32_e32 v6, 1, v1
	v_or_b32_e32 v5, 1, v7
	s_delay_alu instid0(VALU_DEP_1)
	v_sub_nc_u32_e32 v2, v7, v5
	v_sub_nc_u32_e32 v8, v5, v7
	s_waitcnt lgkmcnt(0)
	s_add_u32 s0, s0, s4
	s_addc_u32 s1, s1, 0
	v_add_nc_u32_e32 v3, 2, v2
	global_load_u8 v4, v0, s[0:1]
	v_and_b32_e32 v2, 3, v1
	v_min_i32_e32 v9, v6, v8
	v_mul_u32_u24_e32 v1, 5, v11
	v_sub_nc_u32_e32 v10, v6, v3
	v_cmp_ge_i32_e32 vcc_lo, v6, v3
	v_mad_u32_u24 v3, v11, 5, v2
	s_mov_b32 s0, 0
	s_mov_b32 s1, exec_lo
	v_cndmask_b32_e32 v8, 0, v10, vcc_lo
	; wave barrier
	s_waitcnt vmcnt(0)
	ds_store_b8 v3, v4
	; wave barrier
	v_cmpx_lt_i32_e64 v8, v9
	s_cbranch_execz .LBB97_4
; %bb.1:
	v_add_nc_u32_e32 v10, v1, v7
	s_delay_alu instid0(VALU_DEP_1)
	v_add3_u32 v11, v10, v6, 1
	.p2align	6
.LBB97_2:                               ; =>This Inner Loop Header: Depth=1
	v_sub_nc_u32_e32 v12, v9, v8
	s_delay_alu instid0(VALU_DEP_1) | instskip(NEXT) | instid1(VALU_DEP_1)
	v_lshrrev_b32_e32 v13, 31, v12
	v_add_nc_u32_e32 v12, v12, v13
	s_delay_alu instid0(VALU_DEP_1) | instskip(NEXT) | instid1(VALU_DEP_1)
	v_ashrrev_i32_e32 v12, 1, v12
	v_add_nc_u32_e32 v12, v12, v8
	s_delay_alu instid0(VALU_DEP_1)
	v_add_nc_u32_e32 v13, v10, v12
	v_xad_u32 v14, v12, -1, v11
	v_add_nc_u32_e32 v15, 1, v12
	ds_load_u8 v13, v13
	ds_load_u8 v14, v14
	s_waitcnt lgkmcnt(0)
	v_cmp_lt_u16_e32 vcc_lo, v14, v13
	v_cndmask_b32_e32 v9, v9, v12, vcc_lo
	v_cndmask_b32_e32 v8, v15, v8, vcc_lo
	s_delay_alu instid0(VALU_DEP_1) | instskip(SKIP_1) | instid1(SALU_CYCLE_1)
	v_cmp_ge_i32_e32 vcc_lo, v8, v9
	s_or_b32 s0, vcc_lo, s0
	s_and_not1_b32 exec_lo, exec_lo, s0
	s_cbranch_execnz .LBB97_2
; %bb.3:
	s_or_b32 exec_lo, exec_lo, s0
.LBB97_4:
	s_delay_alu instid0(SALU_CYCLE_1) | instskip(SKIP_4) | instid1(VALU_DEP_4)
	s_or_b32 exec_lo, exec_lo, s1
	v_add_nc_u32_e32 v9, v7, v6
	v_add_nc_u32_e32 v7, v8, v7
	;; [unrolled: 1-line block ×3, first 2 shown]
	v_cmp_lt_i32_e32 vcc_lo, 0, v8
	v_sub_nc_u32_e32 v9, v9, v8
	s_delay_alu instid0(VALU_DEP_3) | instskip(SKIP_1) | instid1(VALU_DEP_3)
	v_sub_nc_u32_e32 v6, v6, v8
	v_add_nc_u32_e32 v10, v1, v7
	v_add_nc_u32_e32 v9, v1, v9
	ds_load_u8 v10, v10
	ds_load_u8 v9, v9 offset:1
	v_cmp_ge_i32_e64 s1, v5, v6
	; wave barrier
	s_waitcnt lgkmcnt(1)
	v_and_b32_e32 v11, 0xff, v10
	s_waitcnt lgkmcnt(0)
	v_and_b32_e32 v12, 0xff, v9
	s_delay_alu instid0(VALU_DEP_1) | instskip(NEXT) | instid1(VALU_DEP_1)
	v_cmp_lt_u16_e64 s0, v12, v11
	s_or_b32 s0, vcc_lo, s0
	s_delay_alu instid0(SALU_CYCLE_1)
	s_and_b32 vcc_lo, s1, s0
	s_mov_b32 s0, 0
	v_dual_cndmask_b32 v8, v10, v9 :: v_dual_cndmask_b32 v5, v7, v6
	v_add_nc_u16 v6, v4, 1
	v_add_nc_u32_e32 v4, v1, v2
	v_min_i32_e32 v7, 2, v2
	s_mov_b32 s1, exec_lo
	v_add_nc_u32_e32 v5, v1, v5
	ds_store_b8 v4, v6
	; wave barrier
	ds_load_u8 v5, v5
	v_sub_nc_u32_e64 v6, v2, 2 clamp
	; wave barrier
	ds_store_b8 v4, v8
	; wave barrier
	v_cmpx_lt_u32_e64 v6, v7
	s_cbranch_execz .LBB97_7
	.p2align	6
.LBB97_5:                               ; =>This Inner Loop Header: Depth=1
	v_sub_nc_u32_e32 v8, v7, v6
	s_delay_alu instid0(VALU_DEP_1) | instskip(NEXT) | instid1(VALU_DEP_1)
	v_lshrrev_b32_e32 v9, 31, v8
	v_add_nc_u32_e32 v8, v8, v9
	s_delay_alu instid0(VALU_DEP_1) | instskip(NEXT) | instid1(VALU_DEP_1)
	v_ashrrev_i32_e32 v8, 1, v8
	v_add_nc_u32_e32 v8, v8, v6
	s_delay_alu instid0(VALU_DEP_1)
	v_add_nc_u32_e32 v11, 1, v8
	v_add_nc_u32_e32 v9, v1, v8
	v_xad_u32 v10, v8, -1, v3
	ds_load_u8 v9, v9
	ds_load_u8 v10, v10 offset:2
	s_waitcnt lgkmcnt(0)
	v_cmp_lt_u16_e32 vcc_lo, v10, v9
	v_cndmask_b32_e32 v6, v11, v6, vcc_lo
	v_cndmask_b32_e32 v7, v7, v8, vcc_lo
	s_delay_alu instid0(VALU_DEP_1) | instskip(SKIP_1) | instid1(SALU_CYCLE_1)
	v_cmp_ge_i32_e32 vcc_lo, v6, v7
	s_or_b32 s0, vcc_lo, s0
	s_and_not1_b32 exec_lo, exec_lo, s0
	s_cbranch_execnz .LBB97_5
; %bb.6:
	s_or_b32 exec_lo, exec_lo, s0
.LBB97_7:
	s_delay_alu instid0(SALU_CYCLE_1) | instskip(SKIP_3) | instid1(VALU_DEP_3)
	s_or_b32 exec_lo, exec_lo, s1
	v_sub_nc_u32_e32 v2, v2, v6
	v_add_nc_u32_e32 v3, v1, v6
	v_cmp_lt_i32_e32 vcc_lo, 1, v6
	v_add_nc_u32_e32 v7, v1, v2
	ds_load_u8 v3, v3
	ds_load_u8 v7, v7 offset:2
	v_add_nc_u32_e32 v2, 2, v2
	; wave barrier
	s_waitcnt lgkmcnt(3)
	ds_store_b8 v4, v5
	v_cmp_gt_i32_e64 s1, 4, v2
	; wave barrier
	s_waitcnt lgkmcnt(2)
	v_and_b32_e32 v8, 0xff, v3
	s_waitcnt lgkmcnt(1)
	v_and_b32_e32 v9, 0xff, v7
	s_delay_alu instid0(VALU_DEP_1) | instskip(NEXT) | instid1(VALU_DEP_1)
	v_cmp_lt_u16_e64 s0, v9, v8
	s_or_b32 s0, vcc_lo, s0
	s_delay_alu instid0(SALU_CYCLE_1) | instskip(SKIP_4) | instid1(VALU_DEP_2)
	s_and_b32 vcc_lo, s1, s0
	s_add_u32 s0, s2, s4
	v_dual_cndmask_b32 v3, v3, v7 :: v_dual_cndmask_b32 v2, v6, v2
	s_addc_u32 s1, s3, 0
	v_add_co_u32 v0, s0, s0, v0
	v_add_nc_u32_e32 v1, v1, v2
	ds_load_u8 v1, v1
	s_waitcnt lgkmcnt(0)
	v_add_nc_u16 v2, v1, v3
	v_add_co_ci_u32_e64 v1, null, s1, 0, s0
	global_store_b8 v[0:1], v2, off
	s_nop 0
	s_sendmsg sendmsg(MSG_DEALLOC_VGPRS)
	s_endpgm
	.section	.rodata,"a",@progbits
	.p2align	6, 0x0
	.amdhsa_kernel _Z10sort_pairsILj256ELj4ELj1EhN10test_utils4lessEEvPKT2_PS2_T3_
		.amdhsa_group_segment_fixed_size 320
		.amdhsa_private_segment_fixed_size 0
		.amdhsa_kernarg_size 20
		.amdhsa_user_sgpr_count 15
		.amdhsa_user_sgpr_dispatch_ptr 0
		.amdhsa_user_sgpr_queue_ptr 0
		.amdhsa_user_sgpr_kernarg_segment_ptr 1
		.amdhsa_user_sgpr_dispatch_id 0
		.amdhsa_user_sgpr_private_segment_size 0
		.amdhsa_wavefront_size32 1
		.amdhsa_uses_dynamic_stack 0
		.amdhsa_enable_private_segment 0
		.amdhsa_system_sgpr_workgroup_id_x 1
		.amdhsa_system_sgpr_workgroup_id_y 0
		.amdhsa_system_sgpr_workgroup_id_z 0
		.amdhsa_system_sgpr_workgroup_info 0
		.amdhsa_system_vgpr_workitem_id 0
		.amdhsa_next_free_vgpr 16
		.amdhsa_next_free_sgpr 16
		.amdhsa_reserve_vcc 1
		.amdhsa_float_round_mode_32 0
		.amdhsa_float_round_mode_16_64 0
		.amdhsa_float_denorm_mode_32 3
		.amdhsa_float_denorm_mode_16_64 3
		.amdhsa_dx10_clamp 1
		.amdhsa_ieee_mode 1
		.amdhsa_fp16_overflow 0
		.amdhsa_workgroup_processor_mode 1
		.amdhsa_memory_ordered 1
		.amdhsa_forward_progress 0
		.amdhsa_shared_vgpr_count 0
		.amdhsa_exception_fp_ieee_invalid_op 0
		.amdhsa_exception_fp_denorm_src 0
		.amdhsa_exception_fp_ieee_div_zero 0
		.amdhsa_exception_fp_ieee_overflow 0
		.amdhsa_exception_fp_ieee_underflow 0
		.amdhsa_exception_fp_ieee_inexact 0
		.amdhsa_exception_int_div_zero 0
	.end_amdhsa_kernel
	.section	.text._Z10sort_pairsILj256ELj4ELj1EhN10test_utils4lessEEvPKT2_PS2_T3_,"axG",@progbits,_Z10sort_pairsILj256ELj4ELj1EhN10test_utils4lessEEvPKT2_PS2_T3_,comdat
.Lfunc_end97:
	.size	_Z10sort_pairsILj256ELj4ELj1EhN10test_utils4lessEEvPKT2_PS2_T3_, .Lfunc_end97-_Z10sort_pairsILj256ELj4ELj1EhN10test_utils4lessEEvPKT2_PS2_T3_
                                        ; -- End function
	.section	.AMDGPU.csdata,"",@progbits
; Kernel info:
; codeLenInByte = 748
; NumSgprs: 18
; NumVgprs: 16
; ScratchSize: 0
; MemoryBound: 0
; FloatMode: 240
; IeeeMode: 1
; LDSByteSize: 320 bytes/workgroup (compile time only)
; SGPRBlocks: 2
; VGPRBlocks: 1
; NumSGPRsForWavesPerEU: 18
; NumVGPRsForWavesPerEU: 16
; Occupancy: 16
; WaveLimiterHint : 0
; COMPUTE_PGM_RSRC2:SCRATCH_EN: 0
; COMPUTE_PGM_RSRC2:USER_SGPR: 15
; COMPUTE_PGM_RSRC2:TRAP_HANDLER: 0
; COMPUTE_PGM_RSRC2:TGID_X_EN: 1
; COMPUTE_PGM_RSRC2:TGID_Y_EN: 0
; COMPUTE_PGM_RSRC2:TGID_Z_EN: 0
; COMPUTE_PGM_RSRC2:TIDIG_COMP_CNT: 0
	.section	.text._Z19sort_keys_segmentedILj256ELj4ELj1EhN10test_utils4lessEEvPKT2_PS2_PKjT3_,"axG",@progbits,_Z19sort_keys_segmentedILj256ELj4ELj1EhN10test_utils4lessEEvPKT2_PS2_PKjT3_,comdat
	.protected	_Z19sort_keys_segmentedILj256ELj4ELj1EhN10test_utils4lessEEvPKT2_PS2_PKjT3_ ; -- Begin function _Z19sort_keys_segmentedILj256ELj4ELj1EhN10test_utils4lessEEvPKT2_PS2_PKjT3_
	.globl	_Z19sort_keys_segmentedILj256ELj4ELj1EhN10test_utils4lessEEvPKT2_PS2_PKjT3_
	.p2align	8
	.type	_Z19sort_keys_segmentedILj256ELj4ELj1EhN10test_utils4lessEEvPKT2_PS2_PKjT3_,@function
_Z19sort_keys_segmentedILj256ELj4ELj1EhN10test_utils4lessEEvPKT2_PS2_PKjT3_: ; @_Z19sort_keys_segmentedILj256ELj4ELj1EhN10test_utils4lessEEvPKT2_PS2_PKjT3_
; %bb.0:
	s_clause 0x1
	s_load_b64 s[2:3], s[0:1], 0x10
	s_load_b128 s[4:7], s[0:1], 0x0
	v_lshrrev_b32_e32 v7, 2, v0
	v_mbcnt_lo_u32_b32 v9, -1, 0
	v_mov_b32_e32 v2, 0
	s_delay_alu instid0(VALU_DEP_3) | instskip(NEXT) | instid1(VALU_DEP_1)
	v_lshl_or_b32 v1, s15, 6, v7
	v_lshlrev_b64 v[3:4], 2, v[1:2]
	s_waitcnt lgkmcnt(0)
	s_delay_alu instid0(VALU_DEP_1) | instskip(NEXT) | instid1(VALU_DEP_2)
	v_add_co_u32 v3, vcc_lo, s2, v3
	v_add_co_ci_u32_e32 v4, vcc_lo, s3, v4, vcc_lo
	global_load_b32 v5, v[3:4], off
	v_and_b32_e32 v3, 3, v9
	v_lshlrev_b32_e32 v4, 2, v1
	s_waitcnt vmcnt(0)
	s_delay_alu instid0(VALU_DEP_2) | instskip(SKIP_1) | instid1(VALU_DEP_1)
	v_cmp_lt_u32_e32 vcc_lo, v3, v5
	v_cmp_ge_u32_e64 s0, v3, v5
	s_and_saveexec_b32 s1, s0
	s_delay_alu instid0(SALU_CYCLE_1)
	s_xor_b32 s0, exec_lo, s1
                                        ; implicit-def: $vgpr0_vgpr1
; %bb.1:
	v_mov_b32_e32 v1, v2
; %bb.2:
	s_or_saveexec_b32 s1, s0
                                        ; implicit-def: $vgpr12
	s_delay_alu instid0(SALU_CYCLE_1)
	s_xor_b32 exec_lo, exec_lo, s1
	s_cbranch_execz .LBB98_4
; %bb.3:
	v_add_co_u32 v0, s0, s4, v4
	s_delay_alu instid0(VALU_DEP_1) | instskip(NEXT) | instid1(VALU_DEP_2)
	v_add_co_ci_u32_e64 v1, null, s5, 0, s0
	v_add_co_u32 v0, s0, v0, v3
	s_delay_alu instid0(VALU_DEP_1)
	v_add_co_ci_u32_e64 v1, s0, 0, v1, s0
	global_load_u8 v12, v[0:1], off
	v_mov_b32_e32 v1, 0
.LBB98_4:
	s_or_b32 exec_lo, exec_lo, s1
	v_and_b32_e32 v0, 2, v9
	v_and_b32_e32 v9, 1, v9
	v_mad_u32_u24 v13, v7, 5, v3
	s_mov_b32 s2, 0
	s_mov_b32 s1, exec_lo
	v_min_i32_e32 v8, v5, v0
	v_min_i32_e32 v9, v5, v9
	; wave barrier
	s_waitcnt vmcnt(0)
	ds_store_b8 v13, v12
	v_add_nc_u32_e32 v0, 1, v8
	; wave barrier
	s_delay_alu instid0(VALU_DEP_1) | instskip(NEXT) | instid1(VALU_DEP_1)
	v_min_i32_e32 v6, v5, v0
	v_add_nc_u32_e32 v0, 1, v6
	v_sub_nc_u32_e32 v11, v6, v8
	s_delay_alu instid0(VALU_DEP_2) | instskip(NEXT) | instid1(VALU_DEP_2)
	v_min_i32_e32 v2, v5, v0
	v_min_i32_e32 v11, v9, v11
	s_delay_alu instid0(VALU_DEP_2) | instskip(NEXT) | instid1(VALU_DEP_1)
	v_sub_nc_u32_e32 v0, v2, v6
	v_sub_nc_u32_e32 v10, v9, v0
	v_cmp_ge_i32_e64 s0, v9, v0
	v_mul_u32_u24_e32 v0, 5, v7
	s_delay_alu instid0(VALU_DEP_2) | instskip(NEXT) | instid1(VALU_DEP_1)
	v_cndmask_b32_e64 v10, 0, v10, s0
	v_cmpx_lt_i32_e64 v10, v11
	s_cbranch_execz .LBB98_8
; %bb.5:
	s_delay_alu instid0(VALU_DEP_3)
	v_add_nc_u32_e32 v7, v0, v8
	v_add3_u32 v12, v0, v6, v9
	.p2align	6
.LBB98_6:                               ; =>This Inner Loop Header: Depth=1
	v_sub_nc_u32_e32 v13, v11, v10
	s_delay_alu instid0(VALU_DEP_1) | instskip(NEXT) | instid1(VALU_DEP_1)
	v_lshrrev_b32_e32 v14, 31, v13
	v_add_nc_u32_e32 v13, v13, v14
	s_delay_alu instid0(VALU_DEP_1) | instskip(NEXT) | instid1(VALU_DEP_1)
	v_ashrrev_i32_e32 v13, 1, v13
	v_add_nc_u32_e32 v13, v13, v10
	s_delay_alu instid0(VALU_DEP_1)
	v_add_nc_u32_e32 v14, v7, v13
	v_xad_u32 v15, v13, -1, v12
	v_add_nc_u32_e32 v16, 1, v13
	ds_load_u8 v14, v14
	ds_load_u8 v15, v15
	s_waitcnt lgkmcnt(0)
	v_cmp_lt_u16_e64 s0, v15, v14
	s_delay_alu instid0(VALU_DEP_1) | instskip(SKIP_1) | instid1(VALU_DEP_1)
	v_cndmask_b32_e64 v11, v11, v13, s0
	v_cndmask_b32_e64 v10, v16, v10, s0
	v_cmp_ge_i32_e64 s0, v10, v11
	s_delay_alu instid0(VALU_DEP_1) | instskip(NEXT) | instid1(SALU_CYCLE_1)
	s_or_b32 s2, s0, s2
	s_and_not1_b32 exec_lo, exec_lo, s2
	s_cbranch_execnz .LBB98_6
; %bb.7:
	s_or_b32 exec_lo, exec_lo, s2
.LBB98_8:
	s_delay_alu instid0(SALU_CYCLE_1) | instskip(SKIP_3) | instid1(VALU_DEP_3)
	s_or_b32 exec_lo, exec_lo, s1
	v_add_nc_u32_e32 v7, v6, v9
	v_add_nc_u32_e32 v11, v10, v8
	v_min_i32_e32 v9, 0, v5
	v_sub_nc_u32_e32 v10, v7, v10
	s_delay_alu instid0(VALU_DEP_3) | instskip(SKIP_2) | instid1(VALU_DEP_4)
	v_add_nc_u32_e32 v7, v0, v11
	v_cmp_le_i32_e64 s0, v6, v11
	v_add_nc_u32_e32 v11, v0, v3
	v_add_nc_u32_e32 v8, v0, v10
	v_cmp_gt_i32_e64 s2, v2, v10
	ds_load_u8 v12, v7
	ds_load_u8 v13, v8
	v_add_nc_u32_e32 v7, 2, v9
	; wave barrier
	s_delay_alu instid0(VALU_DEP_1) | instskip(NEXT) | instid1(VALU_DEP_1)
	v_min_i32_e32 v8, v5, v7
	v_add_nc_u32_e32 v7, 2, v8
	v_sub_nc_u32_e32 v6, v8, v9
	s_delay_alu instid0(VALU_DEP_2)
	v_min_i32_e32 v7, v5, v7
	v_min_i32_e32 v5, v5, v3
	s_waitcnt lgkmcnt(1)
	v_and_b32_e32 v14, 0xff, v12
	s_waitcnt lgkmcnt(0)
	v_and_b32_e32 v15, 0xff, v13
	v_sub_nc_u32_e32 v16, v7, v8
	v_min_i32_e32 v6, v5, v6
	s_delay_alu instid0(VALU_DEP_3) | instskip(NEXT) | instid1(VALU_DEP_3)
	v_cmp_lt_u16_e64 s1, v15, v14
	v_sub_nc_u32_e32 v14, v5, v16
	s_delay_alu instid0(VALU_DEP_2) | instskip(SKIP_1) | instid1(VALU_DEP_1)
	s_or_b32 s1, s0, s1
	v_cmp_ge_i32_e64 s0, v5, v16
	v_cndmask_b32_e64 v2, 0, v14, s0
	s_and_b32 s0, s2, s1
	s_mov_b32 s1, 0
	v_cndmask_b32_e64 v10, v12, v13, s0
	s_mov_b32 s2, exec_lo
	ds_store_b8 v11, v10
	; wave barrier
	v_cmpx_lt_i32_e64 v2, v6
	s_cbranch_execnz .LBB98_11
; %bb.9:
	s_or_b32 exec_lo, exec_lo, s2
	s_and_saveexec_b32 s0, vcc_lo
	s_cbranch_execnz .LBB98_14
.LBB98_10:
	s_endpgm
.LBB98_11:
	v_add_nc_u32_e32 v10, v0, v9
	v_add3_u32 v11, v0, v8, v5
	.p2align	6
.LBB98_12:                              ; =>This Inner Loop Header: Depth=1
	v_sub_nc_u32_e32 v12, v6, v2
	s_delay_alu instid0(VALU_DEP_1) | instskip(NEXT) | instid1(VALU_DEP_1)
	v_lshrrev_b32_e32 v13, 31, v12
	v_add_nc_u32_e32 v12, v12, v13
	s_delay_alu instid0(VALU_DEP_1) | instskip(NEXT) | instid1(VALU_DEP_1)
	v_ashrrev_i32_e32 v12, 1, v12
	v_add_nc_u32_e32 v12, v12, v2
	s_delay_alu instid0(VALU_DEP_1)
	v_add_nc_u32_e32 v13, v10, v12
	v_xad_u32 v14, v12, -1, v11
	v_add_nc_u32_e32 v15, 1, v12
	ds_load_u8 v13, v13
	ds_load_u8 v14, v14
	s_waitcnt lgkmcnt(0)
	v_cmp_lt_u16_e64 s0, v14, v13
	s_delay_alu instid0(VALU_DEP_1) | instskip(SKIP_1) | instid1(VALU_DEP_1)
	v_cndmask_b32_e64 v6, v6, v12, s0
	v_cndmask_b32_e64 v2, v15, v2, s0
	v_cmp_ge_i32_e64 s0, v2, v6
	s_delay_alu instid0(VALU_DEP_1) | instskip(NEXT) | instid1(SALU_CYCLE_1)
	s_or_b32 s1, s0, s1
	s_and_not1_b32 exec_lo, exec_lo, s1
	s_cbranch_execnz .LBB98_12
; %bb.13:
	s_or_b32 exec_lo, exec_lo, s1
	s_delay_alu instid0(SALU_CYCLE_1)
	s_or_b32 exec_lo, exec_lo, s2
	s_and_saveexec_b32 s0, vcc_lo
	s_cbranch_execz .LBB98_10
.LBB98_14:
	v_add_nc_u32_e32 v5, v8, v5
	s_delay_alu instid0(VALU_DEP_1) | instskip(SKIP_1) | instid1(VALU_DEP_2)
	v_sub_nc_u32_e32 v5, v5, v2
	v_add_nc_u32_e32 v2, v2, v9
	v_add_nc_u32_e32 v6, v0, v5
	s_delay_alu instid0(VALU_DEP_2)
	v_add_nc_u32_e32 v0, v0, v2
	v_cmp_le_i32_e32 vcc_lo, v8, v2
	ds_load_u8 v6, v6
	ds_load_u8 v9, v0
	s_waitcnt lgkmcnt(1)
	v_and_b32_e32 v0, 0xff, v6
	s_waitcnt lgkmcnt(0)
	v_and_b32_e32 v10, 0xff, v9
	s_delay_alu instid0(VALU_DEP_1) | instskip(SKIP_1) | instid1(VALU_DEP_1)
	v_cmp_lt_u16_e64 s0, v0, v10
	v_add_co_u32 v0, s1, s6, v4
	v_add_co_ci_u32_e64 v2, null, s7, 0, s1
	v_cmp_gt_i32_e64 s1, v7, v5
	s_delay_alu instid0(VALU_DEP_4) | instskip(NEXT) | instid1(VALU_DEP_3)
	s_or_b32 s0, vcc_lo, s0
	v_add_co_u32 v0, vcc_lo, v0, v3
	s_delay_alu instid0(VALU_DEP_3) | instskip(NEXT) | instid1(VALU_DEP_3)
	v_add_co_ci_u32_e32 v1, vcc_lo, v2, v1, vcc_lo
	s_and_b32 vcc_lo, s1, s0
	v_cndmask_b32_e32 v2, v9, v6, vcc_lo
	global_store_b8 v[0:1], v2, off
	s_nop 0
	s_sendmsg sendmsg(MSG_DEALLOC_VGPRS)
	s_endpgm
	.section	.rodata,"a",@progbits
	.p2align	6, 0x0
	.amdhsa_kernel _Z19sort_keys_segmentedILj256ELj4ELj1EhN10test_utils4lessEEvPKT2_PS2_PKjT3_
		.amdhsa_group_segment_fixed_size 320
		.amdhsa_private_segment_fixed_size 0
		.amdhsa_kernarg_size 28
		.amdhsa_user_sgpr_count 15
		.amdhsa_user_sgpr_dispatch_ptr 0
		.amdhsa_user_sgpr_queue_ptr 0
		.amdhsa_user_sgpr_kernarg_segment_ptr 1
		.amdhsa_user_sgpr_dispatch_id 0
		.amdhsa_user_sgpr_private_segment_size 0
		.amdhsa_wavefront_size32 1
		.amdhsa_uses_dynamic_stack 0
		.amdhsa_enable_private_segment 0
		.amdhsa_system_sgpr_workgroup_id_x 1
		.amdhsa_system_sgpr_workgroup_id_y 0
		.amdhsa_system_sgpr_workgroup_id_z 0
		.amdhsa_system_sgpr_workgroup_info 0
		.amdhsa_system_vgpr_workitem_id 0
		.amdhsa_next_free_vgpr 17
		.amdhsa_next_free_sgpr 16
		.amdhsa_reserve_vcc 1
		.amdhsa_float_round_mode_32 0
		.amdhsa_float_round_mode_16_64 0
		.amdhsa_float_denorm_mode_32 3
		.amdhsa_float_denorm_mode_16_64 3
		.amdhsa_dx10_clamp 1
		.amdhsa_ieee_mode 1
		.amdhsa_fp16_overflow 0
		.amdhsa_workgroup_processor_mode 1
		.amdhsa_memory_ordered 1
		.amdhsa_forward_progress 0
		.amdhsa_shared_vgpr_count 0
		.amdhsa_exception_fp_ieee_invalid_op 0
		.amdhsa_exception_fp_denorm_src 0
		.amdhsa_exception_fp_ieee_div_zero 0
		.amdhsa_exception_fp_ieee_overflow 0
		.amdhsa_exception_fp_ieee_underflow 0
		.amdhsa_exception_fp_ieee_inexact 0
		.amdhsa_exception_int_div_zero 0
	.end_amdhsa_kernel
	.section	.text._Z19sort_keys_segmentedILj256ELj4ELj1EhN10test_utils4lessEEvPKT2_PS2_PKjT3_,"axG",@progbits,_Z19sort_keys_segmentedILj256ELj4ELj1EhN10test_utils4lessEEvPKT2_PS2_PKjT3_,comdat
.Lfunc_end98:
	.size	_Z19sort_keys_segmentedILj256ELj4ELj1EhN10test_utils4lessEEvPKT2_PS2_PKjT3_, .Lfunc_end98-_Z19sort_keys_segmentedILj256ELj4ELj1EhN10test_utils4lessEEvPKT2_PS2_PKjT3_
                                        ; -- End function
	.section	.AMDGPU.csdata,"",@progbits
; Kernel info:
; codeLenInByte = 1008
; NumSgprs: 18
; NumVgprs: 17
; ScratchSize: 0
; MemoryBound: 0
; FloatMode: 240
; IeeeMode: 1
; LDSByteSize: 320 bytes/workgroup (compile time only)
; SGPRBlocks: 2
; VGPRBlocks: 2
; NumSGPRsForWavesPerEU: 18
; NumVGPRsForWavesPerEU: 17
; Occupancy: 16
; WaveLimiterHint : 0
; COMPUTE_PGM_RSRC2:SCRATCH_EN: 0
; COMPUTE_PGM_RSRC2:USER_SGPR: 15
; COMPUTE_PGM_RSRC2:TRAP_HANDLER: 0
; COMPUTE_PGM_RSRC2:TGID_X_EN: 1
; COMPUTE_PGM_RSRC2:TGID_Y_EN: 0
; COMPUTE_PGM_RSRC2:TGID_Z_EN: 0
; COMPUTE_PGM_RSRC2:TIDIG_COMP_CNT: 0
	.section	.text._Z20sort_pairs_segmentedILj256ELj4ELj1EhN10test_utils4lessEEvPKT2_PS2_PKjT3_,"axG",@progbits,_Z20sort_pairs_segmentedILj256ELj4ELj1EhN10test_utils4lessEEvPKT2_PS2_PKjT3_,comdat
	.protected	_Z20sort_pairs_segmentedILj256ELj4ELj1EhN10test_utils4lessEEvPKT2_PS2_PKjT3_ ; -- Begin function _Z20sort_pairs_segmentedILj256ELj4ELj1EhN10test_utils4lessEEvPKT2_PS2_PKjT3_
	.globl	_Z20sort_pairs_segmentedILj256ELj4ELj1EhN10test_utils4lessEEvPKT2_PS2_PKjT3_
	.p2align	8
	.type	_Z20sort_pairs_segmentedILj256ELj4ELj1EhN10test_utils4lessEEvPKT2_PS2_PKjT3_,@function
_Z20sort_pairs_segmentedILj256ELj4ELj1EhN10test_utils4lessEEvPKT2_PS2_PKjT3_: ; @_Z20sort_pairs_segmentedILj256ELj4ELj1EhN10test_utils4lessEEvPKT2_PS2_PKjT3_
; %bb.0:
	s_clause 0x1
	s_load_b64 s[2:3], s[0:1], 0x10
	s_load_b128 s[4:7], s[0:1], 0x0
	v_lshrrev_b32_e32 v8, 2, v0
	v_mbcnt_lo_u32_b32 v7, -1, 0
	v_mov_b32_e32 v2, 0
	s_delay_alu instid0(VALU_DEP_3) | instskip(NEXT) | instid1(VALU_DEP_1)
	v_lshl_or_b32 v1, s15, 6, v8
	v_lshlrev_b64 v[3:4], 2, v[1:2]
	s_waitcnt lgkmcnt(0)
	s_delay_alu instid0(VALU_DEP_1) | instskip(NEXT) | instid1(VALU_DEP_2)
	v_add_co_u32 v3, vcc_lo, s2, v3
	v_add_co_ci_u32_e32 v4, vcc_lo, s3, v4, vcc_lo
	global_load_b32 v5, v[3:4], off
	v_and_b32_e32 v3, 3, v7
	v_lshlrev_b32_e32 v4, 2, v1
	s_waitcnt vmcnt(0)
	s_delay_alu instid0(VALU_DEP_2) | instskip(SKIP_1) | instid1(VALU_DEP_1)
	v_cmp_lt_u32_e32 vcc_lo, v3, v5
	v_cmp_ge_u32_e64 s0, v3, v5
	s_and_saveexec_b32 s1, s0
	s_delay_alu instid0(SALU_CYCLE_1)
	s_xor_b32 s0, exec_lo, s1
                                        ; implicit-def: $vgpr0_vgpr1
; %bb.1:
	v_mov_b32_e32 v1, v2
; %bb.2:
	s_or_saveexec_b32 s1, s0
                                        ; implicit-def: $vgpr2
	s_delay_alu instid0(SALU_CYCLE_1)
	s_xor_b32 exec_lo, exec_lo, s1
	s_cbranch_execz .LBB99_4
; %bb.3:
	v_add_co_u32 v0, s0, s4, v4
	s_delay_alu instid0(VALU_DEP_1) | instskip(NEXT) | instid1(VALU_DEP_2)
	v_add_co_ci_u32_e64 v1, null, s5, 0, s0
	v_add_co_u32 v0, s0, v0, v3
	s_delay_alu instid0(VALU_DEP_1)
	v_add_co_ci_u32_e64 v1, s0, 0, v1, s0
	global_load_u8 v2, v[0:1], off
	v_mov_b32_e32 v1, 0
.LBB99_4:
	s_or_b32 exec_lo, exec_lo, s1
	v_and_b32_e32 v0, 2, v7
	v_and_b32_e32 v10, 1, v7
	v_mad_u32_u24 v13, v8, 5, v3
	s_mov_b32 s2, 0
	s_mov_b32 s1, exec_lo
	v_min_i32_e32 v9, v5, v0
	v_min_i32_e32 v10, v5, v10
	; wave barrier
	s_waitcnt vmcnt(0)
	ds_store_b8 v13, v2
	v_add_nc_u32_e32 v0, 1, v9
	; wave barrier
	s_delay_alu instid0(VALU_DEP_1) | instskip(NEXT) | instid1(VALU_DEP_1)
	v_min_i32_e32 v6, v5, v0
	v_add_nc_u32_e32 v0, 1, v6
	v_sub_nc_u32_e32 v12, v6, v9
	s_delay_alu instid0(VALU_DEP_2) | instskip(NEXT) | instid1(VALU_DEP_2)
	v_min_i32_e32 v7, v5, v0
	v_min_i32_e32 v12, v10, v12
	s_delay_alu instid0(VALU_DEP_2) | instskip(NEXT) | instid1(VALU_DEP_1)
	v_sub_nc_u32_e32 v0, v7, v6
	v_sub_nc_u32_e32 v11, v10, v0
	v_cmp_ge_i32_e64 s0, v10, v0
	v_mul_u32_u24_e32 v0, 5, v8
	s_delay_alu instid0(VALU_DEP_2) | instskip(NEXT) | instid1(VALU_DEP_1)
	v_cndmask_b32_e64 v11, 0, v11, s0
	v_cmpx_lt_i32_e64 v11, v12
	s_cbranch_execz .LBB99_8
; %bb.5:
	s_delay_alu instid0(VALU_DEP_3)
	v_add_nc_u32_e32 v8, v0, v9
	v_add3_u32 v13, v0, v6, v10
	.p2align	6
.LBB99_6:                               ; =>This Inner Loop Header: Depth=1
	v_sub_nc_u32_e32 v14, v12, v11
	s_delay_alu instid0(VALU_DEP_1) | instskip(NEXT) | instid1(VALU_DEP_1)
	v_lshrrev_b32_e32 v15, 31, v14
	v_add_nc_u32_e32 v14, v14, v15
	s_delay_alu instid0(VALU_DEP_1) | instskip(NEXT) | instid1(VALU_DEP_1)
	v_ashrrev_i32_e32 v14, 1, v14
	v_add_nc_u32_e32 v14, v14, v11
	s_delay_alu instid0(VALU_DEP_1)
	v_add_nc_u32_e32 v15, v8, v14
	v_xad_u32 v16, v14, -1, v13
	v_add_nc_u32_e32 v17, 1, v14
	ds_load_u8 v15, v15
	ds_load_u8 v16, v16
	s_waitcnt lgkmcnt(0)
	v_cmp_lt_u16_e64 s0, v16, v15
	s_delay_alu instid0(VALU_DEP_1) | instskip(SKIP_1) | instid1(VALU_DEP_1)
	v_cndmask_b32_e64 v12, v12, v14, s0
	v_cndmask_b32_e64 v11, v17, v11, s0
	v_cmp_ge_i32_e64 s0, v11, v12
	s_delay_alu instid0(VALU_DEP_1) | instskip(NEXT) | instid1(SALU_CYCLE_1)
	s_or_b32 s2, s0, s2
	s_and_not1_b32 exec_lo, exec_lo, s2
	s_cbranch_execnz .LBB99_6
; %bb.7:
	s_or_b32 exec_lo, exec_lo, s2
.LBB99_8:
	s_delay_alu instid0(SALU_CYCLE_1) | instskip(SKIP_3) | instid1(VALU_DEP_3)
	s_or_b32 exec_lo, exec_lo, s1
	v_add_nc_u32_e32 v8, v6, v10
	v_add_nc_u32_e32 v9, v11, v9
	v_add_nc_u16 v2, v2, 1
	v_sub_nc_u32_e32 v10, v8, v11
	s_delay_alu instid0(VALU_DEP_3) | instskip(SKIP_1) | instid1(VALU_DEP_3)
	v_add_nc_u32_e32 v8, v0, v9
	v_cmp_le_i32_e64 s0, v6, v9
	v_add_nc_u32_e32 v11, v0, v10
	v_cmp_gt_i32_e64 s2, v7, v10
	v_add_nc_u32_e32 v7, v0, v3
	ds_load_u8 v12, v8
	ds_load_u8 v11, v11
	v_min_i32_e32 v8, 0, v5
	; wave barrier
	ds_store_b8 v7, v2
	v_add_nc_u32_e32 v6, 2, v8
	; wave barrier
	s_delay_alu instid0(VALU_DEP_1) | instskip(SKIP_4) | instid1(VALU_DEP_1)
	v_min_i32_e32 v6, v5, v6
	s_waitcnt lgkmcnt(2)
	v_and_b32_e32 v13, 0xff, v12
	s_waitcnt lgkmcnt(1)
	v_and_b32_e32 v14, 0xff, v11
	v_cmp_lt_u16_e64 s1, v14, v13
	v_sub_nc_u32_e32 v13, v6, v8
	s_delay_alu instid0(VALU_DEP_2)
	s_or_b32 s0, s0, s1
	s_mov_b32 s1, exec_lo
	s_and_b32 s0, s2, s0
	s_mov_b32 s2, 0
	v_cndmask_b32_e64 v9, v9, v10, s0
	v_cndmask_b32_e64 v12, v12, v11, s0
	v_add_nc_u32_e32 v11, 2, v6
	s_delay_alu instid0(VALU_DEP_3) | instskip(SKIP_1) | instid1(VALU_DEP_3)
	v_add_nc_u32_e32 v10, v0, v9
	v_min_i32_e32 v9, v5, v3
	v_min_i32_e32 v2, v5, v11
	ds_load_u8 v5, v10
	v_sub_nc_u32_e32 v11, v2, v6
	; wave barrier
	ds_store_b8 v7, v12
	; wave barrier
	v_sub_nc_u32_e32 v10, v9, v11
	v_cmp_ge_i32_e64 s0, v9, v11
	v_min_i32_e32 v11, v9, v13
	s_delay_alu instid0(VALU_DEP_2) | instskip(NEXT) | instid1(VALU_DEP_1)
	v_cndmask_b32_e64 v10, 0, v10, s0
	v_cmpx_lt_i32_e64 v10, v11
	s_cbranch_execz .LBB99_12
; %bb.9:
	v_add_nc_u32_e32 v12, v0, v8
	v_add3_u32 v13, v0, v6, v9
	.p2align	6
.LBB99_10:                              ; =>This Inner Loop Header: Depth=1
	v_sub_nc_u32_e32 v14, v11, v10
	s_delay_alu instid0(VALU_DEP_1) | instskip(NEXT) | instid1(VALU_DEP_1)
	v_lshrrev_b32_e32 v15, 31, v14
	v_add_nc_u32_e32 v14, v14, v15
	s_delay_alu instid0(VALU_DEP_1) | instskip(NEXT) | instid1(VALU_DEP_1)
	v_ashrrev_i32_e32 v14, 1, v14
	v_add_nc_u32_e32 v14, v14, v10
	s_delay_alu instid0(VALU_DEP_1)
	v_add_nc_u32_e32 v15, v12, v14
	v_xad_u32 v16, v14, -1, v13
	v_add_nc_u32_e32 v17, 1, v14
	ds_load_u8 v15, v15
	ds_load_u8 v16, v16
	s_waitcnt lgkmcnt(0)
	v_cmp_lt_u16_e64 s0, v16, v15
	s_delay_alu instid0(VALU_DEP_1) | instskip(SKIP_1) | instid1(VALU_DEP_1)
	v_cndmask_b32_e64 v11, v11, v14, s0
	v_cndmask_b32_e64 v10, v17, v10, s0
	v_cmp_ge_i32_e64 s0, v10, v11
	s_delay_alu instid0(VALU_DEP_1) | instskip(NEXT) | instid1(SALU_CYCLE_1)
	s_or_b32 s2, s0, s2
	s_and_not1_b32 exec_lo, exec_lo, s2
	s_cbranch_execnz .LBB99_10
; %bb.11:
	s_or_b32 exec_lo, exec_lo, s2
.LBB99_12:
	s_delay_alu instid0(SALU_CYCLE_1) | instskip(SKIP_2) | instid1(VALU_DEP_2)
	s_or_b32 exec_lo, exec_lo, s1
	v_add_nc_u32_e32 v9, v6, v9
	v_add_nc_u32_e32 v8, v10, v8
	v_sub_nc_u32_e32 v9, v9, v10
	s_delay_alu instid0(VALU_DEP_2) | instskip(NEXT) | instid1(VALU_DEP_2)
	v_add_nc_u32_e32 v10, v0, v8
	v_add_nc_u32_e32 v11, v0, v9
	ds_load_u8 v10, v10
	ds_load_u8 v11, v11
	; wave barrier
	s_waitcnt lgkmcnt(3)
	ds_store_b8 v7, v5
	; wave barrier
	s_and_saveexec_b32 s0, vcc_lo
	s_cbranch_execz .LBB99_14
; %bb.13:
	s_waitcnt lgkmcnt(2)
	v_and_b32_e32 v5, 0xff, v10
	s_waitcnt lgkmcnt(1)
	v_and_b32_e32 v7, 0xff, v11
	v_cmp_le_i32_e32 vcc_lo, v6, v8
	v_cmp_gt_i32_e64 s1, v2, v9
	s_delay_alu instid0(VALU_DEP_3) | instskip(NEXT) | instid1(VALU_DEP_1)
	v_cmp_lt_u16_e64 s0, v7, v5
	s_or_b32 s0, vcc_lo, s0
	s_delay_alu instid0(VALU_DEP_2) | instid1(SALU_CYCLE_1)
	s_and_b32 vcc_lo, s1, s0
	v_dual_cndmask_b32 v2, v10, v11 :: v_dual_cndmask_b32 v5, v8, v9
	s_delay_alu instid0(VALU_DEP_1) | instskip(SKIP_2) | instid1(VALU_DEP_1)
	v_add_nc_u32_e32 v0, v0, v5
	ds_load_u8 v5, v0
	v_add_co_u32 v0, s0, s6, v4
	v_add_co_ci_u32_e64 v4, null, s7, 0, s0
	s_delay_alu instid0(VALU_DEP_2) | instskip(NEXT) | instid1(VALU_DEP_2)
	v_add_co_u32 v0, vcc_lo, v0, v3
	v_add_co_ci_u32_e32 v1, vcc_lo, v4, v1, vcc_lo
	s_waitcnt lgkmcnt(0)
	v_add_nc_u16 v2, v5, v2
	global_store_b8 v[0:1], v2, off
.LBB99_14:
	s_nop 0
	s_sendmsg sendmsg(MSG_DEALLOC_VGPRS)
	s_endpgm
	.section	.rodata,"a",@progbits
	.p2align	6, 0x0
	.amdhsa_kernel _Z20sort_pairs_segmentedILj256ELj4ELj1EhN10test_utils4lessEEvPKT2_PS2_PKjT3_
		.amdhsa_group_segment_fixed_size 320
		.amdhsa_private_segment_fixed_size 0
		.amdhsa_kernarg_size 28
		.amdhsa_user_sgpr_count 15
		.amdhsa_user_sgpr_dispatch_ptr 0
		.amdhsa_user_sgpr_queue_ptr 0
		.amdhsa_user_sgpr_kernarg_segment_ptr 1
		.amdhsa_user_sgpr_dispatch_id 0
		.amdhsa_user_sgpr_private_segment_size 0
		.amdhsa_wavefront_size32 1
		.amdhsa_uses_dynamic_stack 0
		.amdhsa_enable_private_segment 0
		.amdhsa_system_sgpr_workgroup_id_x 1
		.amdhsa_system_sgpr_workgroup_id_y 0
		.amdhsa_system_sgpr_workgroup_id_z 0
		.amdhsa_system_sgpr_workgroup_info 0
		.amdhsa_system_vgpr_workitem_id 0
		.amdhsa_next_free_vgpr 18
		.amdhsa_next_free_sgpr 16
		.amdhsa_reserve_vcc 1
		.amdhsa_float_round_mode_32 0
		.amdhsa_float_round_mode_16_64 0
		.amdhsa_float_denorm_mode_32 3
		.amdhsa_float_denorm_mode_16_64 3
		.amdhsa_dx10_clamp 1
		.amdhsa_ieee_mode 1
		.amdhsa_fp16_overflow 0
		.amdhsa_workgroup_processor_mode 1
		.amdhsa_memory_ordered 1
		.amdhsa_forward_progress 0
		.amdhsa_shared_vgpr_count 0
		.amdhsa_exception_fp_ieee_invalid_op 0
		.amdhsa_exception_fp_denorm_src 0
		.amdhsa_exception_fp_ieee_div_zero 0
		.amdhsa_exception_fp_ieee_overflow 0
		.amdhsa_exception_fp_ieee_underflow 0
		.amdhsa_exception_fp_ieee_inexact 0
		.amdhsa_exception_int_div_zero 0
	.end_amdhsa_kernel
	.section	.text._Z20sort_pairs_segmentedILj256ELj4ELj1EhN10test_utils4lessEEvPKT2_PS2_PKjT3_,"axG",@progbits,_Z20sort_pairs_segmentedILj256ELj4ELj1EhN10test_utils4lessEEvPKT2_PS2_PKjT3_,comdat
.Lfunc_end99:
	.size	_Z20sort_pairs_segmentedILj256ELj4ELj1EhN10test_utils4lessEEvPKT2_PS2_PKjT3_, .Lfunc_end99-_Z20sort_pairs_segmentedILj256ELj4ELj1EhN10test_utils4lessEEvPKT2_PS2_PKjT3_
                                        ; -- End function
	.section	.AMDGPU.csdata,"",@progbits
; Kernel info:
; codeLenInByte = 1068
; NumSgprs: 18
; NumVgprs: 18
; ScratchSize: 0
; MemoryBound: 0
; FloatMode: 240
; IeeeMode: 1
; LDSByteSize: 320 bytes/workgroup (compile time only)
; SGPRBlocks: 2
; VGPRBlocks: 2
; NumSGPRsForWavesPerEU: 18
; NumVGPRsForWavesPerEU: 18
; Occupancy: 16
; WaveLimiterHint : 0
; COMPUTE_PGM_RSRC2:SCRATCH_EN: 0
; COMPUTE_PGM_RSRC2:USER_SGPR: 15
; COMPUTE_PGM_RSRC2:TRAP_HANDLER: 0
; COMPUTE_PGM_RSRC2:TGID_X_EN: 1
; COMPUTE_PGM_RSRC2:TGID_Y_EN: 0
; COMPUTE_PGM_RSRC2:TGID_Z_EN: 0
; COMPUTE_PGM_RSRC2:TIDIG_COMP_CNT: 0
	.section	.text._Z9sort_keysILj256ELj4ELj4EhN10test_utils4lessEEvPKT2_PS2_T3_,"axG",@progbits,_Z9sort_keysILj256ELj4ELj4EhN10test_utils4lessEEvPKT2_PS2_T3_,comdat
	.protected	_Z9sort_keysILj256ELj4ELj4EhN10test_utils4lessEEvPKT2_PS2_T3_ ; -- Begin function _Z9sort_keysILj256ELj4ELj4EhN10test_utils4lessEEvPKT2_PS2_T3_
	.globl	_Z9sort_keysILj256ELj4ELj4EhN10test_utils4lessEEvPKT2_PS2_T3_
	.p2align	8
	.type	_Z9sort_keysILj256ELj4ELj4EhN10test_utils4lessEEvPKT2_PS2_T3_,@function
_Z9sort_keysILj256ELj4ELj4EhN10test_utils4lessEEvPKT2_PS2_T3_: ; @_Z9sort_keysILj256ELj4ELj4EhN10test_utils4lessEEvPKT2_PS2_T3_
; %bb.0:
	s_load_b128 s[4:7], s[0:1], 0x0
	s_lshl_b32 s8, s15, 10
	v_lshlrev_b32_e32 v1, 2, v0
	v_lshrrev_b32_e32 v0, 2, v0
	s_waitcnt lgkmcnt(0)
	s_add_u32 s0, s4, s8
	s_addc_u32 s1, s5, 0
	global_load_b32 v2, v1, s[0:1]
	s_mov_b32 s1, exec_lo
	; wave barrier
	s_waitcnt vmcnt(0)
	v_lshrrev_b32_e32 v3, 8, v2
	v_and_b32_e32 v4, 0xff, v2
	v_perm_b32 v5, v2, v2, 0x7060405
	s_delay_alu instid0(VALU_DEP_3) | instskip(NEXT) | instid1(VALU_DEP_1)
	v_and_b32_e32 v3, 0xff, v3
	v_cmp_lt_u16_e32 vcc_lo, v3, v4
	s_delay_alu instid0(VALU_DEP_3) | instskip(NEXT) | instid1(VALU_DEP_1)
	v_cndmask_b32_e32 v2, v2, v5, vcc_lo
	v_lshrrev_b32_e32 v5, 16, v2
	v_lshrrev_b32_e32 v7, 24, v2
	s_delay_alu instid0(VALU_DEP_2) | instskip(SKIP_1) | instid1(VALU_DEP_2)
	v_perm_b32 v6, 0, v5, 0xc0c0001
	v_and_b32_e32 v5, 0xff, v5
	v_lshlrev_b32_e32 v6, 16, v6
	s_delay_alu instid0(VALU_DEP_2) | instskip(NEXT) | instid1(VALU_DEP_2)
	v_cmp_lt_u16_e32 vcc_lo, v7, v5
	v_and_or_b32 v6, 0xffff, v2, v6
	s_delay_alu instid0(VALU_DEP_1) | instskip(SKIP_3) | instid1(VALU_DEP_4)
	v_cndmask_b32_e32 v2, v2, v6, vcc_lo
	v_min_u16 v6, v7, v5
	v_max_u16 v9, v3, v4
	v_min_u16 v3, v3, v4
	v_lshrrev_b32_e32 v8, 16, v2
	s_delay_alu instid0(VALU_DEP_4) | instskip(SKIP_4) | instid1(VALU_DEP_4)
	v_lshlrev_b16 v10, 8, v6
	v_and_b32_e32 v11, 0xff, v2
	v_max_u16 v12, v6, v9
	v_cmp_lt_u16_e32 vcc_lo, v6, v9
	v_and_b32_e32 v8, 0xffffff00, v8
	v_or_b32_e32 v4, v11, v10
	v_lshlrev_b16 v10, 8, v3
	v_min_u16 v11, v6, v9
	s_delay_alu instid0(VALU_DEP_4) | instskip(NEXT) | instid1(VALU_DEP_4)
	v_or_b32_e32 v8, v9, v8
	v_and_b32_e32 v4, 0xffff, v4
	s_delay_alu instid0(VALU_DEP_3) | instskip(NEXT) | instid1(VALU_DEP_3)
	v_or_b32_e32 v10, v11, v10
	v_lshlrev_b32_e32 v8, 16, v8
	s_delay_alu instid0(VALU_DEP_1) | instskip(NEXT) | instid1(VALU_DEP_3)
	v_or_b32_e32 v4, v4, v8
	v_and_b32_e32 v8, 0xffff, v10
	s_delay_alu instid0(VALU_DEP_2) | instskip(SKIP_4) | instid1(VALU_DEP_4)
	v_cndmask_b32_e32 v2, v2, v4, vcc_lo
	v_max_u16 v5, v7, v5
	v_lshlrev_b16 v7, 8, v12
	v_cmp_lt_u16_e32 vcc_lo, v6, v3
	v_mbcnt_lo_u32_b32 v6, -1, 0
	v_cmp_gt_u16_e64 s0, v9, v5
	s_delay_alu instid0(VALU_DEP_4) | instskip(SKIP_2) | instid1(VALU_DEP_4)
	v_or_b32_e32 v4, v5, v7
	v_and_or_b32 v7, 0xffff0000, v2, v8
	v_cndmask_b32_e32 v11, v11, v3, vcc_lo
	v_cndmask_b32_e64 v12, v12, v5, s0
	s_delay_alu instid0(VALU_DEP_4) | instskip(NEXT) | instid1(VALU_DEP_4)
	v_lshlrev_b32_e32 v4, 16, v4
	v_cndmask_b32_e32 v2, v2, v7, vcc_lo
	s_delay_alu instid0(VALU_DEP_3) | instskip(NEXT) | instid1(VALU_DEP_2)
	v_lshlrev_b16 v8, 8, v12
	v_and_or_b32 v4, 0xffff, v2, v4
	s_delay_alu instid0(VALU_DEP_1) | instskip(SKIP_2) | instid1(VALU_DEP_2)
	v_cndmask_b32_e64 v10, v2, v4, s0
	v_lshlrev_b32_e32 v7, 2, v6
	s_mov_b32 s0, 0
	v_lshrrev_b32_e32 v2, 16, v10
	s_delay_alu instid0(VALU_DEP_2) | instskip(SKIP_1) | instid1(VALU_DEP_3)
	v_and_b32_e32 v6, 8, v7
	v_and_b32_e32 v3, 0xff, v10
	;; [unrolled: 1-line block ×3, first 2 shown]
	s_delay_alu instid0(VALU_DEP_3) | instskip(SKIP_1) | instid1(VALU_DEP_4)
	v_or_b32_e32 v5, 4, v6
	v_add_nc_u32_e32 v4, 8, v6
	v_or_b32_e32 v3, v3, v8
	v_and_b32_e32 v8, 4, v7
	v_or_b32_e32 v9, v11, v2
	v_and_b32_e32 v2, 12, v7
	v_sub_nc_u32_e32 v13, v4, v5
	v_and_b32_e32 v7, 0xffff, v3
	v_sub_nc_u32_e32 v14, v5, v6
	v_lshlrev_b32_e32 v9, 16, v9
	v_mad_u32_u24 v3, v0, 17, v2
	v_sub_nc_u32_e32 v15, v8, v13
	v_cmp_ge_i32_e32 vcc_lo, v8, v13
	v_mul_u32_u24_e32 v0, 17, v0
	v_or_b32_e32 v16, v7, v9
	v_min_i32_e32 v7, v8, v14
	v_cndmask_b32_e32 v9, 0, v15, vcc_lo
	v_cmp_lt_u16_e32 vcc_lo, v12, v11
	s_delay_alu instid0(VALU_DEP_4)
	v_cndmask_b32_e32 v10, v10, v16, vcc_lo
	ds_store_b32 v3, v10
	; wave barrier
	v_cmpx_lt_i32_e64 v9, v7
	s_cbranch_execz .LBB100_4
; %bb.1:
	v_add_nc_u32_e32 v10, v0, v6
	s_delay_alu instid0(VALU_DEP_1)
	v_add3_u32 v11, v10, v8, 4
	.p2align	6
.LBB100_2:                              ; =>This Inner Loop Header: Depth=1
	v_sub_nc_u32_e32 v12, v7, v9
	s_delay_alu instid0(VALU_DEP_1) | instskip(NEXT) | instid1(VALU_DEP_1)
	v_lshrrev_b32_e32 v13, 31, v12
	v_add_nc_u32_e32 v12, v12, v13
	s_delay_alu instid0(VALU_DEP_1) | instskip(NEXT) | instid1(VALU_DEP_1)
	v_ashrrev_i32_e32 v12, 1, v12
	v_add_nc_u32_e32 v12, v12, v9
	s_delay_alu instid0(VALU_DEP_1)
	v_add_nc_u32_e32 v13, v10, v12
	v_xad_u32 v14, v12, -1, v11
	v_add_nc_u32_e32 v15, 1, v12
	ds_load_u8 v13, v13
	ds_load_u8 v14, v14
	s_waitcnt lgkmcnt(0)
	v_cmp_lt_u16_e32 vcc_lo, v14, v13
	v_cndmask_b32_e32 v7, v7, v12, vcc_lo
	v_cndmask_b32_e32 v9, v15, v9, vcc_lo
	s_delay_alu instid0(VALU_DEP_1) | instskip(SKIP_1) | instid1(SALU_CYCLE_1)
	v_cmp_ge_i32_e32 vcc_lo, v9, v7
	s_or_b32 s0, vcc_lo, s0
	s_and_not1_b32 exec_lo, exec_lo, s0
	s_cbranch_execnz .LBB100_2
; %bb.3:
	s_or_b32 exec_lo, exec_lo, s0
.LBB100_4:
	s_delay_alu instid0(SALU_CYCLE_1) | instskip(SKIP_4) | instid1(VALU_DEP_4)
	s_or_b32 exec_lo, exec_lo, s1
	v_add_nc_u32_e32 v7, v6, v8
	v_add_nc_u32_e32 v10, v9, v6
	;; [unrolled: 1-line block ×3, first 2 shown]
	v_cmp_lt_i32_e32 vcc_lo, 3, v9
	v_sub_nc_u32_e32 v6, v7, v9
	s_delay_alu instid0(VALU_DEP_4) | instskip(NEXT) | instid1(VALU_DEP_4)
	v_add_nc_u32_e32 v13, v0, v10
	v_sub_nc_u32_e32 v11, v8, v9
                                        ; implicit-def: $vgpr8
                                        ; implicit-def: $vgpr9
	s_delay_alu instid0(VALU_DEP_3)
	v_add_nc_u32_e32 v12, v0, v6
	ds_load_u8 v6, v13
	ds_load_u8 v7, v12 offset:4
	v_cmp_gt_i32_e64 s1, v4, v11
	s_waitcnt lgkmcnt(1)
	v_and_b32_e32 v14, 0xff, v6
	s_waitcnt lgkmcnt(0)
	v_and_b32_e32 v15, 0xff, v7
	s_delay_alu instid0(VALU_DEP_1) | instskip(NEXT) | instid1(VALU_DEP_1)
	v_cmp_lt_u16_e64 s0, v15, v14
	s_or_b32 s0, vcc_lo, s0
	s_delay_alu instid0(SALU_CYCLE_1) | instskip(NEXT) | instid1(SALU_CYCLE_1)
	s_and_b32 vcc_lo, s1, s0
	s_xor_b32 s0, vcc_lo, -1
	s_delay_alu instid0(SALU_CYCLE_1) | instskip(NEXT) | instid1(SALU_CYCLE_1)
	s_and_saveexec_b32 s1, s0
	s_xor_b32 s0, exec_lo, s1
	s_cbranch_execz .LBB100_6
; %bb.5:
	ds_load_u8 v9, v13 offset:1
	v_mov_b32_e32 v8, v7
                                        ; implicit-def: $vgpr12
.LBB100_6:
	s_and_not1_saveexec_b32 s0, s0
	s_cbranch_execz .LBB100_8
; %bb.7:
	ds_load_u8 v8, v12 offset:5
	s_waitcnt lgkmcnt(1)
	v_mov_b32_e32 v9, v6
.LBB100_8:
	s_or_b32 exec_lo, exec_lo, s0
	v_add_nc_u32_e32 v12, 1, v10
	v_add_nc_u32_e32 v14, 1, v11
	s_waitcnt lgkmcnt(0)
	v_and_b32_e32 v15, 0xff, v9
	s_delay_alu instid0(VALU_DEP_3) | instskip(NEXT) | instid1(VALU_DEP_3)
	v_cndmask_b32_e32 v13, v12, v10, vcc_lo
	v_cndmask_b32_e32 v12, v11, v14, vcc_lo
	v_and_b32_e32 v10, 0xff, v8
	s_delay_alu instid0(VALU_DEP_3) | instskip(NEXT) | instid1(VALU_DEP_3)
	v_cmp_ge_i32_e64 s0, v13, v5
	v_cmp_lt_i32_e64 s2, v12, v4
	s_delay_alu instid0(VALU_DEP_3) | instskip(NEXT) | instid1(VALU_DEP_1)
	v_cmp_lt_u16_e64 s1, v10, v15
                                        ; implicit-def: $vgpr10
	s_or_b32 s0, s0, s1
	s_delay_alu instid0(VALU_DEP_2) | instid1(SALU_CYCLE_1)
	s_and_b32 s0, s2, s0
	s_delay_alu instid0(SALU_CYCLE_1) | instskip(NEXT) | instid1(SALU_CYCLE_1)
	s_xor_b32 s1, s0, -1
	s_and_saveexec_b32 s2, s1
	s_delay_alu instid0(SALU_CYCLE_1)
	s_xor_b32 s1, exec_lo, s2
	s_cbranch_execz .LBB100_10
; %bb.9:
	v_add_nc_u32_e32 v10, v0, v13
	ds_load_u8 v10, v10 offset:1
.LBB100_10:
	s_or_saveexec_b32 s1, s1
	v_mov_b32_e32 v11, v8
	s_xor_b32 exec_lo, exec_lo, s1
	s_cbranch_execz .LBB100_12
; %bb.11:
	s_waitcnt lgkmcnt(0)
	v_add_nc_u32_e32 v10, v0, v12
	ds_load_u8 v11, v10 offset:1
	v_mov_b32_e32 v10, v9
.LBB100_12:
	s_or_b32 exec_lo, exec_lo, s1
	v_add_nc_u32_e32 v14, 1, v13
	v_add_nc_u32_e32 v15, 1, v12
	s_waitcnt lgkmcnt(0)
	v_and_b32_e32 v16, 0xff, v10
	v_and_b32_e32 v17, 0xff, v11
	v_cndmask_b32_e64 v14, v14, v13, s0
	v_cndmask_b32_e64 v13, v12, v15, s0
                                        ; implicit-def: $vgpr12
	s_delay_alu instid0(VALU_DEP_3) | instskip(NEXT) | instid1(VALU_DEP_3)
	v_cmp_lt_u16_e64 s2, v17, v16
	v_cmp_ge_i32_e64 s1, v14, v5
	s_delay_alu instid0(VALU_DEP_3) | instskip(NEXT) | instid1(VALU_DEP_2)
	v_cmp_lt_i32_e64 s3, v13, v4
	s_or_b32 s1, s1, s2
	s_delay_alu instid0(VALU_DEP_1) | instid1(SALU_CYCLE_1)
	s_and_b32 s1, s3, s1
	s_delay_alu instid0(SALU_CYCLE_1) | instskip(NEXT) | instid1(SALU_CYCLE_1)
	s_xor_b32 s2, s1, -1
	s_and_saveexec_b32 s3, s2
	s_delay_alu instid0(SALU_CYCLE_1)
	s_xor_b32 s2, exec_lo, s3
	s_cbranch_execz .LBB100_14
; %bb.13:
	v_add_nc_u32_e32 v12, v0, v14
	ds_load_u8 v12, v12 offset:1
.LBB100_14:
	s_or_saveexec_b32 s2, s2
	v_mov_b32_e32 v15, v11
	s_xor_b32 exec_lo, exec_lo, s2
	s_cbranch_execz .LBB100_16
; %bb.15:
	s_waitcnt lgkmcnt(0)
	v_add_nc_u32_e32 v12, v0, v13
	ds_load_u8 v15, v12 offset:1
	v_mov_b32_e32 v12, v10
.LBB100_16:
	s_or_b32 exec_lo, exec_lo, s2
	v_add_nc_u32_e32 v16, 1, v14
	v_add_nc_u32_e32 v17, 1, v13
	s_waitcnt lgkmcnt(0)
	v_and_b32_e32 v18, 0xff, v12
	v_and_b32_e32 v19, 0xff, v15
	v_cndmask_b32_e64 v10, v10, v11, s1
	v_cndmask_b32_e64 v14, v16, v14, s1
	;; [unrolled: 1-line block ×4, first 2 shown]
	v_cmp_lt_u16_e64 s0, v19, v18
	s_delay_alu instid0(VALU_DEP_4)
	v_cmp_ge_i32_e64 s1, v14, v5
	v_cndmask_b32_e32 v5, v6, v7, vcc_lo
	v_cmp_lt_i32_e32 vcc_lo, v11, v4
	v_sub_nc_u32_e64 v6, v2, 8 clamp
	v_min_i32_e32 v4, 8, v2
	s_or_b32 s0, s1, s0
	; wave barrier
	s_delay_alu instid0(SALU_CYCLE_1)
	s_and_b32 vcc_lo, vcc_lo, s0
	s_mov_b32 s0, exec_lo
	v_cndmask_b32_e32 v7, v12, v15, vcc_lo
	ds_store_b8 v3, v5
	ds_store_b8 v3, v8 offset:1
	ds_store_b8 v3, v10 offset:2
	ds_store_b8 v3, v7 offset:3
	; wave barrier
	v_cmpx_lt_u32_e64 v6, v4
	s_cbranch_execz .LBB100_20
; %bb.17:
	s_mov_b32 s1, 0
	.p2align	6
.LBB100_18:                             ; =>This Inner Loop Header: Depth=1
	v_sub_nc_u32_e32 v5, v4, v6
	s_delay_alu instid0(VALU_DEP_1) | instskip(NEXT) | instid1(VALU_DEP_1)
	v_lshrrev_b32_e32 v7, 31, v5
	v_add_nc_u32_e32 v5, v5, v7
	s_delay_alu instid0(VALU_DEP_1) | instskip(NEXT) | instid1(VALU_DEP_1)
	v_ashrrev_i32_e32 v5, 1, v5
	v_add_nc_u32_e32 v5, v5, v6
	s_delay_alu instid0(VALU_DEP_1)
	v_add_nc_u32_e32 v9, 1, v5
	v_add_nc_u32_e32 v7, v0, v5
	v_xad_u32 v8, v5, -1, v3
	ds_load_u8 v7, v7
	ds_load_u8 v8, v8 offset:8
	s_waitcnt lgkmcnt(0)
	v_cmp_lt_u16_e32 vcc_lo, v8, v7
	v_cndmask_b32_e32 v6, v9, v6, vcc_lo
	v_cndmask_b32_e32 v4, v4, v5, vcc_lo
	s_delay_alu instid0(VALU_DEP_1) | instskip(SKIP_1) | instid1(SALU_CYCLE_1)
	v_cmp_ge_i32_e32 vcc_lo, v6, v4
	s_or_b32 s1, vcc_lo, s1
	s_and_not1_b32 exec_lo, exec_lo, s1
	s_cbranch_execnz .LBB100_18
; %bb.19:
	s_or_b32 exec_lo, exec_lo, s1
.LBB100_20:
	s_delay_alu instid0(SALU_CYCLE_1) | instskip(SKIP_3) | instid1(VALU_DEP_3)
	s_or_b32 exec_lo, exec_lo, s0
	v_sub_nc_u32_e32 v4, v2, v6
	v_add_nc_u32_e32 v9, v0, v6
	v_cmp_lt_i32_e32 vcc_lo, 7, v6
	v_add_nc_u32_e32 v8, v0, v4
	v_add_nc_u32_e32 v7, 8, v4
                                        ; implicit-def: $vgpr4
	ds_load_u8 v2, v9
	ds_load_u8 v3, v8 offset:8
	v_cmp_gt_i32_e64 s1, 16, v7
	s_waitcnt lgkmcnt(1)
	v_and_b32_e32 v5, 0xff, v2
	s_waitcnt lgkmcnt(0)
	v_and_b32_e32 v10, 0xff, v3
	s_delay_alu instid0(VALU_DEP_1) | instskip(NEXT) | instid1(VALU_DEP_1)
	v_cmp_lt_u16_e64 s0, v10, v5
                                        ; implicit-def: $vgpr5
	s_or_b32 s0, vcc_lo, s0
	s_delay_alu instid0(SALU_CYCLE_1) | instskip(NEXT) | instid1(SALU_CYCLE_1)
	s_and_b32 vcc_lo, s1, s0
	s_xor_b32 s0, vcc_lo, -1
	s_delay_alu instid0(SALU_CYCLE_1) | instskip(NEXT) | instid1(SALU_CYCLE_1)
	s_and_saveexec_b32 s1, s0
	s_xor_b32 s0, exec_lo, s1
	s_cbranch_execz .LBB100_22
; %bb.21:
	ds_load_u8 v5, v9 offset:1
	v_mov_b32_e32 v4, v3
                                        ; implicit-def: $vgpr8
.LBB100_22:
	s_and_not1_saveexec_b32 s0, s0
	s_cbranch_execz .LBB100_24
; %bb.23:
	ds_load_u8 v4, v8 offset:9
	s_waitcnt lgkmcnt(1)
	v_mov_b32_e32 v5, v2
.LBB100_24:
	s_or_b32 exec_lo, exec_lo, s0
	v_add_nc_u32_e32 v8, 1, v6
	v_add_nc_u32_e32 v10, 1, v7
	s_waitcnt lgkmcnt(0)
	v_and_b32_e32 v11, 0xff, v5
	s_delay_alu instid0(VALU_DEP_3) | instskip(NEXT) | instid1(VALU_DEP_3)
	v_cndmask_b32_e32 v9, v8, v6, vcc_lo
	v_cndmask_b32_e32 v8, v7, v10, vcc_lo
	v_and_b32_e32 v6, 0xff, v4
                                        ; implicit-def: $vgpr7
	s_delay_alu instid0(VALU_DEP_3) | instskip(NEXT) | instid1(VALU_DEP_3)
	v_cmp_lt_i32_e64 s0, 7, v9
	v_cmp_gt_i32_e64 s2, 16, v8
	s_delay_alu instid0(VALU_DEP_3) | instskip(NEXT) | instid1(VALU_DEP_1)
	v_cmp_lt_u16_e64 s1, v6, v11
	s_or_b32 s0, s0, s1
	s_delay_alu instid0(VALU_DEP_2) | instid1(SALU_CYCLE_1)
	s_and_b32 s0, s2, s0
	s_delay_alu instid0(SALU_CYCLE_1) | instskip(NEXT) | instid1(SALU_CYCLE_1)
	s_xor_b32 s1, s0, -1
	s_and_saveexec_b32 s2, s1
	s_delay_alu instid0(SALU_CYCLE_1)
	s_xor_b32 s1, exec_lo, s2
	s_cbranch_execz .LBB100_26
; %bb.25:
	v_add_nc_u32_e32 v6, v0, v9
	ds_load_u8 v7, v6 offset:1
.LBB100_26:
	s_or_saveexec_b32 s1, s1
	v_mov_b32_e32 v6, v4
	s_xor_b32 exec_lo, exec_lo, s1
	s_cbranch_execz .LBB100_28
; %bb.27:
	s_waitcnt lgkmcnt(0)
	v_dual_mov_b32 v7, v5 :: v_dual_add_nc_u32 v6, v0, v8
	ds_load_u8 v6, v6 offset:1
.LBB100_28:
	s_or_b32 exec_lo, exec_lo, s1
	v_add_nc_u32_e32 v10, 1, v9
	v_add_nc_u32_e32 v12, 1, v8
	s_waitcnt lgkmcnt(0)
	v_and_b32_e32 v13, 0xff, v7
	s_delay_alu instid0(VALU_DEP_3) | instskip(SKIP_2) | instid1(VALU_DEP_3)
	v_cndmask_b32_e64 v11, v10, v9, s0
	v_and_b32_e32 v9, 0xff, v6
	v_cndmask_b32_e64 v8, v8, v12, s0
                                        ; implicit-def: $vgpr10
	v_cmp_gt_i32_e64 s1, 8, v11
	s_delay_alu instid0(VALU_DEP_3) | instskip(NEXT) | instid1(VALU_DEP_3)
	v_cmp_ge_u16_e64 s2, v9, v13
	v_cmp_lt_i32_e64 s3, 15, v8
                                        ; implicit-def: $vgpr9
	s_delay_alu instid0(VALU_DEP_2)
	s_and_b32 s1, s1, s2
	s_delay_alu instid0(VALU_DEP_1) | instid1(SALU_CYCLE_1)
	s_or_b32 s1, s3, s1
	s_delay_alu instid0(SALU_CYCLE_1) | instskip(NEXT) | instid1(SALU_CYCLE_1)
	s_and_saveexec_b32 s2, s1
	s_xor_b32 s1, exec_lo, s2
	s_cbranch_execz .LBB100_30
; %bb.29:
	v_add_nc_u32_e32 v0, v0, v11
	v_add_nc_u32_e32 v10, 1, v11
                                        ; implicit-def: $vgpr11
	ds_load_u8 v9, v0 offset:1
                                        ; implicit-def: $vgpr0
.LBB100_30:
	s_or_saveexec_b32 s1, s1
	v_mov_b32_e32 v12, v7
	s_xor_b32 exec_lo, exec_lo, s1
	s_cbranch_execz .LBB100_32
; %bb.31:
	s_waitcnt lgkmcnt(0)
	v_dual_mov_b32 v9, v7 :: v_dual_add_nc_u32 v0, v0, v8
	v_add_nc_u32_e32 v8, 1, v8
	v_mov_b32_e32 v12, v6
	v_mov_b32_e32 v10, v11
	ds_load_u8 v0, v0 offset:1
	s_waitcnt lgkmcnt(0)
	v_mov_b32_e32 v6, v0
.LBB100_32:
	s_or_b32 exec_lo, exec_lo, s1
	s_waitcnt lgkmcnt(0)
	v_and_b32_e32 v0, 0xff, v9
	s_delay_alu instid0(VALU_DEP_2) | instskip(SKIP_2) | instid1(VALU_DEP_3)
	v_dual_cndmask_b32 v2, v2, v3 :: v_dual_and_b32 v7, 0xff, v6
	v_cmp_lt_i32_e64 s1, 7, v10
	v_cmp_gt_i32_e64 s3, 16, v8
	v_cmp_lt_u16_e64 s2, v7, v0
	v_cndmask_b32_e64 v0, v5, v4, s0
	v_and_b32_e32 v2, 0xff, v2
	v_and_b32_e32 v4, 0xff, v12
	s_delay_alu instid0(VALU_DEP_4) | instskip(NEXT) | instid1(VALU_DEP_3)
	s_or_b32 s0, s1, s2
	v_lshlrev_b16 v0, 8, v0
	s_and_b32 vcc_lo, s3, s0
	s_add_u32 s0, s6, s8
	v_cndmask_b32_e32 v3, v9, v6, vcc_lo
	s_addc_u32 s1, s7, 0
	v_or_b32_e32 v0, v2, v0
	s_delay_alu instid0(VALU_DEP_2) | instskip(NEXT) | instid1(VALU_DEP_1)
	v_lshlrev_b16 v3, 8, v3
	v_or_b32_e32 v2, v4, v3
	s_delay_alu instid0(VALU_DEP_3) | instskip(SKIP_1) | instid1(VALU_DEP_1)
	v_and_b32_e32 v3, 0xffff, v0
	v_add_co_u32 v0, s0, s0, v1
	v_add_co_ci_u32_e64 v1, null, s1, 0, s0
	s_delay_alu instid0(VALU_DEP_4) | instskip(NEXT) | instid1(VALU_DEP_1)
	v_lshlrev_b32_e32 v2, 16, v2
	v_or_b32_e32 v2, v3, v2
	global_store_b32 v[0:1], v2, off
	s_nop 0
	s_sendmsg sendmsg(MSG_DEALLOC_VGPRS)
	s_endpgm
	.section	.rodata,"a",@progbits
	.p2align	6, 0x0
	.amdhsa_kernel _Z9sort_keysILj256ELj4ELj4EhN10test_utils4lessEEvPKT2_PS2_T3_
		.amdhsa_group_segment_fixed_size 1088
		.amdhsa_private_segment_fixed_size 0
		.amdhsa_kernarg_size 20
		.amdhsa_user_sgpr_count 15
		.amdhsa_user_sgpr_dispatch_ptr 0
		.amdhsa_user_sgpr_queue_ptr 0
		.amdhsa_user_sgpr_kernarg_segment_ptr 1
		.amdhsa_user_sgpr_dispatch_id 0
		.amdhsa_user_sgpr_private_segment_size 0
		.amdhsa_wavefront_size32 1
		.amdhsa_uses_dynamic_stack 0
		.amdhsa_enable_private_segment 0
		.amdhsa_system_sgpr_workgroup_id_x 1
		.amdhsa_system_sgpr_workgroup_id_y 0
		.amdhsa_system_sgpr_workgroup_id_z 0
		.amdhsa_system_sgpr_workgroup_info 0
		.amdhsa_system_vgpr_workitem_id 0
		.amdhsa_next_free_vgpr 20
		.amdhsa_next_free_sgpr 16
		.amdhsa_reserve_vcc 1
		.amdhsa_float_round_mode_32 0
		.amdhsa_float_round_mode_16_64 0
		.amdhsa_float_denorm_mode_32 3
		.amdhsa_float_denorm_mode_16_64 3
		.amdhsa_dx10_clamp 1
		.amdhsa_ieee_mode 1
		.amdhsa_fp16_overflow 0
		.amdhsa_workgroup_processor_mode 1
		.amdhsa_memory_ordered 1
		.amdhsa_forward_progress 0
		.amdhsa_shared_vgpr_count 0
		.amdhsa_exception_fp_ieee_invalid_op 0
		.amdhsa_exception_fp_denorm_src 0
		.amdhsa_exception_fp_ieee_div_zero 0
		.amdhsa_exception_fp_ieee_overflow 0
		.amdhsa_exception_fp_ieee_underflow 0
		.amdhsa_exception_fp_ieee_inexact 0
		.amdhsa_exception_int_div_zero 0
	.end_amdhsa_kernel
	.section	.text._Z9sort_keysILj256ELj4ELj4EhN10test_utils4lessEEvPKT2_PS2_T3_,"axG",@progbits,_Z9sort_keysILj256ELj4ELj4EhN10test_utils4lessEEvPKT2_PS2_T3_,comdat
.Lfunc_end100:
	.size	_Z9sort_keysILj256ELj4ELj4EhN10test_utils4lessEEvPKT2_PS2_T3_, .Lfunc_end100-_Z9sort_keysILj256ELj4ELj4EhN10test_utils4lessEEvPKT2_PS2_T3_
                                        ; -- End function
	.section	.AMDGPU.csdata,"",@progbits
; Kernel info:
; codeLenInByte = 2152
; NumSgprs: 18
; NumVgprs: 20
; ScratchSize: 0
; MemoryBound: 0
; FloatMode: 240
; IeeeMode: 1
; LDSByteSize: 1088 bytes/workgroup (compile time only)
; SGPRBlocks: 2
; VGPRBlocks: 2
; NumSGPRsForWavesPerEU: 18
; NumVGPRsForWavesPerEU: 20
; Occupancy: 16
; WaveLimiterHint : 0
; COMPUTE_PGM_RSRC2:SCRATCH_EN: 0
; COMPUTE_PGM_RSRC2:USER_SGPR: 15
; COMPUTE_PGM_RSRC2:TRAP_HANDLER: 0
; COMPUTE_PGM_RSRC2:TGID_X_EN: 1
; COMPUTE_PGM_RSRC2:TGID_Y_EN: 0
; COMPUTE_PGM_RSRC2:TGID_Z_EN: 0
; COMPUTE_PGM_RSRC2:TIDIG_COMP_CNT: 0
	.section	.text._Z10sort_pairsILj256ELj4ELj4EhN10test_utils4lessEEvPKT2_PS2_T3_,"axG",@progbits,_Z10sort_pairsILj256ELj4ELj4EhN10test_utils4lessEEvPKT2_PS2_T3_,comdat
	.protected	_Z10sort_pairsILj256ELj4ELj4EhN10test_utils4lessEEvPKT2_PS2_T3_ ; -- Begin function _Z10sort_pairsILj256ELj4ELj4EhN10test_utils4lessEEvPKT2_PS2_T3_
	.globl	_Z10sort_pairsILj256ELj4ELj4EhN10test_utils4lessEEvPKT2_PS2_T3_
	.p2align	8
	.type	_Z10sort_pairsILj256ELj4ELj4EhN10test_utils4lessEEvPKT2_PS2_T3_,@function
_Z10sort_pairsILj256ELj4ELj4EhN10test_utils4lessEEvPKT2_PS2_T3_: ; @_Z10sort_pairsILj256ELj4ELj4EhN10test_utils4lessEEvPKT2_PS2_T3_
; %bb.0:
	s_load_b128 s[8:11], s[0:1], 0x0
	s_lshl_b32 s12, s15, 10
	v_lshlrev_b32_e32 v1, 2, v0
	v_lshrrev_b32_e32 v0, 2, v0
	s_mov_b32 s6, 0
	s_mov_b32 s7, exec_lo
	s_waitcnt lgkmcnt(0)
	s_add_u32 s0, s8, s12
	s_addc_u32 s1, s9, 0
	global_load_b32 v4, v1, s[0:1]
	; wave barrier
	s_waitcnt vmcnt(0)
	v_lshrrev_b32_e32 v5, 8, v4
	v_and_b32_e32 v2, 0xff, v4
	v_perm_b32 v6, v4, v4, 0x7060405
	s_delay_alu instid0(VALU_DEP_3) | instskip(NEXT) | instid1(VALU_DEP_1)
	v_and_b32_e32 v3, 0xff, v5
	v_cmp_lt_u16_e32 vcc_lo, v3, v2
	s_delay_alu instid0(VALU_DEP_3) | instskip(NEXT) | instid1(VALU_DEP_1)
	v_cndmask_b32_e32 v2, v4, v6, vcc_lo
	v_lshrrev_b32_e32 v3, 16, v2
	v_lshrrev_b32_e32 v7, 24, v2
	s_delay_alu instid0(VALU_DEP_2) | instskip(SKIP_1) | instid1(VALU_DEP_2)
	v_perm_b32 v6, 0, v3, 0xc0c0001
	v_and_b32_e32 v3, 0xff, v3
	v_lshlrev_b32_e32 v6, 16, v6
	s_delay_alu instid0(VALU_DEP_2) | instskip(SKIP_1) | instid1(VALU_DEP_3)
	v_cmp_lt_u16_e64 s0, v7, v3
	v_min_u16 v3, v7, v3
	v_and_or_b32 v6, 0xffff, v2, v6
	s_delay_alu instid0(VALU_DEP_2) | instskip(NEXT) | instid1(VALU_DEP_2)
	v_lshlrev_b16 v7, 8, v3
	v_cndmask_b32_e64 v2, v2, v6, s0
	s_delay_alu instid0(VALU_DEP_1) | instskip(SKIP_2) | instid1(VALU_DEP_3)
	v_lshrrev_b32_e32 v6, 16, v2
	v_lshrrev_b16 v8, 8, v2
	v_and_b32_e32 v9, 0xff, v2
	v_and_b32_e32 v6, 0xffffff00, v6
	s_delay_alu instid0(VALU_DEP_2) | instskip(NEXT) | instid1(VALU_DEP_2)
	v_or_b32_e32 v7, v9, v7
	v_or_b32_e32 v6, v8, v6
	v_lshrrev_b32_e32 v8, 8, v2
	s_delay_alu instid0(VALU_DEP_3) | instskip(NEXT) | instid1(VALU_DEP_3)
	v_and_b32_e32 v7, 0xffff, v7
	v_lshlrev_b32_e32 v6, 16, v6
	s_delay_alu instid0(VALU_DEP_3) | instskip(NEXT) | instid1(VALU_DEP_2)
	v_and_b32_e32 v8, 0xff, v8
	v_or_b32_e32 v6, v7, v6
	s_delay_alu instid0(VALU_DEP_2) | instskip(SKIP_2) | instid1(VALU_DEP_3)
	v_cmp_lt_u16_e64 s2, v3, v8
	v_min_u16 v3, v3, v8
	v_mbcnt_lo_u32_b32 v8, -1, 0
	v_cndmask_b32_e64 v2, v2, v6, s2
	s_delay_alu instid0(VALU_DEP_1) | instskip(SKIP_1) | instid1(VALU_DEP_2)
	v_lshlrev_b16 v6, 8, v2
	v_and_b32_e32 v7, 0xff, v2
	v_or_b32_e32 v6, v3, v6
	s_delay_alu instid0(VALU_DEP_2) | instskip(NEXT) | instid1(VALU_DEP_2)
	v_cmp_lt_u16_e64 s3, v3, v7
	v_and_b32_e32 v6, 0xffff, v6
	s_delay_alu instid0(VALU_DEP_1) | instskip(NEXT) | instid1(VALU_DEP_1)
	v_and_or_b32 v6, 0xffff0000, v2, v6
	v_cndmask_b32_e64 v2, v2, v6, s3
	s_delay_alu instid0(VALU_DEP_1) | instskip(SKIP_1) | instid1(VALU_DEP_2)
	v_lshrrev_b32_e32 v3, 16, v2
	v_lshrrev_b32_e32 v7, 24, v2
	v_perm_b32 v6, 0, v3, 0xc0c0001
	v_and_b32_e32 v3, 0xff, v3
	s_delay_alu instid0(VALU_DEP_2) | instskip(NEXT) | instid1(VALU_DEP_2)
	v_lshlrev_b32_e32 v6, 16, v6
	v_cmp_lt_u16_e64 s1, v7, v3
	v_min_u16 v13, v7, v3
	s_delay_alu instid0(VALU_DEP_3) | instskip(NEXT) | instid1(VALU_DEP_2)
	v_and_or_b32 v6, 0xffff, v2, v6
	v_lshlrev_b16 v9, 8, v13
	s_delay_alu instid0(VALU_DEP_2) | instskip(SKIP_1) | instid1(VALU_DEP_2)
	v_cndmask_b32_e64 v10, v2, v6, s1
	v_lshlrev_b32_e32 v2, 2, v8
	v_lshrrev_b32_e32 v3, 16, v10
	s_delay_alu instid0(VALU_DEP_2)
	v_and_b32_e32 v8, 8, v2
	v_lshrrev_b16 v11, 8, v10
	v_and_b32_e32 v12, 0xff, v10
	v_lshrrev_b32_e32 v15, 8, v10
	v_and_b32_e32 v14, 0xffffff00, v3
	v_or_b32_e32 v7, 4, v8
	v_add_nc_u32_e32 v6, 8, v8
	v_or_b32_e32 v9, v12, v9
	v_and_b32_e32 v15, 0xff, v15
	v_or_b32_e32 v12, v11, v14
	v_and_b32_e32 v11, 4, v2
	v_sub_nc_u32_e32 v14, v6, v7
	v_and_b32_e32 v9, 0xffff, v9
	v_and_b32_e32 v3, 12, v2
	v_lshlrev_b32_e32 v12, 16, v12
	v_sub_nc_u32_e32 v16, v7, v8
	v_sub_nc_u32_e32 v17, v11, v14
	v_cmp_ge_i32_e64 s4, v11, v14
	v_mad_u32_u24 v2, v0, 17, v3
	v_or_b32_e32 v18, v9, v12
	v_min_i32_e32 v9, v11, v16
	v_mul_u32_u24_e32 v0, 17, v0
	v_cndmask_b32_e64 v12, 0, v17, s4
	v_cmp_lt_u16_e64 s4, v13, v15
	s_delay_alu instid0(VALU_DEP_1)
	v_cndmask_b32_e64 v10, v10, v18, s4
	ds_store_b32 v2, v10
	; wave barrier
	v_cmpx_lt_i32_e64 v12, v9
	s_cbranch_execz .LBB101_4
; %bb.1:
	v_add_nc_u32_e32 v10, v0, v8
	s_delay_alu instid0(VALU_DEP_1)
	v_add3_u32 v13, v10, v11, 4
	.p2align	6
.LBB101_2:                              ; =>This Inner Loop Header: Depth=1
	v_sub_nc_u32_e32 v14, v9, v12
	s_delay_alu instid0(VALU_DEP_1) | instskip(NEXT) | instid1(VALU_DEP_1)
	v_lshrrev_b32_e32 v15, 31, v14
	v_add_nc_u32_e32 v14, v14, v15
	s_delay_alu instid0(VALU_DEP_1) | instskip(NEXT) | instid1(VALU_DEP_1)
	v_ashrrev_i32_e32 v14, 1, v14
	v_add_nc_u32_e32 v14, v14, v12
	s_delay_alu instid0(VALU_DEP_1)
	v_add_nc_u32_e32 v15, v10, v14
	v_xad_u32 v16, v14, -1, v13
	v_add_nc_u32_e32 v17, 1, v14
	ds_load_u8 v15, v15
	ds_load_u8 v16, v16
	s_waitcnt lgkmcnt(0)
	v_cmp_lt_u16_e64 s5, v16, v15
	s_delay_alu instid0(VALU_DEP_1) | instskip(SKIP_1) | instid1(VALU_DEP_1)
	v_cndmask_b32_e64 v9, v9, v14, s5
	v_cndmask_b32_e64 v12, v17, v12, s5
	v_cmp_ge_i32_e64 s5, v12, v9
	s_delay_alu instid0(VALU_DEP_1) | instskip(NEXT) | instid1(SALU_CYCLE_1)
	s_or_b32 s6, s5, s6
	s_and_not1_b32 exec_lo, exec_lo, s6
	s_cbranch_execnz .LBB101_2
; %bb.3:
	s_or_b32 exec_lo, exec_lo, s6
.LBB101_4:
	s_delay_alu instid0(SALU_CYCLE_1)
	s_or_b32 exec_lo, exec_lo, s7
	v_add_nc_u32_e32 v9, v8, v11
	v_add_nc_u32_e32 v10, v12, v8
	;; [unrolled: 1-line block ×3, first 2 shown]
	v_cmp_lt_i32_e64 s5, 3, v12
	v_lshrrev_b32_e32 v16, 16, v4
	v_sub_nc_u32_e32 v8, v9, v12
	v_add_nc_u32_e32 v17, v0, v10
	v_sub_nc_u32_e32 v13, v11, v12
	v_lshrrev_b32_e32 v14, 24, v4
                                        ; implicit-def: $vgpr11
                                        ; implicit-def: $vgpr12
	s_delay_alu instid0(VALU_DEP_4)
	v_add_nc_u32_e32 v15, v0, v8
	ds_load_u8 v8, v17
	ds_load_u8 v9, v15 offset:4
	v_cmp_gt_i32_e64 s7, v6, v13
	s_waitcnt lgkmcnt(1)
	v_and_b32_e32 v18, 0xff, v8
	s_waitcnt lgkmcnt(0)
	v_and_b32_e32 v19, 0xff, v9
	s_delay_alu instid0(VALU_DEP_1) | instskip(NEXT) | instid1(VALU_DEP_1)
	v_cmp_lt_u16_e64 s6, v19, v18
	s_or_b32 s5, s5, s6
	s_delay_alu instid0(SALU_CYCLE_1) | instskip(NEXT) | instid1(SALU_CYCLE_1)
	s_and_b32 s5, s7, s5
	s_xor_b32 s6, s5, -1
	s_delay_alu instid0(SALU_CYCLE_1) | instskip(NEXT) | instid1(SALU_CYCLE_1)
	s_and_saveexec_b32 s7, s6
	s_xor_b32 s6, exec_lo, s7
	s_cbranch_execz .LBB101_6
; %bb.5:
	ds_load_u8 v12, v17 offset:1
	v_mov_b32_e32 v11, v9
                                        ; implicit-def: $vgpr15
.LBB101_6:
	s_and_not1_saveexec_b32 s6, s6
	s_cbranch_execz .LBB101_8
; %bb.7:
	ds_load_u8 v11, v15 offset:5
	s_waitcnt lgkmcnt(1)
	v_mov_b32_e32 v12, v8
.LBB101_8:
	s_or_b32 exec_lo, exec_lo, s6
	v_add_nc_u32_e32 v15, 1, v10
	v_add_nc_u32_e32 v17, 1, v13
	s_waitcnt lgkmcnt(0)
	v_and_b32_e32 v20, 0xff, v12
	s_delay_alu instid0(VALU_DEP_3) | instskip(SKIP_2) | instid1(VALU_DEP_3)
	v_cndmask_b32_e64 v18, v15, v10, s5
	v_and_b32_e32 v15, 0xff, v11
	v_cndmask_b32_e64 v19, v13, v17, s5
	v_cmp_ge_i32_e64 s6, v18, v7
	s_delay_alu instid0(VALU_DEP_3) | instskip(NEXT) | instid1(VALU_DEP_3)
	v_cmp_lt_u16_e64 s7, v15, v20
	v_cmp_lt_i32_e64 s8, v19, v6
                                        ; implicit-def: $vgpr15
	s_delay_alu instid0(VALU_DEP_2)
	s_or_b32 s6, s6, s7
	s_delay_alu instid0(VALU_DEP_1) | instid1(SALU_CYCLE_1)
	s_and_b32 s6, s8, s6
	s_delay_alu instid0(SALU_CYCLE_1) | instskip(NEXT) | instid1(SALU_CYCLE_1)
	s_xor_b32 s7, s6, -1
	s_and_saveexec_b32 s8, s7
	s_delay_alu instid0(SALU_CYCLE_1)
	s_xor_b32 s7, exec_lo, s8
	s_cbranch_execz .LBB101_10
; %bb.9:
	v_add_nc_u32_e32 v15, v0, v18
	ds_load_u8 v15, v15 offset:1
.LBB101_10:
	s_or_saveexec_b32 s7, s7
	v_mov_b32_e32 v17, v11
	s_xor_b32 exec_lo, exec_lo, s7
	s_cbranch_execz .LBB101_12
; %bb.11:
	s_waitcnt lgkmcnt(0)
	v_add_nc_u32_e32 v15, v0, v19
	ds_load_u8 v17, v15 offset:1
	v_mov_b32_e32 v15, v12
.LBB101_12:
	s_or_b32 exec_lo, exec_lo, s7
	v_add_nc_u32_e32 v20, 1, v18
	v_add_nc_u32_e32 v21, 1, v19
	s_waitcnt lgkmcnt(0)
	v_and_b32_e32 v23, 0xff, v15
	s_delay_alu instid0(VALU_DEP_3) | instskip(SKIP_2) | instid1(VALU_DEP_3)
	v_cndmask_b32_e64 v22, v20, v18, s6
	v_and_b32_e32 v20, 0xff, v17
	v_cndmask_b32_e64 v21, v19, v21, s6
	v_cmp_ge_i32_e64 s7, v22, v7
	s_delay_alu instid0(VALU_DEP_3) | instskip(NEXT) | instid1(VALU_DEP_3)
	v_cmp_lt_u16_e64 s8, v20, v23
	v_cmp_lt_i32_e64 s9, v21, v6
                                        ; implicit-def: $vgpr20
	s_delay_alu instid0(VALU_DEP_2)
	s_or_b32 s7, s7, s8
	s_delay_alu instid0(VALU_DEP_1) | instid1(SALU_CYCLE_1)
	s_and_b32 s7, s9, s7
	s_delay_alu instid0(SALU_CYCLE_1) | instskip(NEXT) | instid1(SALU_CYCLE_1)
	s_xor_b32 s8, s7, -1
	s_and_saveexec_b32 s9, s8
	s_delay_alu instid0(SALU_CYCLE_1)
	s_xor_b32 s8, exec_lo, s9
	s_cbranch_execz .LBB101_14
; %bb.13:
	v_add_nc_u32_e32 v20, v0, v22
	ds_load_u8 v20, v20 offset:1
.LBB101_14:
	s_or_saveexec_b32 s8, s8
	v_mov_b32_e32 v23, v17
	s_xor_b32 exec_lo, exec_lo, s8
	s_cbranch_execz .LBB101_16
; %bb.15:
	s_waitcnt lgkmcnt(0)
	v_add_nc_u32_e32 v20, v0, v21
	ds_load_u8 v23, v20 offset:1
	v_mov_b32_e32 v20, v15
.LBB101_16:
	s_or_b32 exec_lo, exec_lo, s8
	v_add_nc_u16 v16, v16, 1
	v_add_nc_u16 v5, v5, 1
	;; [unrolled: 1-line block ×3, first 2 shown]
	v_lshlrev_b16 v14, 8, v14
	v_cndmask_b32_e64 v18, v18, v19, s6
	v_and_b32_e32 v16, 0xff, v16
	v_lshlrev_b16 v24, 8, v5
	v_and_b32_e32 v25, 0xff, v4
	v_lshlrev_b16 v4, 8, v4
	v_and_b32_e32 v5, 0xff, v5
	v_or_b32_e32 v14, v14, v16
	s_waitcnt lgkmcnt(0)
	v_and_b32_e32 v19, 0xff, v20
	v_or_b32_e32 v16, v25, v24
	v_and_b32_e32 v25, 0xff, v23
	v_or_b32_e32 v4, v5, v4
	v_add_nc_u16 v5, v14, 0x100
	v_cndmask_b32_e64 v10, v10, v13, s5
	v_and_b32_e32 v14, 0xffff, v16
	v_cndmask_b32_e64 v24, v22, v21, s7
	v_and_b32_e32 v4, 0xffff, v4
	v_lshlrev_b32_e32 v16, 16, v5
	v_perm_b32 v5, 0, v5, 0xc0c0001
	; wave barrier
	s_delay_alu instid0(VALU_DEP_3) | instskip(SKIP_1) | instid1(VALU_DEP_3)
	v_cndmask_b32_e32 v4, v14, v4, vcc_lo
	v_add_nc_u32_e32 v14, 1, v21
	v_lshlrev_b32_e32 v5, 16, v5
	v_cmp_lt_u16_e32 vcc_lo, v25, v19
	v_cndmask_b32_e64 v8, v8, v9, s5
	v_or_b32_e32 v4, v4, v16
	v_add_nc_u32_e32 v16, 1, v22
	v_cndmask_b32_e64 v13, v21, v14, s7
	v_add_nc_u32_e32 v14, v0, v3
	v_cndmask_b32_e64 v9, v12, v11, s6
	v_and_or_b32 v5, 0xffff, v4, v5
	v_cndmask_b32_e64 v16, v16, v22, s7
	v_cndmask_b32_e64 v15, v15, v17, s7
	s_delay_alu instid0(VALU_DEP_3) | instskip(NEXT) | instid1(VALU_DEP_3)
	v_cndmask_b32_e64 v4, v4, v5, s0
	v_cmp_ge_i32_e64 s0, v16, v7
	v_add_nc_u32_e32 v7, v0, v18
	s_delay_alu instid0(VALU_DEP_3) | instskip(NEXT) | instid1(VALU_DEP_3)
	v_perm_b32 v5, v4, v4, 0x7050604
	s_or_b32 s0, s0, vcc_lo
	s_delay_alu instid0(VALU_DEP_1) | instskip(NEXT) | instid1(VALU_DEP_1)
	v_cndmask_b32_e64 v4, v4, v5, s2
	v_perm_b32 v5, 0, v4, 0xc0c0001
	s_delay_alu instid0(VALU_DEP_1) | instskip(NEXT) | instid1(VALU_DEP_1)
	v_and_or_b32 v5, 0xffff0000, v4, v5
	v_cndmask_b32_e64 v4, v4, v5, s3
	s_delay_alu instid0(VALU_DEP_1) | instskip(NEXT) | instid1(VALU_DEP_1)
	v_lshrrev_b32_e32 v5, 16, v4
	v_perm_b32 v5, 0, v5, 0xc0c0001
	s_delay_alu instid0(VALU_DEP_1) | instskip(NEXT) | instid1(VALU_DEP_1)
	v_lshlrev_b32_e32 v5, 16, v5
	v_and_or_b32 v5, 0xffff, v4, v5
	s_delay_alu instid0(VALU_DEP_1) | instskip(SKIP_1) | instid1(VALU_DEP_2)
	v_cndmask_b32_e64 v4, v4, v5, s1
	v_cmp_lt_i32_e64 s1, v13, v6
	v_perm_b32 v5, v4, v4, 0x7050604
	s_delay_alu instid0(VALU_DEP_2)
	s_and_b32 vcc_lo, s1, s0
	s_mov_b32 s0, exec_lo
	v_cndmask_b32_e32 v6, v16, v13, vcc_lo
	v_cndmask_b32_e32 v19, v20, v23, vcc_lo
	v_cndmask_b32_e64 v4, v4, v5, s4
	v_add_nc_u32_e32 v5, v0, v10
	v_add_nc_u32_e32 v10, v0, v24
	v_add_nc_u32_e32 v13, v0, v6
	ds_store_b32 v14, v4
	; wave barrier
	ds_load_u8 v4, v5
	ds_load_u8 v5, v7
	;; [unrolled: 1-line block ×4, first 2 shown]
	v_sub_nc_u32_e64 v10, v3, 8 clamp
	v_min_i32_e32 v13, 8, v3
	; wave barrier
	ds_store_b8 v14, v8
	ds_store_b8 v14, v9 offset:1
	ds_store_b8 v14, v15 offset:2
	;; [unrolled: 1-line block ×3, first 2 shown]
	; wave barrier
	v_cmpx_lt_u32_e64 v10, v13
	s_cbranch_execz .LBB101_20
; %bb.17:
	s_mov_b32 s1, 0
	.p2align	6
.LBB101_18:                             ; =>This Inner Loop Header: Depth=1
	v_sub_nc_u32_e32 v8, v13, v10
	s_delay_alu instid0(VALU_DEP_1) | instskip(NEXT) | instid1(VALU_DEP_1)
	v_lshrrev_b32_e32 v9, 31, v8
	v_add_nc_u32_e32 v8, v8, v9
	s_delay_alu instid0(VALU_DEP_1) | instskip(NEXT) | instid1(VALU_DEP_1)
	v_ashrrev_i32_e32 v8, 1, v8
	v_add_nc_u32_e32 v8, v8, v10
	s_delay_alu instid0(VALU_DEP_1)
	v_add_nc_u32_e32 v9, v0, v8
	v_xad_u32 v11, v8, -1, v2
	v_add_nc_u32_e32 v12, 1, v8
	ds_load_u8 v9, v9
	ds_load_u8 v11, v11 offset:8
	s_waitcnt lgkmcnt(0)
	v_cmp_lt_u16_e32 vcc_lo, v11, v9
	v_dual_cndmask_b32 v13, v13, v8 :: v_dual_cndmask_b32 v10, v12, v10
	s_delay_alu instid0(VALU_DEP_1) | instskip(SKIP_1) | instid1(SALU_CYCLE_1)
	v_cmp_ge_i32_e32 vcc_lo, v10, v13
	s_or_b32 s1, vcc_lo, s1
	s_and_not1_b32 exec_lo, exec_lo, s1
	s_cbranch_execnz .LBB101_18
; %bb.19:
	s_or_b32 exec_lo, exec_lo, s1
.LBB101_20:
	s_delay_alu instid0(SALU_CYCLE_1) | instskip(SKIP_3) | instid1(VALU_DEP_3)
	s_or_b32 exec_lo, exec_lo, s0
	v_sub_nc_u32_e32 v9, v3, v10
	v_add_nc_u32_e32 v14, v0, v10
	v_cmp_lt_i32_e32 vcc_lo, 7, v10
	v_add_nc_u32_e32 v13, v0, v9
	v_add_nc_u32_e32 v12, 8, v9
                                        ; implicit-def: $vgpr9
	ds_load_u8 v3, v14
	ds_load_u8 v8, v13 offset:8
	v_cmp_gt_i32_e64 s1, 16, v12
	s_waitcnt lgkmcnt(1)
	v_and_b32_e32 v11, 0xff, v3
	s_waitcnt lgkmcnt(0)
	v_and_b32_e32 v15, 0xff, v8
	s_delay_alu instid0(VALU_DEP_1) | instskip(NEXT) | instid1(VALU_DEP_1)
	v_cmp_lt_u16_e64 s0, v15, v11
                                        ; implicit-def: $vgpr11
	s_or_b32 s0, vcc_lo, s0
	s_delay_alu instid0(SALU_CYCLE_1) | instskip(NEXT) | instid1(SALU_CYCLE_1)
	s_and_b32 vcc_lo, s1, s0
	s_xor_b32 s0, vcc_lo, -1
	s_delay_alu instid0(SALU_CYCLE_1) | instskip(NEXT) | instid1(SALU_CYCLE_1)
	s_and_saveexec_b32 s1, s0
	s_xor_b32 s0, exec_lo, s1
	s_cbranch_execz .LBB101_22
; %bb.21:
	ds_load_u8 v11, v14 offset:1
	v_mov_b32_e32 v9, v8
                                        ; implicit-def: $vgpr13
.LBB101_22:
	s_and_not1_saveexec_b32 s0, s0
	s_cbranch_execz .LBB101_24
; %bb.23:
	ds_load_u8 v9, v13 offset:9
	s_waitcnt lgkmcnt(1)
	v_mov_b32_e32 v11, v3
.LBB101_24:
	s_or_b32 exec_lo, exec_lo, s0
	v_add_nc_u32_e32 v13, 1, v10
	v_add_nc_u32_e32 v14, 1, v12
	s_waitcnt lgkmcnt(0)
	s_delay_alu instid0(VALU_DEP_2) | instskip(NEXT) | instid1(VALU_DEP_2)
	v_dual_cndmask_b32 v13, v13, v10 :: v_dual_and_b32 v16, 0xff, v9
	v_dual_cndmask_b32 v14, v12, v14 :: v_dual_and_b32 v15, 0xff, v11
	s_delay_alu instid0(VALU_DEP_2) | instskip(NEXT) | instid1(VALU_DEP_2)
	v_cmp_lt_i32_e64 s0, 7, v13
	v_cmp_lt_u16_e64 s1, v16, v15
	s_delay_alu instid0(VALU_DEP_3) | instskip(NEXT) | instid1(VALU_DEP_2)
	v_cmp_gt_i32_e64 s2, 16, v14
                                        ; implicit-def: $vgpr16
	s_or_b32 s0, s0, s1
	s_delay_alu instid0(VALU_DEP_1) | instid1(SALU_CYCLE_1)
	s_and_b32 s0, s2, s0
	s_delay_alu instid0(SALU_CYCLE_1) | instskip(NEXT) | instid1(SALU_CYCLE_1)
	s_xor_b32 s1, s0, -1
	s_and_saveexec_b32 s2, s1
	s_delay_alu instid0(SALU_CYCLE_1)
	s_xor_b32 s1, exec_lo, s2
	s_cbranch_execz .LBB101_26
; %bb.25:
	v_add_nc_u32_e32 v15, v0, v13
	ds_load_u8 v16, v15 offset:1
.LBB101_26:
	s_or_saveexec_b32 s1, s1
	v_mov_b32_e32 v15, v9
	s_xor_b32 exec_lo, exec_lo, s1
	s_cbranch_execz .LBB101_28
; %bb.27:
	s_waitcnt lgkmcnt(0)
	v_dual_mov_b32 v16, v11 :: v_dual_add_nc_u32 v15, v0, v14
	ds_load_u8 v15, v15 offset:1
.LBB101_28:
	s_or_b32 exec_lo, exec_lo, s1
	v_add_nc_u32_e32 v17, 1, v13
	v_add_nc_u32_e32 v18, 1, v14
	s_waitcnt lgkmcnt(0)
	v_and_b32_e32 v19, 0xff, v16
	v_and_b32_e32 v20, 0xff, v15
	v_cndmask_b32_e64 v22, v17, v13, s0
	v_cndmask_b32_e64 v17, v14, v18, s0
	s_delay_alu instid0(VALU_DEP_3) | instskip(NEXT) | instid1(VALU_DEP_3)
	v_cmp_ge_u16_e64 s2, v20, v19
                                        ; implicit-def: $vgpr20
                                        ; implicit-def: $vgpr19
	v_cmp_gt_i32_e64 s1, 8, v22
	s_delay_alu instid0(VALU_DEP_3) | instskip(NEXT) | instid1(VALU_DEP_2)
	v_cmp_lt_i32_e64 s3, 15, v17
	s_and_b32 s1, s1, s2
	s_delay_alu instid0(VALU_DEP_1) | instid1(SALU_CYCLE_1)
	s_or_b32 s1, s3, s1
	s_delay_alu instid0(SALU_CYCLE_1) | instskip(NEXT) | instid1(SALU_CYCLE_1)
	s_and_saveexec_b32 s2, s1
	s_xor_b32 s1, exec_lo, s2
	s_cbranch_execz .LBB101_30
; %bb.29:
	v_add_nc_u32_e32 v18, v0, v22
	v_add_nc_u32_e32 v19, 1, v22
	ds_load_u8 v20, v18 offset:1
.LBB101_30:
	s_or_saveexec_b32 s1, s1
	v_dual_mov_b32 v18, v16 :: v_dual_mov_b32 v21, v22
	s_xor_b32 exec_lo, exec_lo, s1
	s_cbranch_execz .LBB101_32
; %bb.31:
	v_dual_mov_b32 v21, v17 :: v_dual_add_nc_u32 v18, v0, v17
	s_waitcnt lgkmcnt(0)
	v_dual_mov_b32 v19, v22 :: v_dual_add_nc_u32 v20, 1, v17
	ds_load_u8 v23, v18 offset:1
	v_dual_mov_b32 v18, v15 :: v_dual_mov_b32 v17, v20
	s_waitcnt lgkmcnt(0)
	v_dual_mov_b32 v20, v16 :: v_dual_mov_b32 v15, v23
.LBB101_32:
	s_or_b32 exec_lo, exec_lo, s1
	s_waitcnt lgkmcnt(0)
	s_delay_alu instid0(VALU_DEP_1) | instskip(NEXT) | instid1(VALU_DEP_2)
	v_and_b32_e32 v16, 0xff, v20
	v_dual_cndmask_b32 v3, v3, v8 :: v_dual_and_b32 v22, 0xff, v15
	v_cmp_lt_i32_e64 s1, 7, v19
	v_cmp_gt_i32_e64 s3, 16, v17
	v_cndmask_b32_e64 v13, v13, v14, s0
	s_delay_alu instid0(VALU_DEP_4)
	v_cmp_lt_u16_e64 s2, v22, v16
	; wave barrier
	ds_store_b8 v2, v4
	ds_store_b8 v2, v5 offset:1
	ds_store_b8 v2, v6 offset:2
	;; [unrolled: 1-line block ×3, first 2 shown]
	v_add_nc_u32_e32 v2, v0, v13
	s_or_b32 s1, s1, s2
	s_delay_alu instid0(SALU_CYCLE_1) | instskip(NEXT) | instid1(SALU_CYCLE_1)
	s_and_b32 s1, s3, s1
	; wave barrier
	v_cndmask_b32_e64 v14, v19, v17, s1
	v_cndmask_b32_e32 v10, v10, v12, vcc_lo
	v_cndmask_b32_e64 v12, v20, v15, s1
	v_cndmask_b32_e64 v6, v11, v9, s0
	s_add_u32 s0, s10, s12
	v_add_nc_u32_e32 v5, v0, v14
	v_add_nc_u32_e32 v4, v0, v10
	;; [unrolled: 1-line block ×3, first 2 shown]
	ds_load_u8 v2, v2
	ds_load_u8 v4, v4
	;; [unrolled: 1-line block ×4, first 2 shown]
	s_addc_u32 s1, s11, 0
	s_waitcnt lgkmcnt(3)
	v_add_nc_u16 v2, v2, v6
	s_waitcnt lgkmcnt(2)
	v_add_nc_u16 v3, v4, v3
	;; [unrolled: 2-line block ×4, first 2 shown]
	v_lshlrev_b16 v2, 8, v2
	v_and_b32_e32 v3, 0xff, v3
	v_lshlrev_b16 v4, 8, v4
	s_delay_alu instid0(VALU_DEP_4) | instskip(NEXT) | instid1(VALU_DEP_3)
	v_and_b32_e32 v0, 0xff, v0
	v_or_b32_e32 v2, v3, v2
	s_delay_alu instid0(VALU_DEP_2) | instskip(NEXT) | instid1(VALU_DEP_2)
	v_or_b32_e32 v0, v0, v4
	v_and_b32_e32 v2, 0xffff, v2
	s_delay_alu instid0(VALU_DEP_2) | instskip(SKIP_1) | instid1(VALU_DEP_1)
	v_lshlrev_b32_e32 v3, 16, v0
	v_add_co_u32 v0, s0, s0, v1
	v_add_co_ci_u32_e64 v1, null, s1, 0, s0
	s_delay_alu instid0(VALU_DEP_3)
	v_or_b32_e32 v2, v2, v3
	global_store_b32 v[0:1], v2, off
	s_nop 0
	s_sendmsg sendmsg(MSG_DEALLOC_VGPRS)
	s_endpgm
	.section	.rodata,"a",@progbits
	.p2align	6, 0x0
	.amdhsa_kernel _Z10sort_pairsILj256ELj4ELj4EhN10test_utils4lessEEvPKT2_PS2_T3_
		.amdhsa_group_segment_fixed_size 1088
		.amdhsa_private_segment_fixed_size 0
		.amdhsa_kernarg_size 20
		.amdhsa_user_sgpr_count 15
		.amdhsa_user_sgpr_dispatch_ptr 0
		.amdhsa_user_sgpr_queue_ptr 0
		.amdhsa_user_sgpr_kernarg_segment_ptr 1
		.amdhsa_user_sgpr_dispatch_id 0
		.amdhsa_user_sgpr_private_segment_size 0
		.amdhsa_wavefront_size32 1
		.amdhsa_uses_dynamic_stack 0
		.amdhsa_enable_private_segment 0
		.amdhsa_system_sgpr_workgroup_id_x 1
		.amdhsa_system_sgpr_workgroup_id_y 0
		.amdhsa_system_sgpr_workgroup_id_z 0
		.amdhsa_system_sgpr_workgroup_info 0
		.amdhsa_system_vgpr_workitem_id 0
		.amdhsa_next_free_vgpr 26
		.amdhsa_next_free_sgpr 16
		.amdhsa_reserve_vcc 1
		.amdhsa_float_round_mode_32 0
		.amdhsa_float_round_mode_16_64 0
		.amdhsa_float_denorm_mode_32 3
		.amdhsa_float_denorm_mode_16_64 3
		.amdhsa_dx10_clamp 1
		.amdhsa_ieee_mode 1
		.amdhsa_fp16_overflow 0
		.amdhsa_workgroup_processor_mode 1
		.amdhsa_memory_ordered 1
		.amdhsa_forward_progress 0
		.amdhsa_shared_vgpr_count 0
		.amdhsa_exception_fp_ieee_invalid_op 0
		.amdhsa_exception_fp_denorm_src 0
		.amdhsa_exception_fp_ieee_div_zero 0
		.amdhsa_exception_fp_ieee_overflow 0
		.amdhsa_exception_fp_ieee_underflow 0
		.amdhsa_exception_fp_ieee_inexact 0
		.amdhsa_exception_int_div_zero 0
	.end_amdhsa_kernel
	.section	.text._Z10sort_pairsILj256ELj4ELj4EhN10test_utils4lessEEvPKT2_PS2_T3_,"axG",@progbits,_Z10sort_pairsILj256ELj4ELj4EhN10test_utils4lessEEvPKT2_PS2_T3_,comdat
.Lfunc_end101:
	.size	_Z10sort_pairsILj256ELj4ELj4EhN10test_utils4lessEEvPKT2_PS2_T3_, .Lfunc_end101-_Z10sort_pairsILj256ELj4ELj4EhN10test_utils4lessEEvPKT2_PS2_T3_
                                        ; -- End function
	.section	.AMDGPU.csdata,"",@progbits
; Kernel info:
; codeLenInByte = 2828
; NumSgprs: 18
; NumVgprs: 26
; ScratchSize: 0
; MemoryBound: 0
; FloatMode: 240
; IeeeMode: 1
; LDSByteSize: 1088 bytes/workgroup (compile time only)
; SGPRBlocks: 2
; VGPRBlocks: 3
; NumSGPRsForWavesPerEU: 18
; NumVGPRsForWavesPerEU: 26
; Occupancy: 16
; WaveLimiterHint : 0
; COMPUTE_PGM_RSRC2:SCRATCH_EN: 0
; COMPUTE_PGM_RSRC2:USER_SGPR: 15
; COMPUTE_PGM_RSRC2:TRAP_HANDLER: 0
; COMPUTE_PGM_RSRC2:TGID_X_EN: 1
; COMPUTE_PGM_RSRC2:TGID_Y_EN: 0
; COMPUTE_PGM_RSRC2:TGID_Z_EN: 0
; COMPUTE_PGM_RSRC2:TIDIG_COMP_CNT: 0
	.section	.text._Z19sort_keys_segmentedILj256ELj4ELj4EhN10test_utils4lessEEvPKT2_PS2_PKjT3_,"axG",@progbits,_Z19sort_keys_segmentedILj256ELj4ELj4EhN10test_utils4lessEEvPKT2_PS2_PKjT3_,comdat
	.protected	_Z19sort_keys_segmentedILj256ELj4ELj4EhN10test_utils4lessEEvPKT2_PS2_PKjT3_ ; -- Begin function _Z19sort_keys_segmentedILj256ELj4ELj4EhN10test_utils4lessEEvPKT2_PS2_PKjT3_
	.globl	_Z19sort_keys_segmentedILj256ELj4ELj4EhN10test_utils4lessEEvPKT2_PS2_PKjT3_
	.p2align	8
	.type	_Z19sort_keys_segmentedILj256ELj4ELj4EhN10test_utils4lessEEvPKT2_PS2_PKjT3_,@function
_Z19sort_keys_segmentedILj256ELj4ELj4EhN10test_utils4lessEEvPKT2_PS2_PKjT3_: ; @_Z19sort_keys_segmentedILj256ELj4ELj4EhN10test_utils4lessEEvPKT2_PS2_PKjT3_
; %bb.0:
	s_clause 0x1
	s_load_b64 s[2:3], s[0:1], 0x10
	s_load_b128 s[8:11], s[0:1], 0x0
	v_lshrrev_b32_e32 v5, 2, v0
	v_mov_b32_e32 v1, 0
                                        ; implicit-def: $vgpr8
	s_delay_alu instid0(VALU_DEP_2) | instskip(NEXT) | instid1(VALU_DEP_1)
	v_lshl_or_b32 v0, s15, 6, v5
	v_lshlrev_b64 v[1:2], 2, v[0:1]
	v_lshlrev_b32_e32 v3, 4, v0
	s_waitcnt lgkmcnt(0)
	s_delay_alu instid0(VALU_DEP_2) | instskip(NEXT) | instid1(VALU_DEP_3)
	v_add_co_u32 v1, vcc_lo, s2, v1
	v_add_co_ci_u32_e32 v2, vcc_lo, s3, v2, vcc_lo
	s_delay_alu instid0(VALU_DEP_3) | instskip(SKIP_2) | instid1(VALU_DEP_1)
	v_add_co_u32 v0, s0, s8, v3
	global_load_b32 v4, v[1:2], off
	v_mbcnt_lo_u32_b32 v1, -1, 0
	v_lshlrev_b32_e32 v6, 2, v1
	v_add_co_ci_u32_e64 v1, null, s9, 0, s0
	s_delay_alu instid0(VALU_DEP_2) | instskip(NEXT) | instid1(VALU_DEP_1)
	v_and_b32_e32 v2, 12, v6
	v_add_co_u32 v0, vcc_lo, v0, v2
	s_delay_alu instid0(VALU_DEP_3)
	v_add_co_ci_u32_e32 v1, vcc_lo, 0, v1, vcc_lo
	s_waitcnt vmcnt(0)
	v_cmp_lt_u32_e32 vcc_lo, v2, v4
	s_and_saveexec_b32 s0, vcc_lo
	s_cbranch_execz .LBB102_2
; %bb.1:
	global_load_u8 v8, v[0:1], off
.LBB102_2:
	s_or_b32 exec_lo, exec_lo, s0
	v_or_b32_e32 v7, 1, v2
                                        ; implicit-def: $vgpr10
	s_delay_alu instid0(VALU_DEP_1) | instskip(NEXT) | instid1(VALU_DEP_1)
	v_cmp_lt_u32_e64 s0, v7, v4
	s_and_saveexec_b32 s1, s0
	s_cbranch_execz .LBB102_4
; %bb.3:
	global_load_u8 v10, v[0:1], off offset:1
.LBB102_4:
	s_or_b32 exec_lo, exec_lo, s1
	v_or_b32_e32 v9, 2, v2
                                        ; implicit-def: $vgpr12
	s_delay_alu instid0(VALU_DEP_1) | instskip(NEXT) | instid1(VALU_DEP_1)
	v_cmp_lt_u32_e64 s1, v9, v4
	s_and_saveexec_b32 s2, s1
	s_cbranch_execz .LBB102_6
; %bb.5:
	global_load_u8 v12, v[0:1], off offset:2
.LBB102_6:
	s_or_b32 exec_lo, exec_lo, s2
	v_or_b32_e32 v11, 3, v2
                                        ; implicit-def: $vgpr13
	s_delay_alu instid0(VALU_DEP_1) | instskip(NEXT) | instid1(VALU_DEP_1)
	v_cmp_lt_u32_e64 s2, v11, v4
	s_and_saveexec_b32 s3, s2
	s_cbranch_execz .LBB102_8
; %bb.7:
	global_load_u8 v13, v[0:1], off offset:3
.LBB102_8:
	s_or_b32 exec_lo, exec_lo, s3
	s_waitcnt vmcnt(0)
	v_and_b32_e32 v0, 0xff, v8
	v_lshlrev_b16 v1, 8, v10
	v_and_b32_e32 v8, 0xff, v12
	v_lshlrev_b16 v10, 8, v13
	v_cmp_lt_i32_e64 s3, v7, v4
	s_mov_b32 s5, exec_lo
	v_or_b32_e32 v1, v0, v1
	v_or_b32_e32 v0, 0xffffff00, v0
	;; [unrolled: 1-line block ×3, first 2 shown]
	s_delay_alu instid0(VALU_DEP_3) | instskip(NEXT) | instid1(VALU_DEP_3)
	v_and_b32_e32 v1, 0xffff, v1
	v_and_b32_e32 v0, 0xffff, v0
	s_delay_alu instid0(VALU_DEP_3) | instskip(NEXT) | instid1(VALU_DEP_1)
	v_lshlrev_b32_e32 v8, 16, v8
	v_or_b32_e32 v1, v1, v8
	s_delay_alu instid0(VALU_DEP_3) | instskip(NEXT) | instid1(VALU_DEP_1)
	v_or_b32_e32 v0, v0, v8
	v_cndmask_b32_e64 v0, v0, v1, s3
	v_cmp_lt_i32_e64 s3, v9, v4
	s_delay_alu instid0(VALU_DEP_2) | instskip(NEXT) | instid1(VALU_DEP_1)
	v_lshrrev_b32_e32 v7, 16, v0
	v_or_b32_e32 v7, 0xff, v7
	s_delay_alu instid0(VALU_DEP_1) | instskip(NEXT) | instid1(VALU_DEP_1)
	v_lshlrev_b32_e32 v7, 16, v7
	v_and_or_b32 v0, 0xffff, v0, v7
	s_delay_alu instid0(VALU_DEP_1) | instskip(SKIP_1) | instid1(VALU_DEP_2)
	v_cndmask_b32_e64 v0, v0, v1, s3
	v_cmp_lt_i32_e64 s3, v11, v4
	v_lshrrev_b32_e32 v7, 16, v0
	s_delay_alu instid0(VALU_DEP_1) | instskip(NEXT) | instid1(VALU_DEP_1)
	v_or_b32_e32 v7, 0xffffff00, v7
	v_lshlrev_b32_e32 v7, 16, v7
	s_delay_alu instid0(VALU_DEP_1) | instskip(NEXT) | instid1(VALU_DEP_1)
	v_and_or_b32 v0, 0xffff, v0, v7
	v_cndmask_b32_e64 v10, v0, v1, s3
	v_cmpx_lt_i32_e64 v2, v4
	s_cbranch_execz .LBB102_10
; %bb.9:
	s_delay_alu instid0(VALU_DEP_2) | instskip(SKIP_2) | instid1(VALU_DEP_3)
	v_lshrrev_b32_e32 v0, 8, v10
	v_and_b32_e32 v1, 0xff, v10
	v_perm_b32 v7, v10, v10, 0x7060405
	v_and_b32_e32 v0, 0xff, v0
	s_delay_alu instid0(VALU_DEP_1) | instskip(SKIP_2) | instid1(VALU_DEP_3)
	v_cmp_lt_u16_e64 s3, v0, v1
	v_max_u16 v12, v0, v1
	v_min_u16 v0, v0, v1
	v_cndmask_b32_e64 v7, v10, v7, s3
	s_delay_alu instid0(VALU_DEP_1) | instskip(SKIP_1) | instid1(VALU_DEP_2)
	v_lshrrev_b32_e32 v8, 16, v7
	v_lshrrev_b32_e32 v10, 24, v7
	v_perm_b32 v9, 0, v8, 0xc0c0001
	v_and_b32_e32 v8, 0xff, v8
	s_delay_alu instid0(VALU_DEP_2) | instskip(NEXT) | instid1(VALU_DEP_2)
	v_lshlrev_b32_e32 v9, 16, v9
	v_cmp_lt_u16_e64 s3, v10, v8
	s_delay_alu instid0(VALU_DEP_2) | instskip(NEXT) | instid1(VALU_DEP_1)
	v_and_or_b32 v9, 0xffff, v7, v9
	v_cndmask_b32_e64 v7, v7, v9, s3
	v_min_u16 v9, v10, v8
	v_max_u16 v8, v10, v8
	s_delay_alu instid0(VALU_DEP_3) | instskip(NEXT) | instid1(VALU_DEP_3)
	v_lshrrev_b32_e32 v11, 16, v7
	v_lshlrev_b16 v13, 8, v9
	v_and_b32_e32 v14, 0xff, v7
	v_cmp_lt_u16_e64 s3, v9, v12
	v_cmp_gt_u16_e64 s4, v12, v8
	v_and_b32_e32 v11, 0xffffff00, v11
	s_delay_alu instid0(VALU_DEP_4) | instskip(SKIP_2) | instid1(VALU_DEP_4)
	v_or_b32_e32 v1, v14, v13
	v_lshlrev_b16 v13, 8, v0
	v_min_u16 v14, v9, v12
	v_or_b32_e32 v11, v12, v11
	s_delay_alu instid0(VALU_DEP_4) | instskip(NEXT) | instid1(VALU_DEP_3)
	v_and_b32_e32 v1, 0xffff, v1
	v_or_b32_e32 v13, v14, v13
	s_delay_alu instid0(VALU_DEP_3) | instskip(NEXT) | instid1(VALU_DEP_2)
	v_lshlrev_b32_e32 v11, 16, v11
	v_and_b32_e32 v10, 0xffff, v13
	s_delay_alu instid0(VALU_DEP_2) | instskip(SKIP_1) | instid1(VALU_DEP_2)
	v_or_b32_e32 v1, v1, v11
	v_max_u16 v11, v9, v12
	v_cndmask_b32_e64 v1, v7, v1, s3
	s_delay_alu instid0(VALU_DEP_2) | instskip(SKIP_1) | instid1(VALU_DEP_3)
	v_lshlrev_b16 v7, 8, v11
	v_cmp_lt_u16_e64 s3, v9, v0
	v_and_or_b32 v10, 0xffff0000, v1, v10
	s_delay_alu instid0(VALU_DEP_3) | instskip(NEXT) | instid1(VALU_DEP_3)
	v_or_b32_e32 v7, v8, v7
	v_cndmask_b32_e64 v0, v14, v0, s3
	s_delay_alu instid0(VALU_DEP_3) | instskip(NEXT) | instid1(VALU_DEP_3)
	v_cndmask_b32_e64 v1, v1, v10, s3
	v_lshlrev_b32_e32 v7, 16, v7
	s_delay_alu instid0(VALU_DEP_1) | instskip(NEXT) | instid1(VALU_DEP_1)
	v_and_or_b32 v7, 0xffff, v1, v7
	v_cndmask_b32_e64 v1, v1, v7, s4
	v_cndmask_b32_e64 v7, v11, v8, s4
	s_delay_alu instid0(VALU_DEP_2) | instskip(SKIP_1) | instid1(VALU_DEP_3)
	v_lshrrev_b32_e32 v8, 16, v1
	v_and_b32_e32 v9, 0xff, v1
	v_lshlrev_b16 v10, 8, v7
	v_cmp_lt_u16_e64 s3, v7, v0
	s_delay_alu instid0(VALU_DEP_4) | instskip(NEXT) | instid1(VALU_DEP_3)
	v_and_b32_e32 v8, 0xffffff00, v8
	v_or_b32_e32 v9, v9, v10
	s_delay_alu instid0(VALU_DEP_2) | instskip(NEXT) | instid1(VALU_DEP_2)
	v_or_b32_e32 v8, v0, v8
	v_and_b32_e32 v9, 0xffff, v9
	s_delay_alu instid0(VALU_DEP_2) | instskip(NEXT) | instid1(VALU_DEP_1)
	v_lshlrev_b32_e32 v8, 16, v8
	v_or_b32_e32 v8, v9, v8
	s_delay_alu instid0(VALU_DEP_1)
	v_cndmask_b32_e64 v10, v1, v8, s3
.LBB102_10:
	s_or_b32 exec_lo, exec_lo, s5
	v_and_b32_e32 v0, 8, v6
	v_and_b32_e32 v6, 4, v6
	v_mad_u32_u24 v12, v5, 17, v2
	s_mov_b32 s5, 0
	s_mov_b32 s4, exec_lo
	v_min_i32_e32 v8, v4, v0
	v_min_i32_e32 v6, v4, v6
	; wave barrier
	ds_store_b32 v12, v10
	v_add_nc_u32_e32 v0, 4, v8
	; wave barrier
	s_delay_alu instid0(VALU_DEP_1) | instskip(NEXT) | instid1(VALU_DEP_1)
	v_min_i32_e32 v1, v4, v0
	v_add_nc_u32_e32 v0, 4, v1
	v_sub_nc_u32_e32 v11, v1, v8
	s_delay_alu instid0(VALU_DEP_2) | instskip(NEXT) | instid1(VALU_DEP_2)
	v_min_i32_e32 v7, v4, v0
	v_min_i32_e32 v11, v6, v11
	s_delay_alu instid0(VALU_DEP_2) | instskip(NEXT) | instid1(VALU_DEP_1)
	v_sub_nc_u32_e32 v0, v7, v1
	v_sub_nc_u32_e32 v9, v6, v0
	v_cmp_ge_i32_e64 s3, v6, v0
	v_mul_u32_u24_e32 v0, 17, v5
	s_delay_alu instid0(VALU_DEP_2) | instskip(NEXT) | instid1(VALU_DEP_1)
	v_cndmask_b32_e64 v9, 0, v9, s3
	v_cmpx_lt_i32_e64 v9, v11
	s_cbranch_execz .LBB102_14
; %bb.11:
	s_delay_alu instid0(VALU_DEP_3)
	v_add_nc_u32_e32 v5, v0, v8
	v_add3_u32 v10, v0, v1, v6
	.p2align	6
.LBB102_12:                             ; =>This Inner Loop Header: Depth=1
	v_sub_nc_u32_e32 v12, v11, v9
	s_delay_alu instid0(VALU_DEP_1) | instskip(NEXT) | instid1(VALU_DEP_1)
	v_lshrrev_b32_e32 v13, 31, v12
	v_add_nc_u32_e32 v12, v12, v13
	s_delay_alu instid0(VALU_DEP_1) | instskip(NEXT) | instid1(VALU_DEP_1)
	v_ashrrev_i32_e32 v12, 1, v12
	v_add_nc_u32_e32 v12, v12, v9
	s_delay_alu instid0(VALU_DEP_1)
	v_add_nc_u32_e32 v13, v5, v12
	v_xad_u32 v14, v12, -1, v10
	v_add_nc_u32_e32 v15, 1, v12
	ds_load_u8 v13, v13
	ds_load_u8 v14, v14
	s_waitcnt lgkmcnt(0)
	v_cmp_lt_u16_e64 s3, v14, v13
	s_delay_alu instid0(VALU_DEP_1) | instskip(SKIP_1) | instid1(VALU_DEP_1)
	v_cndmask_b32_e64 v11, v11, v12, s3
	v_cndmask_b32_e64 v9, v15, v9, s3
	v_cmp_ge_i32_e64 s3, v9, v11
	s_delay_alu instid0(VALU_DEP_1) | instskip(NEXT) | instid1(SALU_CYCLE_1)
	s_or_b32 s5, s3, s5
	s_and_not1_b32 exec_lo, exec_lo, s5
	s_cbranch_execnz .LBB102_12
; %bb.13:
	s_or_b32 exec_lo, exec_lo, s5
.LBB102_14:
	s_delay_alu instid0(SALU_CYCLE_1) | instskip(SKIP_2) | instid1(VALU_DEP_2)
	s_or_b32 exec_lo, exec_lo, s4
	v_add_nc_u32_e32 v5, v1, v6
	v_add_nc_u32_e32 v11, v9, v8
	v_sub_nc_u32_e32 v5, v5, v9
	s_delay_alu instid0(VALU_DEP_2) | instskip(SKIP_1) | instid1(VALU_DEP_3)
	v_add_nc_u32_e32 v13, v0, v11
	v_cmp_le_i32_e64 s3, v1, v11
	v_add_nc_u32_e32 v12, v0, v5
	v_cmp_gt_i32_e64 s5, v7, v5
	ds_load_u8 v6, v13
	ds_load_u8 v8, v12
	s_waitcnt lgkmcnt(1)
	v_and_b32_e32 v9, 0xff, v6
	s_waitcnt lgkmcnt(0)
	v_and_b32_e32 v10, 0xff, v8
	s_delay_alu instid0(VALU_DEP_1) | instskip(NEXT) | instid1(VALU_DEP_1)
	v_cmp_lt_u16_e64 s4, v10, v9
                                        ; implicit-def: $vgpr9
                                        ; implicit-def: $vgpr10
	s_or_b32 s3, s3, s4
	s_delay_alu instid0(SALU_CYCLE_1) | instskip(NEXT) | instid1(SALU_CYCLE_1)
	s_and_b32 s3, s5, s3
	s_xor_b32 s4, s3, -1
	s_delay_alu instid0(SALU_CYCLE_1) | instskip(NEXT) | instid1(SALU_CYCLE_1)
	s_and_saveexec_b32 s5, s4
	s_xor_b32 s4, exec_lo, s5
	s_cbranch_execz .LBB102_16
; %bb.15:
	ds_load_u8 v10, v13 offset:1
	v_mov_b32_e32 v9, v8
                                        ; implicit-def: $vgpr12
.LBB102_16:
	s_and_not1_saveexec_b32 s4, s4
	s_cbranch_execz .LBB102_18
; %bb.17:
	ds_load_u8 v9, v12 offset:1
	s_waitcnt lgkmcnt(1)
	v_mov_b32_e32 v10, v6
.LBB102_18:
	s_or_b32 exec_lo, exec_lo, s4
	v_add_nc_u32_e32 v12, 1, v11
	v_add_nc_u32_e32 v13, 1, v5
	s_waitcnt lgkmcnt(0)
	v_and_b32_e32 v14, 0xff, v10
	s_delay_alu instid0(VALU_DEP_3) | instskip(SKIP_2) | instid1(VALU_DEP_3)
	v_cndmask_b32_e64 v12, v12, v11, s3
	v_and_b32_e32 v11, 0xff, v9
	v_cndmask_b32_e64 v5, v5, v13, s3
	v_cmp_ge_i32_e64 s4, v12, v1
	s_delay_alu instid0(VALU_DEP_3) | instskip(NEXT) | instid1(VALU_DEP_3)
	v_cmp_lt_u16_e64 s5, v11, v14
	v_cmp_lt_i32_e64 s6, v5, v7
                                        ; implicit-def: $vgpr11
	s_delay_alu instid0(VALU_DEP_2)
	s_or_b32 s4, s4, s5
	s_delay_alu instid0(VALU_DEP_1) | instid1(SALU_CYCLE_1)
	s_and_b32 s4, s6, s4
	s_delay_alu instid0(SALU_CYCLE_1) | instskip(NEXT) | instid1(SALU_CYCLE_1)
	s_xor_b32 s5, s4, -1
	s_and_saveexec_b32 s6, s5
	s_delay_alu instid0(SALU_CYCLE_1)
	s_xor_b32 s5, exec_lo, s6
	s_cbranch_execz .LBB102_20
; %bb.19:
	v_add_nc_u32_e32 v11, v0, v12
	ds_load_u8 v11, v11 offset:1
.LBB102_20:
	s_or_saveexec_b32 s5, s5
	v_mov_b32_e32 v13, v9
	s_xor_b32 exec_lo, exec_lo, s5
	s_cbranch_execz .LBB102_22
; %bb.21:
	s_waitcnt lgkmcnt(0)
	v_add_nc_u32_e32 v11, v0, v5
	ds_load_u8 v13, v11 offset:1
	v_mov_b32_e32 v11, v10
.LBB102_22:
	s_or_b32 exec_lo, exec_lo, s5
	v_add_nc_u32_e32 v14, 1, v12
	v_add_nc_u32_e32 v15, 1, v5
	s_waitcnt lgkmcnt(0)
	v_and_b32_e32 v17, 0xff, v11
	s_delay_alu instid0(VALU_DEP_3) | instskip(SKIP_2) | instid1(VALU_DEP_3)
	v_cndmask_b32_e64 v14, v14, v12, s4
	v_and_b32_e32 v12, 0xff, v13
	v_cndmask_b32_e64 v16, v5, v15, s4
                                        ; implicit-def: $vgpr15
	v_cmp_ge_i32_e64 s5, v14, v1
	s_delay_alu instid0(VALU_DEP_3) | instskip(NEXT) | instid1(VALU_DEP_3)
	v_cmp_lt_u16_e64 s6, v12, v17
	v_cmp_lt_i32_e64 s7, v16, v7
	s_delay_alu instid0(VALU_DEP_2)
	s_or_b32 s5, s5, s6
	s_delay_alu instid0(VALU_DEP_1) | instid1(SALU_CYCLE_1)
	s_and_b32 s5, s7, s5
	s_delay_alu instid0(SALU_CYCLE_1) | instskip(NEXT) | instid1(SALU_CYCLE_1)
	s_xor_b32 s6, s5, -1
	s_and_saveexec_b32 s7, s6
	s_delay_alu instid0(SALU_CYCLE_1)
	s_xor_b32 s6, exec_lo, s7
	s_cbranch_execz .LBB102_24
; %bb.23:
	v_add_nc_u32_e32 v5, v0, v14
	ds_load_u8 v15, v5 offset:1
.LBB102_24:
	s_or_saveexec_b32 s6, s6
	v_mov_b32_e32 v17, v13
	s_xor_b32 exec_lo, exec_lo, s6
	s_cbranch_execz .LBB102_26
; %bb.25:
	v_add_nc_u32_e32 v5, v0, v16
	s_waitcnt lgkmcnt(0)
	v_mov_b32_e32 v15, v11
	ds_load_u8 v17, v5 offset:1
.LBB102_26:
	s_or_b32 exec_lo, exec_lo, s6
	v_min_i32_e32 v12, 0, v4
	v_add_nc_u32_e32 v19, 1, v14
	v_cndmask_b32_e64 v8, v6, v8, s3
	v_cndmask_b32_e64 v11, v11, v13, s5
	v_add_nc_u32_e32 v13, 1, v16
	v_add_nc_u32_e32 v5, 8, v12
	v_cndmask_b32_e64 v9, v10, v9, s4
	s_waitcnt lgkmcnt(0)
	v_and_b32_e32 v10, 0xff, v15
	v_cndmask_b32_e64 v14, v19, v14, s5
	v_cndmask_b32_e64 v13, v16, v13, s5
	v_min_i32_e32 v5, v4, v5
	v_add_nc_u32_e32 v20, v0, v2
	s_delay_alu instid0(VALU_DEP_4) | instskip(NEXT) | instid1(VALU_DEP_4)
	v_cmp_ge_i32_e64 s4, v14, v1
	v_cmp_lt_i32_e64 s5, v13, v7
	s_delay_alu instid0(VALU_DEP_4) | instskip(SKIP_1) | instid1(VALU_DEP_2)
	v_add_nc_u32_e32 v18, 8, v5
	v_sub_nc_u32_e32 v16, v5, v12
	; wave barrier
	v_min_i32_e32 v6, v4, v18
	v_and_b32_e32 v18, 0xff, v17
	v_min_i32_e32 v4, v4, v2
	s_delay_alu instid0(VALU_DEP_3) | instskip(NEXT) | instid1(VALU_DEP_3)
	v_sub_nc_u32_e32 v21, v6, v5
	v_cmp_lt_u16_e64 s3, v18, v10
	s_delay_alu instid0(VALU_DEP_3) | instskip(NEXT) | instid1(VALU_DEP_3)
	v_min_i32_e32 v7, v4, v16
	v_sub_nc_u32_e32 v10, v4, v21
	v_cmp_ge_i32_e64 s6, v4, v21
	s_delay_alu instid0(VALU_DEP_4)
	s_or_b32 s3, s4, s3
	s_mov_b32 s4, exec_lo
	s_and_b32 s3, s5, s3
	s_mov_b32 s5, 0
	v_cndmask_b32_e64 v1, 0, v10, s6
	v_cndmask_b32_e64 v10, v15, v17, s3
	ds_store_b8 v20, v8
	ds_store_b8 v20, v9 offset:1
	ds_store_b8 v20, v11 offset:2
	ds_store_b8 v20, v10 offset:3
	; wave barrier
	v_cmpx_lt_i32_e64 v1, v7
	s_cbranch_execz .LBB102_30
; %bb.27:
	v_add_nc_u32_e32 v8, v0, v12
	v_add3_u32 v9, v0, v5, v4
	.p2align	6
.LBB102_28:                             ; =>This Inner Loop Header: Depth=1
	v_sub_nc_u32_e32 v10, v7, v1
	s_delay_alu instid0(VALU_DEP_1) | instskip(NEXT) | instid1(VALU_DEP_1)
	v_lshrrev_b32_e32 v11, 31, v10
	v_add_nc_u32_e32 v10, v10, v11
	s_delay_alu instid0(VALU_DEP_1) | instskip(NEXT) | instid1(VALU_DEP_1)
	v_ashrrev_i32_e32 v10, 1, v10
	v_add_nc_u32_e32 v10, v10, v1
	s_delay_alu instid0(VALU_DEP_1)
	v_add_nc_u32_e32 v11, v8, v10
	v_xad_u32 v13, v10, -1, v9
	v_add_nc_u32_e32 v14, 1, v10
	ds_load_u8 v11, v11
	ds_load_u8 v13, v13
	s_waitcnt lgkmcnt(0)
	v_cmp_lt_u16_e64 s3, v13, v11
	s_delay_alu instid0(VALU_DEP_1) | instskip(SKIP_1) | instid1(VALU_DEP_1)
	v_cndmask_b32_e64 v7, v7, v10, s3
	v_cndmask_b32_e64 v1, v14, v1, s3
	v_cmp_ge_i32_e64 s3, v1, v7
	s_delay_alu instid0(VALU_DEP_1) | instskip(NEXT) | instid1(SALU_CYCLE_1)
	s_or_b32 s5, s3, s5
	s_and_not1_b32 exec_lo, exec_lo, s5
	s_cbranch_execnz .LBB102_28
; %bb.29:
	s_or_b32 exec_lo, exec_lo, s5
.LBB102_30:
	s_delay_alu instid0(SALU_CYCLE_1) | instskip(SKIP_2) | instid1(VALU_DEP_2)
	s_or_b32 exec_lo, exec_lo, s4
	v_add_nc_u32_e32 v4, v5, v4
	v_add_nc_u32_e32 v10, v1, v12
	v_sub_nc_u32_e32 v1, v4, v1
	s_delay_alu instid0(VALU_DEP_2) | instskip(SKIP_1) | instid1(VALU_DEP_3)
	v_add_nc_u32_e32 v12, v0, v10
	v_cmp_le_i32_e64 s3, v5, v10
	v_add_nc_u32_e32 v11, v0, v1
	v_cmp_gt_i32_e64 s5, v6, v1
	ds_load_u8 v4, v12
	ds_load_u8 v7, v11
	s_waitcnt lgkmcnt(1)
	v_and_b32_e32 v8, 0xff, v4
	s_waitcnt lgkmcnt(0)
	v_and_b32_e32 v9, 0xff, v7
	s_delay_alu instid0(VALU_DEP_1) | instskip(NEXT) | instid1(VALU_DEP_1)
	v_cmp_lt_u16_e64 s4, v9, v8
                                        ; implicit-def: $vgpr8
                                        ; implicit-def: $vgpr9
	s_or_b32 s3, s3, s4
	s_delay_alu instid0(SALU_CYCLE_1) | instskip(NEXT) | instid1(SALU_CYCLE_1)
	s_and_b32 s3, s5, s3
	s_xor_b32 s4, s3, -1
	s_delay_alu instid0(SALU_CYCLE_1) | instskip(NEXT) | instid1(SALU_CYCLE_1)
	s_and_saveexec_b32 s5, s4
	s_xor_b32 s4, exec_lo, s5
	s_cbranch_execz .LBB102_32
; %bb.31:
	ds_load_u8 v9, v12 offset:1
	v_mov_b32_e32 v8, v7
                                        ; implicit-def: $vgpr11
.LBB102_32:
	s_and_not1_saveexec_b32 s4, s4
	s_cbranch_execz .LBB102_34
; %bb.33:
	ds_load_u8 v8, v11 offset:1
	s_waitcnt lgkmcnt(1)
	v_mov_b32_e32 v9, v4
.LBB102_34:
	s_or_b32 exec_lo, exec_lo, s4
	v_add_nc_u32_e32 v11, 1, v10
	v_add_nc_u32_e32 v13, 1, v1
	s_waitcnt lgkmcnt(0)
	v_and_b32_e32 v14, 0xff, v9
	s_delay_alu instid0(VALU_DEP_3) | instskip(SKIP_2) | instid1(VALU_DEP_3)
	v_cndmask_b32_e64 v12, v11, v10, s3
	v_and_b32_e32 v10, 0xff, v8
	v_cndmask_b32_e64 v1, v1, v13, s3
	v_cmp_ge_i32_e64 s4, v12, v5
	s_delay_alu instid0(VALU_DEP_3) | instskip(NEXT) | instid1(VALU_DEP_3)
	v_cmp_lt_u16_e64 s5, v10, v14
	v_cmp_lt_i32_e64 s6, v1, v6
                                        ; implicit-def: $vgpr10
	s_delay_alu instid0(VALU_DEP_2)
	s_or_b32 s4, s4, s5
	s_delay_alu instid0(VALU_DEP_1) | instid1(SALU_CYCLE_1)
	s_and_b32 s4, s6, s4
	s_delay_alu instid0(SALU_CYCLE_1) | instskip(NEXT) | instid1(SALU_CYCLE_1)
	s_xor_b32 s5, s4, -1
	s_and_saveexec_b32 s6, s5
	s_delay_alu instid0(SALU_CYCLE_1)
	s_xor_b32 s5, exec_lo, s6
	s_cbranch_execz .LBB102_36
; %bb.35:
	v_add_nc_u32_e32 v10, v0, v12
	ds_load_u8 v10, v10 offset:1
.LBB102_36:
	s_or_saveexec_b32 s5, s5
	v_mov_b32_e32 v11, v8
	s_xor_b32 exec_lo, exec_lo, s5
	s_cbranch_execz .LBB102_38
; %bb.37:
	s_waitcnt lgkmcnt(0)
	v_add_nc_u32_e32 v10, v0, v1
	ds_load_u8 v11, v10 offset:1
	v_mov_b32_e32 v10, v9
.LBB102_38:
	s_or_b32 exec_lo, exec_lo, s5
	v_add_nc_u32_e32 v13, 1, v12
	v_add_nc_u32_e32 v14, 1, v1
	s_waitcnt lgkmcnt(0)
	v_and_b32_e32 v15, 0xff, v10
	s_delay_alu instid0(VALU_DEP_3) | instskip(SKIP_2) | instid1(VALU_DEP_3)
	v_cndmask_b32_e64 v16, v13, v12, s4
	v_and_b32_e32 v13, 0xff, v11
	v_cndmask_b32_e64 v12, v1, v14, s4
                                        ; implicit-def: $vgpr14
	v_cmp_ge_i32_e64 s5, v16, v5
	s_delay_alu instid0(VALU_DEP_3) | instskip(NEXT) | instid1(VALU_DEP_3)
	v_cmp_lt_u16_e64 s6, v13, v15
	v_cmp_lt_i32_e64 s7, v12, v6
                                        ; implicit-def: $vgpr13
	s_delay_alu instid0(VALU_DEP_2)
	s_or_b32 s5, s5, s6
	s_delay_alu instid0(VALU_DEP_1) | instid1(SALU_CYCLE_1)
	s_and_b32 s5, s7, s5
	s_delay_alu instid0(SALU_CYCLE_1) | instskip(NEXT) | instid1(SALU_CYCLE_1)
	s_xor_b32 s6, s5, -1
	s_and_saveexec_b32 s7, s6
	s_delay_alu instid0(SALU_CYCLE_1)
	s_xor_b32 s6, exec_lo, s7
	s_cbranch_execz .LBB102_40
; %bb.39:
	v_add_nc_u32_e32 v0, v0, v16
	v_add_nc_u32_e32 v14, 1, v16
                                        ; implicit-def: $vgpr16
	ds_load_u8 v13, v0 offset:1
                                        ; implicit-def: $vgpr0
.LBB102_40:
	s_or_saveexec_b32 s6, s6
	v_mov_b32_e32 v15, v11
	s_xor_b32 exec_lo, exec_lo, s6
	s_cbranch_execz .LBB102_42
; %bb.41:
	s_waitcnt lgkmcnt(0)
	v_dual_mov_b32 v13, v10 :: v_dual_add_nc_u32 v0, v0, v12
	v_add_nc_u32_e32 v12, 1, v12
	v_mov_b32_e32 v14, v16
	ds_load_u8 v15, v0 offset:1
.LBB102_42:
	s_or_b32 exec_lo, exec_lo, s6
	v_add_co_u32 v0, s6, s10, v3
	s_delay_alu instid0(VALU_DEP_1) | instskip(NEXT) | instid1(VALU_DEP_2)
	v_add_co_ci_u32_e64 v1, null, s11, 0, s6
	v_add_co_u32 v0, s6, v0, v2
	s_delay_alu instid0(VALU_DEP_1)
	v_add_co_ci_u32_e64 v1, s6, 0, v1, s6
	s_and_saveexec_b32 s6, vcc_lo
	s_cbranch_execnz .LBB102_47
; %bb.43:
	s_or_b32 exec_lo, exec_lo, s6
	s_and_saveexec_b32 s3, s0
	s_cbranch_execnz .LBB102_48
.LBB102_44:
	s_or_b32 exec_lo, exec_lo, s3
	s_and_saveexec_b32 s0, s1
	s_cbranch_execnz .LBB102_49
.LBB102_45:
	s_or_b32 exec_lo, exec_lo, s0
	s_and_saveexec_b32 s0, s2
	s_cbranch_execnz .LBB102_50
.LBB102_46:
	s_nop 0
	s_sendmsg sendmsg(MSG_DEALLOC_VGPRS)
	s_endpgm
.LBB102_47:
	v_cndmask_b32_e64 v2, v4, v7, s3
	global_store_b8 v[0:1], v2, off
	s_or_b32 exec_lo, exec_lo, s6
	s_and_saveexec_b32 s3, s0
	s_cbranch_execz .LBB102_44
.LBB102_48:
	v_cndmask_b32_e64 v2, v9, v8, s4
	global_store_b8 v[0:1], v2, off offset:1
	s_or_b32 exec_lo, exec_lo, s3
	s_and_saveexec_b32 s0, s1
	s_cbranch_execz .LBB102_45
.LBB102_49:
	v_cndmask_b32_e64 v2, v10, v11, s5
	global_store_b8 v[0:1], v2, off offset:2
	s_or_b32 exec_lo, exec_lo, s0
	s_and_saveexec_b32 s0, s2
	s_cbranch_execz .LBB102_46
.LBB102_50:
	s_waitcnt lgkmcnt(0)
	v_and_b32_e32 v2, 0xff, v13
	v_and_b32_e32 v3, 0xff, v15
	v_cmp_ge_i32_e32 vcc_lo, v14, v5
	v_cmp_lt_i32_e64 s1, v12, v6
	s_delay_alu instid0(VALU_DEP_3) | instskip(NEXT) | instid1(VALU_DEP_1)
	v_cmp_lt_u16_e64 s0, v3, v2
	s_or_b32 s0, vcc_lo, s0
	s_delay_alu instid0(VALU_DEP_2) | instid1(SALU_CYCLE_1)
	s_and_b32 vcc_lo, s1, s0
	v_cndmask_b32_e32 v2, v13, v15, vcc_lo
	global_store_b8 v[0:1], v2, off offset:3
	s_nop 0
	s_sendmsg sendmsg(MSG_DEALLOC_VGPRS)
	s_endpgm
	.section	.rodata,"a",@progbits
	.p2align	6, 0x0
	.amdhsa_kernel _Z19sort_keys_segmentedILj256ELj4ELj4EhN10test_utils4lessEEvPKT2_PS2_PKjT3_
		.amdhsa_group_segment_fixed_size 1088
		.amdhsa_private_segment_fixed_size 0
		.amdhsa_kernarg_size 28
		.amdhsa_user_sgpr_count 15
		.amdhsa_user_sgpr_dispatch_ptr 0
		.amdhsa_user_sgpr_queue_ptr 0
		.amdhsa_user_sgpr_kernarg_segment_ptr 1
		.amdhsa_user_sgpr_dispatch_id 0
		.amdhsa_user_sgpr_private_segment_size 0
		.amdhsa_wavefront_size32 1
		.amdhsa_uses_dynamic_stack 0
		.amdhsa_enable_private_segment 0
		.amdhsa_system_sgpr_workgroup_id_x 1
		.amdhsa_system_sgpr_workgroup_id_y 0
		.amdhsa_system_sgpr_workgroup_id_z 0
		.amdhsa_system_sgpr_workgroup_info 0
		.amdhsa_system_vgpr_workitem_id 0
		.amdhsa_next_free_vgpr 22
		.amdhsa_next_free_sgpr 16
		.amdhsa_reserve_vcc 1
		.amdhsa_float_round_mode_32 0
		.amdhsa_float_round_mode_16_64 0
		.amdhsa_float_denorm_mode_32 3
		.amdhsa_float_denorm_mode_16_64 3
		.amdhsa_dx10_clamp 1
		.amdhsa_ieee_mode 1
		.amdhsa_fp16_overflow 0
		.amdhsa_workgroup_processor_mode 1
		.amdhsa_memory_ordered 1
		.amdhsa_forward_progress 0
		.amdhsa_shared_vgpr_count 0
		.amdhsa_exception_fp_ieee_invalid_op 0
		.amdhsa_exception_fp_denorm_src 0
		.amdhsa_exception_fp_ieee_div_zero 0
		.amdhsa_exception_fp_ieee_overflow 0
		.amdhsa_exception_fp_ieee_underflow 0
		.amdhsa_exception_fp_ieee_inexact 0
		.amdhsa_exception_int_div_zero 0
	.end_amdhsa_kernel
	.section	.text._Z19sort_keys_segmentedILj256ELj4ELj4EhN10test_utils4lessEEvPKT2_PS2_PKjT3_,"axG",@progbits,_Z19sort_keys_segmentedILj256ELj4ELj4EhN10test_utils4lessEEvPKT2_PS2_PKjT3_,comdat
.Lfunc_end102:
	.size	_Z19sort_keys_segmentedILj256ELj4ELj4EhN10test_utils4lessEEvPKT2_PS2_PKjT3_, .Lfunc_end102-_Z19sort_keys_segmentedILj256ELj4ELj4EhN10test_utils4lessEEvPKT2_PS2_PKjT3_
                                        ; -- End function
	.section	.AMDGPU.csdata,"",@progbits
; Kernel info:
; codeLenInByte = 2908
; NumSgprs: 18
; NumVgprs: 22
; ScratchSize: 0
; MemoryBound: 0
; FloatMode: 240
; IeeeMode: 1
; LDSByteSize: 1088 bytes/workgroup (compile time only)
; SGPRBlocks: 2
; VGPRBlocks: 2
; NumSGPRsForWavesPerEU: 18
; NumVGPRsForWavesPerEU: 22
; Occupancy: 16
; WaveLimiterHint : 0
; COMPUTE_PGM_RSRC2:SCRATCH_EN: 0
; COMPUTE_PGM_RSRC2:USER_SGPR: 15
; COMPUTE_PGM_RSRC2:TRAP_HANDLER: 0
; COMPUTE_PGM_RSRC2:TGID_X_EN: 1
; COMPUTE_PGM_RSRC2:TGID_Y_EN: 0
; COMPUTE_PGM_RSRC2:TGID_Z_EN: 0
; COMPUTE_PGM_RSRC2:TIDIG_COMP_CNT: 0
	.section	.text._Z20sort_pairs_segmentedILj256ELj4ELj4EhN10test_utils4lessEEvPKT2_PS2_PKjT3_,"axG",@progbits,_Z20sort_pairs_segmentedILj256ELj4ELj4EhN10test_utils4lessEEvPKT2_PS2_PKjT3_,comdat
	.protected	_Z20sort_pairs_segmentedILj256ELj4ELj4EhN10test_utils4lessEEvPKT2_PS2_PKjT3_ ; -- Begin function _Z20sort_pairs_segmentedILj256ELj4ELj4EhN10test_utils4lessEEvPKT2_PS2_PKjT3_
	.globl	_Z20sort_pairs_segmentedILj256ELj4ELj4EhN10test_utils4lessEEvPKT2_PS2_PKjT3_
	.p2align	8
	.type	_Z20sort_pairs_segmentedILj256ELj4ELj4EhN10test_utils4lessEEvPKT2_PS2_PKjT3_,@function
_Z20sort_pairs_segmentedILj256ELj4ELj4EhN10test_utils4lessEEvPKT2_PS2_PKjT3_: ; @_Z20sort_pairs_segmentedILj256ELj4ELj4EhN10test_utils4lessEEvPKT2_PS2_PKjT3_
; %bb.0:
	s_clause 0x1
	s_load_b64 s[2:3], s[0:1], 0x10
	s_load_b128 s[8:11], s[0:1], 0x0
	v_lshrrev_b32_e32 v5, 2, v0
	v_mov_b32_e32 v1, 0
                                        ; implicit-def: $vgpr10
	s_delay_alu instid0(VALU_DEP_2) | instskip(NEXT) | instid1(VALU_DEP_1)
	v_lshl_or_b32 v0, s15, 6, v5
	v_lshlrev_b64 v[1:2], 2, v[0:1]
	v_lshlrev_b32_e32 v3, 4, v0
	s_waitcnt lgkmcnt(0)
	s_delay_alu instid0(VALU_DEP_2) | instskip(NEXT) | instid1(VALU_DEP_3)
	v_add_co_u32 v1, vcc_lo, s2, v1
	v_add_co_ci_u32_e32 v2, vcc_lo, s3, v2, vcc_lo
	s_delay_alu instid0(VALU_DEP_3) | instskip(SKIP_2) | instid1(VALU_DEP_1)
	v_add_co_u32 v0, s0, s8, v3
	global_load_b32 v4, v[1:2], off
	v_mbcnt_lo_u32_b32 v1, -1, 0
	v_lshlrev_b32_e32 v6, 2, v1
	v_add_co_ci_u32_e64 v1, null, s9, 0, s0
	s_delay_alu instid0(VALU_DEP_2) | instskip(NEXT) | instid1(VALU_DEP_1)
	v_and_b32_e32 v2, 12, v6
	v_add_co_u32 v0, vcc_lo, v0, v2
	s_delay_alu instid0(VALU_DEP_3)
	v_add_co_ci_u32_e32 v1, vcc_lo, 0, v1, vcc_lo
	s_waitcnt vmcnt(0)
	v_cmp_lt_u32_e32 vcc_lo, v2, v4
	s_and_saveexec_b32 s0, vcc_lo
	s_cbranch_execz .LBB103_2
; %bb.1:
	global_load_u8 v10, v[0:1], off
.LBB103_2:
	s_or_b32 exec_lo, exec_lo, s0
	v_or_b32_e32 v7, 1, v2
                                        ; implicit-def: $vgpr12
	s_delay_alu instid0(VALU_DEP_1) | instskip(NEXT) | instid1(VALU_DEP_1)
	v_cmp_lt_u32_e64 s0, v7, v4
	s_and_saveexec_b32 s1, s0
	s_cbranch_execz .LBB103_4
; %bb.3:
	global_load_u8 v12, v[0:1], off offset:1
.LBB103_4:
	s_or_b32 exec_lo, exec_lo, s1
	v_or_b32_e32 v8, 2, v2
                                        ; implicit-def: $vgpr11
	s_delay_alu instid0(VALU_DEP_1) | instskip(NEXT) | instid1(VALU_DEP_1)
	v_cmp_lt_u32_e64 s1, v8, v4
	s_and_saveexec_b32 s2, s1
	s_cbranch_execz .LBB103_6
; %bb.5:
	global_load_u8 v11, v[0:1], off offset:2
.LBB103_6:
	s_or_b32 exec_lo, exec_lo, s2
	v_or_b32_e32 v9, 3, v2
                                        ; implicit-def: $vgpr13
	s_delay_alu instid0(VALU_DEP_1) | instskip(NEXT) | instid1(VALU_DEP_1)
	v_cmp_lt_u32_e64 s2, v9, v4
	s_and_saveexec_b32 s3, s2
	s_cbranch_execz .LBB103_8
; %bb.7:
	global_load_u8 v13, v[0:1], off offset:3
.LBB103_8:
	s_or_b32 exec_lo, exec_lo, s3
	s_waitcnt vmcnt(0)
	v_and_b32_e32 v0, 0xff, v10
	v_lshlrev_b16 v1, 8, v12
	v_and_b32_e32 v12, 0xff, v11
	v_add_nc_u16 v10, v10, 1
	v_lshlrev_b16 v13, 8, v13
	v_add_nc_u16 v11, v11, 1
	v_or_b32_e32 v14, v0, v1
	v_or_b32_e32 v0, 0xffffff00, v0
	v_and_b32_e32 v10, 0xff, v10
	v_or_b32_e32 v12, v12, v13
	v_cmp_lt_i32_e64 s3, v7, v4
	v_and_b32_e32 v14, 0xffff, v14
	v_and_b32_e32 v0, 0xffff, v0
	v_or_b32_e32 v1, v1, v10
	v_lshlrev_b32_e32 v12, 16, v12
	v_and_b32_e32 v11, 0xff, v11
	v_and_b32_e32 v10, 0xffff, v10
	s_mov_b32 s4, exec_lo
	v_add_nc_u16 v1, v1, 0x100
	v_or_b32_e32 v14, v14, v12
	v_or_b32_e32 v0, v0, v12
	v_lshlrev_b32_e32 v7, 16, v11
	s_delay_alu instid0(VALU_DEP_4) | instskip(NEXT) | instid1(VALU_DEP_3)
	v_and_b32_e32 v1, 0xffff, v1
	v_cndmask_b32_e64 v0, v0, v14, s3
	v_cmp_lt_i32_e64 s3, v8, v4
	s_delay_alu instid0(VALU_DEP_3) | instskip(NEXT) | instid1(VALU_DEP_3)
	v_cndmask_b32_e64 v1, v10, v1, s0
	v_lshrrev_b32_e32 v10, 16, v0
	s_delay_alu instid0(VALU_DEP_2) | instskip(NEXT) | instid1(VALU_DEP_2)
	v_or_b32_e32 v7, v1, v7
	v_or_b32_e32 v10, 0xff, v10
	s_delay_alu instid0(VALU_DEP_2) | instskip(NEXT) | instid1(VALU_DEP_2)
	v_cndmask_b32_e64 v1, v1, v7, s1
	v_lshlrev_b32_e32 v7, 16, v10
	s_delay_alu instid0(VALU_DEP_2) | instskip(NEXT) | instid1(VALU_DEP_2)
	v_lshrrev_b32_e32 v10, 16, v1
	v_and_or_b32 v0, 0xffff, v0, v7
	s_delay_alu instid0(VALU_DEP_2) | instskip(NEXT) | instid1(VALU_DEP_2)
	v_and_b32_e32 v7, 0xff, v10
	v_cndmask_b32_e64 v0, v0, v14, s3
	v_cmp_lt_i32_e64 s3, v9, v4
	s_delay_alu instid0(VALU_DEP_3) | instskip(NEXT) | instid1(VALU_DEP_3)
	v_or_b32_e32 v7, v13, v7
	v_lshrrev_b32_e32 v8, 16, v0
	s_delay_alu instid0(VALU_DEP_2) | instskip(NEXT) | instid1(VALU_DEP_2)
	v_add_nc_u16 v7, v7, 0x100
	v_or_b32_e32 v8, 0xffffff00, v8
	s_delay_alu instid0(VALU_DEP_2) | instskip(NEXT) | instid1(VALU_DEP_2)
	v_lshlrev_b32_e32 v7, 16, v7
	v_lshlrev_b32_e32 v8, 16, v8
	s_delay_alu instid0(VALU_DEP_2) | instskip(NEXT) | instid1(VALU_DEP_2)
	v_and_or_b32 v7, 0xffff, v1, v7
	v_and_or_b32 v0, 0xffff, v0, v8
	s_delay_alu instid0(VALU_DEP_2) | instskip(NEXT) | instid1(VALU_DEP_2)
	v_cndmask_b32_e64 v1, v1, v7, s2
	v_cndmask_b32_e64 v11, v0, v14, s3
	v_cmpx_lt_i32_e64 v2, v4
	s_cbranch_execz .LBB103_10
; %bb.9:
	s_delay_alu instid0(VALU_DEP_2) | instskip(SKIP_3) | instid1(VALU_DEP_4)
	v_lshrrev_b32_e32 v0, 8, v11
	v_and_b32_e32 v7, 0xff, v11
	v_perm_b32 v8, v1, v1, 0x7060405
	v_perm_b32 v9, v11, v11, 0x7060405
	v_and_b32_e32 v0, 0xff, v0
	s_delay_alu instid0(VALU_DEP_1) | instskip(NEXT) | instid1(VALU_DEP_1)
	v_cmp_lt_u16_e64 s3, v0, v7
	v_cndmask_b32_e64 v0, v1, v8, s3
	s_delay_alu instid0(VALU_DEP_4) | instskip(NEXT) | instid1(VALU_DEP_2)
	v_cndmask_b32_e64 v1, v11, v9, s3
	v_lshrrev_b32_e32 v7, 16, v0
	s_delay_alu instid0(VALU_DEP_2) | instskip(SKIP_1) | instid1(VALU_DEP_3)
	v_lshrrev_b32_e32 v8, 16, v1
	v_lshrrev_b32_e32 v10, 24, v1
	v_perm_b32 v7, 0, v7, 0xc0c0001
	s_delay_alu instid0(VALU_DEP_3) | instskip(SKIP_1) | instid1(VALU_DEP_3)
	v_perm_b32 v9, 0, v8, 0xc0c0001
	v_and_b32_e32 v8, 0xff, v8
	v_lshlrev_b32_e32 v7, 16, v7
	s_delay_alu instid0(VALU_DEP_3) | instskip(NEXT) | instid1(VALU_DEP_3)
	v_lshlrev_b32_e32 v9, 16, v9
	v_cmp_lt_u16_e64 s3, v10, v8
	s_delay_alu instid0(VALU_DEP_3) | instskip(NEXT) | instid1(VALU_DEP_3)
	v_and_or_b32 v7, 0xffff, v0, v7
	v_and_or_b32 v9, 0xffff, v1, v9
	s_delay_alu instid0(VALU_DEP_2) | instskip(NEXT) | instid1(VALU_DEP_2)
	v_cndmask_b32_e64 v0, v0, v7, s3
	v_cndmask_b32_e64 v1, v1, v9, s3
	v_min_u16 v7, v10, v8
	s_delay_alu instid0(VALU_DEP_2) | instskip(NEXT) | instid1(VALU_DEP_2)
	v_lshrrev_b32_e32 v8, 16, v1
	v_lshlrev_b16 v9, 8, v7
	v_lshrrev_b16 v10, 8, v1
	v_and_b32_e32 v11, 0xff, v1
	s_delay_alu instid0(VALU_DEP_4) | instskip(NEXT) | instid1(VALU_DEP_2)
	v_and_b32_e32 v8, 0xffffff00, v8
	v_or_b32_e32 v9, v11, v9
	v_perm_b32 v11, v0, v0, 0x7050604
	s_delay_alu instid0(VALU_DEP_3) | instskip(SKIP_1) | instid1(VALU_DEP_4)
	v_or_b32_e32 v8, v10, v8
	v_lshrrev_b32_e32 v10, 8, v1
	v_and_b32_e32 v9, 0xffff, v9
	s_delay_alu instid0(VALU_DEP_3) | instskip(NEXT) | instid1(VALU_DEP_3)
	v_lshlrev_b32_e32 v8, 16, v8
	v_and_b32_e32 v10, 0xff, v10
	s_delay_alu instid0(VALU_DEP_2) | instskip(NEXT) | instid1(VALU_DEP_2)
	v_or_b32_e32 v8, v9, v8
	v_cmp_lt_u16_e64 s3, v7, v10
	v_min_u16 v7, v7, v10
	s_delay_alu instid0(VALU_DEP_2) | instskip(SKIP_1) | instid1(VALU_DEP_2)
	v_cndmask_b32_e64 v1, v1, v8, s3
	v_cndmask_b32_e64 v0, v0, v11, s3
	v_lshlrev_b16 v8, 8, v1
	s_delay_alu instid0(VALU_DEP_2) | instskip(SKIP_1) | instid1(VALU_DEP_3)
	v_perm_b32 v9, 0, v0, 0xc0c0001
	v_and_b32_e32 v10, 0xff, v1
	v_or_b32_e32 v8, v7, v8
	s_delay_alu instid0(VALU_DEP_3) | instskip(NEXT) | instid1(VALU_DEP_3)
	v_and_or_b32 v9, 0xffff0000, v0, v9
	v_cmp_lt_u16_e64 s3, v7, v10
	s_delay_alu instid0(VALU_DEP_3) | instskip(NEXT) | instid1(VALU_DEP_2)
	v_and_b32_e32 v8, 0xffff, v8
	v_cndmask_b32_e64 v0, v0, v9, s3
	s_delay_alu instid0(VALU_DEP_2) | instskip(NEXT) | instid1(VALU_DEP_2)
	v_and_or_b32 v8, 0xffff0000, v1, v8
	v_lshrrev_b32_e32 v7, 16, v0
	s_delay_alu instid0(VALU_DEP_2) | instskip(NEXT) | instid1(VALU_DEP_2)
	v_cndmask_b32_e64 v1, v1, v8, s3
	v_perm_b32 v7, 0, v7, 0xc0c0001
	s_delay_alu instid0(VALU_DEP_2) | instskip(SKIP_1) | instid1(VALU_DEP_3)
	v_lshrrev_b32_e32 v8, 16, v1
	v_lshrrev_b32_e32 v10, 24, v1
	v_lshlrev_b32_e32 v7, 16, v7
	s_delay_alu instid0(VALU_DEP_3) | instskip(SKIP_1) | instid1(VALU_DEP_3)
	v_perm_b32 v9, 0, v8, 0xc0c0001
	v_and_b32_e32 v8, 0xff, v8
	v_and_or_b32 v7, 0xffff, v0, v7
	s_delay_alu instid0(VALU_DEP_3) | instskip(NEXT) | instid1(VALU_DEP_3)
	v_lshlrev_b32_e32 v9, 16, v9
	v_cmp_lt_u16_e64 s3, v10, v8
	s_delay_alu instid0(VALU_DEP_2) | instskip(NEXT) | instid1(VALU_DEP_2)
	v_and_or_b32 v9, 0xffff, v1, v9
	v_cndmask_b32_e64 v0, v0, v7, s3
	s_delay_alu instid0(VALU_DEP_2) | instskip(SKIP_1) | instid1(VALU_DEP_2)
	v_cndmask_b32_e64 v7, v1, v9, s3
	v_min_u16 v1, v10, v8
	v_lshrrev_b32_e32 v8, 16, v7
	s_delay_alu instid0(VALU_DEP_2) | instskip(SKIP_2) | instid1(VALU_DEP_4)
	v_lshlrev_b16 v9, 8, v1
	v_lshrrev_b16 v10, 8, v7
	v_and_b32_e32 v11, 0xff, v7
	v_and_b32_e32 v8, 0xffffff00, v8
	s_delay_alu instid0(VALU_DEP_2) | instskip(SKIP_1) | instid1(VALU_DEP_3)
	v_or_b32_e32 v9, v11, v9
	v_perm_b32 v11, v0, v0, 0x7050604
	v_or_b32_e32 v8, v10, v8
	v_lshrrev_b32_e32 v10, 8, v7
	s_delay_alu instid0(VALU_DEP_4) | instskip(NEXT) | instid1(VALU_DEP_3)
	v_and_b32_e32 v9, 0xffff, v9
	v_lshlrev_b32_e32 v8, 16, v8
	s_delay_alu instid0(VALU_DEP_3) | instskip(NEXT) | instid1(VALU_DEP_2)
	v_and_b32_e32 v10, 0xff, v10
	v_or_b32_e32 v8, v9, v8
	s_delay_alu instid0(VALU_DEP_2) | instskip(NEXT) | instid1(VALU_DEP_1)
	v_cmp_lt_u16_e64 s3, v1, v10
	v_cndmask_b32_e64 v1, v0, v11, s3
	s_delay_alu instid0(VALU_DEP_3)
	v_cndmask_b32_e64 v11, v7, v8, s3
.LBB103_10:
	s_or_b32 exec_lo, exec_lo, s4
	v_and_b32_e32 v0, 8, v6
	v_and_b32_e32 v9, 4, v6
	v_mad_u32_u24 v13, v5, 17, v2
	s_mov_b32 s5, 0
	s_mov_b32 s4, exec_lo
	v_min_i32_e32 v8, v4, v0
	v_min_i32_e32 v9, v4, v9
	; wave barrier
	ds_store_b32 v13, v11
	v_add_nc_u32_e32 v0, 4, v8
	; wave barrier
	s_delay_alu instid0(VALU_DEP_1) | instskip(NEXT) | instid1(VALU_DEP_1)
	v_min_i32_e32 v7, v4, v0
	v_add_nc_u32_e32 v0, 4, v7
	v_sub_nc_u32_e32 v12, v7, v8
	s_delay_alu instid0(VALU_DEP_2) | instskip(NEXT) | instid1(VALU_DEP_2)
	v_min_i32_e32 v6, v4, v0
	v_min_i32_e32 v12, v9, v12
	s_delay_alu instid0(VALU_DEP_2) | instskip(NEXT) | instid1(VALU_DEP_1)
	v_sub_nc_u32_e32 v0, v6, v7
	v_sub_nc_u32_e32 v10, v9, v0
	v_cmp_ge_i32_e64 s3, v9, v0
	v_mul_u32_u24_e32 v0, 17, v5
	s_delay_alu instid0(VALU_DEP_2) | instskip(NEXT) | instid1(VALU_DEP_1)
	v_cndmask_b32_e64 v10, 0, v10, s3
	v_cmpx_lt_i32_e64 v10, v12
	s_cbranch_execz .LBB103_14
; %bb.11:
	s_delay_alu instid0(VALU_DEP_3)
	v_add_nc_u32_e32 v5, v0, v8
	v_add3_u32 v11, v0, v7, v9
	.p2align	6
.LBB103_12:                             ; =>This Inner Loop Header: Depth=1
	v_sub_nc_u32_e32 v13, v12, v10
	s_delay_alu instid0(VALU_DEP_1) | instskip(NEXT) | instid1(VALU_DEP_1)
	v_lshrrev_b32_e32 v14, 31, v13
	v_add_nc_u32_e32 v13, v13, v14
	s_delay_alu instid0(VALU_DEP_1) | instskip(NEXT) | instid1(VALU_DEP_1)
	v_ashrrev_i32_e32 v13, 1, v13
	v_add_nc_u32_e32 v13, v13, v10
	s_delay_alu instid0(VALU_DEP_1)
	v_add_nc_u32_e32 v14, v5, v13
	v_xad_u32 v15, v13, -1, v11
	v_add_nc_u32_e32 v16, 1, v13
	ds_load_u8 v14, v14
	ds_load_u8 v15, v15
	s_waitcnt lgkmcnt(0)
	v_cmp_lt_u16_e64 s3, v15, v14
	s_delay_alu instid0(VALU_DEP_1) | instskip(SKIP_1) | instid1(VALU_DEP_1)
	v_cndmask_b32_e64 v12, v12, v13, s3
	v_cndmask_b32_e64 v10, v16, v10, s3
	v_cmp_ge_i32_e64 s3, v10, v12
	s_delay_alu instid0(VALU_DEP_1) | instskip(NEXT) | instid1(SALU_CYCLE_1)
	s_or_b32 s5, s3, s5
	s_and_not1_b32 exec_lo, exec_lo, s5
	s_cbranch_execnz .LBB103_12
; %bb.13:
	s_or_b32 exec_lo, exec_lo, s5
.LBB103_14:
	s_delay_alu instid0(SALU_CYCLE_1) | instskip(SKIP_2) | instid1(VALU_DEP_2)
	s_or_b32 exec_lo, exec_lo, s4
	v_add_nc_u32_e32 v9, v7, v9
	v_add_nc_u32_e32 v5, v10, v8
	v_sub_nc_u32_e32 v8, v9, v10
	s_delay_alu instid0(VALU_DEP_2) | instskip(SKIP_1) | instid1(VALU_DEP_3)
	v_add_nc_u32_e32 v14, v0, v5
	v_cmp_le_i32_e64 s3, v7, v5
	v_add_nc_u32_e32 v9, v0, v8
	v_cmp_gt_i32_e64 s5, v6, v8
	ds_load_u8 v10, v14
	ds_load_u8 v11, v9
	s_waitcnt lgkmcnt(1)
	v_and_b32_e32 v12, 0xff, v10
	s_waitcnt lgkmcnt(0)
	v_and_b32_e32 v13, 0xff, v11
	s_delay_alu instid0(VALU_DEP_1) | instskip(NEXT) | instid1(VALU_DEP_1)
	v_cmp_lt_u16_e64 s4, v13, v12
                                        ; implicit-def: $vgpr12
                                        ; implicit-def: $vgpr13
	s_or_b32 s3, s3, s4
	s_delay_alu instid0(SALU_CYCLE_1) | instskip(NEXT) | instid1(SALU_CYCLE_1)
	s_and_b32 s3, s5, s3
	s_xor_b32 s4, s3, -1
	s_delay_alu instid0(SALU_CYCLE_1) | instskip(NEXT) | instid1(SALU_CYCLE_1)
	s_and_saveexec_b32 s5, s4
	s_xor_b32 s4, exec_lo, s5
	s_cbranch_execz .LBB103_16
; %bb.15:
	ds_load_u8 v13, v14 offset:1
	v_mov_b32_e32 v12, v11
                                        ; implicit-def: $vgpr9
.LBB103_16:
	s_and_not1_saveexec_b32 s4, s4
	s_cbranch_execz .LBB103_18
; %bb.17:
	ds_load_u8 v12, v9 offset:1
	s_waitcnt lgkmcnt(1)
	v_mov_b32_e32 v13, v10
.LBB103_18:
	s_or_b32 exec_lo, exec_lo, s4
	v_add_nc_u32_e32 v9, 1, v5
	v_add_nc_u32_e32 v14, 1, v8
	s_waitcnt lgkmcnt(0)
	v_and_b32_e32 v15, 0xff, v13
	v_and_b32_e32 v17, 0xff, v12
	v_cndmask_b32_e64 v9, v9, v5, s3
	v_cndmask_b32_e64 v16, v8, v14, s3
                                        ; implicit-def: $vgpr14
	s_delay_alu instid0(VALU_DEP_3) | instskip(NEXT) | instid1(VALU_DEP_3)
	v_cmp_lt_u16_e64 s5, v17, v15
	v_cmp_ge_i32_e64 s4, v9, v7
	s_delay_alu instid0(VALU_DEP_3) | instskip(NEXT) | instid1(VALU_DEP_2)
	v_cmp_lt_i32_e64 s6, v16, v6
	s_or_b32 s4, s4, s5
	s_delay_alu instid0(VALU_DEP_1) | instid1(SALU_CYCLE_1)
	s_and_b32 s4, s6, s4
	s_delay_alu instid0(SALU_CYCLE_1) | instskip(NEXT) | instid1(SALU_CYCLE_1)
	s_xor_b32 s5, s4, -1
	s_and_saveexec_b32 s6, s5
	s_delay_alu instid0(SALU_CYCLE_1)
	s_xor_b32 s5, exec_lo, s6
	s_cbranch_execz .LBB103_20
; %bb.19:
	v_add_nc_u32_e32 v14, v0, v9
	ds_load_u8 v14, v14 offset:1
.LBB103_20:
	s_or_saveexec_b32 s5, s5
	v_mov_b32_e32 v15, v12
	s_xor_b32 exec_lo, exec_lo, s5
	s_cbranch_execz .LBB103_22
; %bb.21:
	s_waitcnt lgkmcnt(0)
	v_add_nc_u32_e32 v14, v0, v16
	ds_load_u8 v15, v14 offset:1
	v_mov_b32_e32 v14, v13
.LBB103_22:
	s_or_b32 exec_lo, exec_lo, s5
	v_add_nc_u32_e32 v17, 1, v9
	v_add_nc_u32_e32 v18, 1, v16
	s_waitcnt lgkmcnt(0)
	v_and_b32_e32 v19, 0xff, v14
	v_and_b32_e32 v20, 0xff, v15
	v_cndmask_b32_e64 v17, v17, v9, s4
	v_cndmask_b32_e64 v18, v16, v18, s4
	s_delay_alu instid0(VALU_DEP_3) | instskip(NEXT) | instid1(VALU_DEP_3)
	v_cmp_lt_u16_e64 s6, v20, v19
                                        ; implicit-def: $vgpr19
	v_cmp_ge_i32_e64 s5, v17, v7
	s_delay_alu instid0(VALU_DEP_3) | instskip(NEXT) | instid1(VALU_DEP_2)
	v_cmp_lt_i32_e64 s7, v18, v6
	s_or_b32 s5, s5, s6
	s_delay_alu instid0(VALU_DEP_1) | instid1(SALU_CYCLE_1)
	s_and_b32 s5, s7, s5
	s_delay_alu instid0(SALU_CYCLE_1) | instskip(NEXT) | instid1(SALU_CYCLE_1)
	s_xor_b32 s6, s5, -1
	s_and_saveexec_b32 s7, s6
	s_delay_alu instid0(SALU_CYCLE_1)
	s_xor_b32 s6, exec_lo, s7
	s_cbranch_execz .LBB103_24
; %bb.23:
	v_add_nc_u32_e32 v19, v0, v17
	ds_load_u8 v19, v19 offset:1
.LBB103_24:
	s_or_saveexec_b32 s6, s6
	v_mov_b32_e32 v20, v15
	s_xor_b32 exec_lo, exec_lo, s6
	s_cbranch_execz .LBB103_26
; %bb.25:
	s_waitcnt lgkmcnt(0)
	v_add_nc_u32_e32 v19, v0, v18
	ds_load_u8 v20, v19 offset:1
	v_mov_b32_e32 v19, v14
.LBB103_26:
	s_or_b32 exec_lo, exec_lo, s6
	v_add_nc_u32_e32 v21, 1, v17
	v_add_nc_u32_e32 v22, 1, v18
	v_cndmask_b32_e64 v23, v17, v18, s5
	s_waitcnt lgkmcnt(0)
	v_and_b32_e32 v24, 0xff, v19
	v_and_b32_e32 v25, 0xff, v20
	v_cndmask_b32_e64 v21, v21, v17, s5
	v_min_i32_e32 v17, 0, v4
	v_cndmask_b32_e64 v18, v18, v22, s5
	v_cndmask_b32_e64 v16, v9, v16, s4
	v_cmp_lt_u16_e64 s6, v25, v24
	v_cmp_ge_i32_e64 s7, v21, v7
	v_add_nc_u32_e32 v7, 8, v17
	v_cmp_lt_i32_e64 s8, v18, v6
	v_cndmask_b32_e64 v6, v5, v8, s3
	v_add_nc_u32_e32 v5, v0, v2
	s_or_b32 s6, s7, s6
	v_min_i32_e32 v9, v4, v7
	s_and_b32 s6, s8, s6
	v_add_nc_u32_e32 v6, v0, v6
	v_cndmask_b32_e64 v7, v21, v18, s6
	s_delay_alu instid0(VALU_DEP_3)
	v_add_nc_u32_e32 v8, 8, v9
	; wave barrier
	ds_store_b32 v5, v1
	v_add_nc_u32_e32 v18, v0, v23
	v_cndmask_b32_e64 v19, v19, v20, s6
	v_min_i32_e32 v1, v4, v8
	v_add_nc_u32_e32 v8, v0, v16
	v_add_nc_u32_e32 v20, v0, v7
	; wave barrier
	v_min_i32_e32 v16, v4, v2
	ds_load_u8 v4, v6
	ds_load_u8 v6, v8
	;; [unrolled: 1-line block ×4, first 2 shown]
	v_sub_nc_u32_e32 v21, v1, v9
	v_sub_nc_u32_e32 v20, v9, v17
	v_cndmask_b32_e64 v22, v14, v15, s5
	v_cndmask_b32_e64 v10, v10, v11, s3
	;; [unrolled: 1-line block ×3, first 2 shown]
	v_sub_nc_u32_e32 v18, v16, v21
	v_cmp_ge_i32_e64 s5, v16, v21
	v_min_i32_e32 v14, v16, v20
	s_mov_b32 s4, exec_lo
	; wave barrier
	s_delay_alu instid0(VALU_DEP_2)
	v_cndmask_b32_e64 v15, 0, v18, s5
	s_mov_b32 s5, 0
	ds_store_b8 v5, v10
	ds_store_b8 v5, v11 offset:1
	ds_store_b8 v5, v22 offset:2
	;; [unrolled: 1-line block ×3, first 2 shown]
	; wave barrier
	v_cmpx_lt_i32_e64 v15, v14
	s_cbranch_execz .LBB103_30
; %bb.27:
	v_add_nc_u32_e32 v10, v0, v17
	v_add3_u32 v11, v0, v9, v16
	.p2align	6
.LBB103_28:                             ; =>This Inner Loop Header: Depth=1
	v_sub_nc_u32_e32 v12, v14, v15
	s_delay_alu instid0(VALU_DEP_1) | instskip(NEXT) | instid1(VALU_DEP_1)
	v_lshrrev_b32_e32 v13, 31, v12
	v_add_nc_u32_e32 v12, v12, v13
	s_delay_alu instid0(VALU_DEP_1) | instskip(NEXT) | instid1(VALU_DEP_1)
	v_ashrrev_i32_e32 v12, 1, v12
	v_add_nc_u32_e32 v12, v12, v15
	s_delay_alu instid0(VALU_DEP_1)
	v_add_nc_u32_e32 v13, v10, v12
	v_xad_u32 v18, v12, -1, v11
	v_add_nc_u32_e32 v19, 1, v12
	ds_load_u8 v13, v13
	ds_load_u8 v18, v18
	s_waitcnt lgkmcnt(0)
	v_cmp_lt_u16_e64 s3, v18, v13
	s_delay_alu instid0(VALU_DEP_1) | instskip(SKIP_1) | instid1(VALU_DEP_1)
	v_cndmask_b32_e64 v14, v14, v12, s3
	v_cndmask_b32_e64 v15, v19, v15, s3
	v_cmp_ge_i32_e64 s3, v15, v14
	s_delay_alu instid0(VALU_DEP_1) | instskip(NEXT) | instid1(SALU_CYCLE_1)
	s_or_b32 s5, s3, s5
	s_and_not1_b32 exec_lo, exec_lo, s5
	s_cbranch_execnz .LBB103_28
; %bb.29:
	s_or_b32 exec_lo, exec_lo, s5
.LBB103_30:
	s_delay_alu instid0(SALU_CYCLE_1) | instskip(SKIP_2) | instid1(VALU_DEP_2)
	s_or_b32 exec_lo, exec_lo, s4
	v_add_nc_u32_e32 v10, v9, v16
	v_add_nc_u32_e32 v14, v15, v17
	v_sub_nc_u32_e32 v15, v10, v15
	s_delay_alu instid0(VALU_DEP_2) | instskip(SKIP_1) | instid1(VALU_DEP_3)
	v_add_nc_u32_e32 v17, v0, v14
	v_cmp_le_i32_e64 s3, v9, v14
	v_add_nc_u32_e32 v16, v0, v15
	v_cmp_gt_i32_e64 s5, v1, v15
	ds_load_u8 v10, v17
	ds_load_u8 v11, v16
	s_waitcnt lgkmcnt(1)
	v_and_b32_e32 v12, 0xff, v10
	s_waitcnt lgkmcnt(0)
	v_and_b32_e32 v13, 0xff, v11
	s_delay_alu instid0(VALU_DEP_1) | instskip(NEXT) | instid1(VALU_DEP_1)
	v_cmp_lt_u16_e64 s4, v13, v12
                                        ; implicit-def: $vgpr12
                                        ; implicit-def: $vgpr13
	s_or_b32 s3, s3, s4
	s_delay_alu instid0(SALU_CYCLE_1) | instskip(NEXT) | instid1(SALU_CYCLE_1)
	s_and_b32 s3, s5, s3
	s_xor_b32 s4, s3, -1
	s_delay_alu instid0(SALU_CYCLE_1) | instskip(NEXT) | instid1(SALU_CYCLE_1)
	s_and_saveexec_b32 s5, s4
	s_xor_b32 s4, exec_lo, s5
	s_cbranch_execz .LBB103_32
; %bb.31:
	ds_load_u8 v13, v17 offset:1
	v_mov_b32_e32 v12, v11
                                        ; implicit-def: $vgpr16
.LBB103_32:
	s_and_not1_saveexec_b32 s4, s4
	s_cbranch_execz .LBB103_34
; %bb.33:
	ds_load_u8 v12, v16 offset:1
	s_waitcnt lgkmcnt(1)
	v_mov_b32_e32 v13, v10
.LBB103_34:
	s_or_b32 exec_lo, exec_lo, s4
	v_add_nc_u32_e32 v16, 1, v14
	v_add_nc_u32_e32 v18, 1, v15
	s_waitcnt lgkmcnt(0)
	v_and_b32_e32 v19, 0xff, v13
	s_delay_alu instid0(VALU_DEP_3) | instskip(SKIP_2) | instid1(VALU_DEP_3)
	v_cndmask_b32_e64 v17, v16, v14, s3
	v_and_b32_e32 v16, 0xff, v12
	v_cndmask_b32_e64 v18, v15, v18, s3
	v_cmp_ge_i32_e64 s4, v17, v9
	s_delay_alu instid0(VALU_DEP_3) | instskip(NEXT) | instid1(VALU_DEP_3)
	v_cmp_lt_u16_e64 s5, v16, v19
	v_cmp_lt_i32_e64 s6, v18, v1
                                        ; implicit-def: $vgpr16
	s_delay_alu instid0(VALU_DEP_2)
	s_or_b32 s4, s4, s5
	s_delay_alu instid0(VALU_DEP_1) | instid1(SALU_CYCLE_1)
	s_and_b32 s4, s6, s4
	s_delay_alu instid0(SALU_CYCLE_1) | instskip(NEXT) | instid1(SALU_CYCLE_1)
	s_xor_b32 s5, s4, -1
	s_and_saveexec_b32 s6, s5
	s_delay_alu instid0(SALU_CYCLE_1)
	s_xor_b32 s5, exec_lo, s6
	s_cbranch_execz .LBB103_36
; %bb.35:
	v_add_nc_u32_e32 v16, v0, v17
	ds_load_u8 v16, v16 offset:1
.LBB103_36:
	s_or_saveexec_b32 s5, s5
	v_mov_b32_e32 v19, v12
	s_xor_b32 exec_lo, exec_lo, s5
	s_cbranch_execz .LBB103_38
; %bb.37:
	s_waitcnt lgkmcnt(0)
	v_add_nc_u32_e32 v16, v0, v18
	ds_load_u8 v19, v16 offset:1
	v_mov_b32_e32 v16, v13
.LBB103_38:
	s_or_b32 exec_lo, exec_lo, s5
	v_add_nc_u32_e32 v20, 1, v17
	v_add_nc_u32_e32 v21, 1, v18
	s_waitcnt lgkmcnt(0)
	v_and_b32_e32 v22, 0xff, v16
	v_and_b32_e32 v23, 0xff, v19
	v_cndmask_b32_e64 v25, v20, v17, s4
	v_cndmask_b32_e64 v20, v18, v21, s4
                                        ; implicit-def: $vgpr21
	s_delay_alu instid0(VALU_DEP_3) | instskip(NEXT) | instid1(VALU_DEP_3)
	v_cmp_lt_u16_e64 s6, v23, v22
                                        ; implicit-def: $vgpr22
	v_cmp_ge_i32_e64 s5, v25, v9
	s_delay_alu instid0(VALU_DEP_3) | instskip(NEXT) | instid1(VALU_DEP_2)
	v_cmp_lt_i32_e64 s7, v20, v1
	s_or_b32 s5, s5, s6
	s_delay_alu instid0(VALU_DEP_1) | instid1(SALU_CYCLE_1)
	s_and_b32 s5, s7, s5
	s_delay_alu instid0(SALU_CYCLE_1) | instskip(NEXT) | instid1(SALU_CYCLE_1)
	s_xor_b32 s6, s5, -1
	s_and_saveexec_b32 s7, s6
	s_delay_alu instid0(SALU_CYCLE_1)
	s_xor_b32 s6, exec_lo, s7
	s_cbranch_execz .LBB103_40
; %bb.39:
	v_add_nc_u32_e32 v21, v0, v25
	ds_load_u8 v22, v21 offset:1
	v_add_nc_u32_e32 v21, 1, v25
.LBB103_40:
	s_or_saveexec_b32 s6, s6
	v_dual_mov_b32 v23, v25 :: v_dual_mov_b32 v24, v19
	s_xor_b32 exec_lo, exec_lo, s6
	s_cbranch_execz .LBB103_42
; %bb.41:
	s_waitcnt lgkmcnt(0)
	v_dual_mov_b32 v23, v20 :: v_dual_add_nc_u32 v22, 1, v20
	s_delay_alu instid0(VALU_DEP_1)
	v_dual_mov_b32 v20, v22 :: v_dual_add_nc_u32 v21, v0, v20
	v_mov_b32_e32 v22, v16
	ds_load_u8 v24, v21 offset:1
	v_mov_b32_e32 v21, v25
.LBB103_42:
	s_or_b32 exec_lo, exec_lo, s6
	v_cndmask_b32_e64 v14, v14, v15, s3
	s_delay_alu instid0(VALU_DEP_2)
	v_cmp_ge_i32_e64 s6, v21, v9
	; wave barrier
	ds_store_b8 v5, v4
	ds_store_b8 v5, v6 offset:1
	ds_store_b8 v5, v7 offset:2
	;; [unrolled: 1-line block ×3, first 2 shown]
	v_add_nc_u32_e32 v9, v0, v14
	; wave barrier
	s_waitcnt lgkmcnt(4)
	v_and_b32_e32 v25, 0xff, v22
	v_and_b32_e32 v26, 0xff, v24
	ds_load_u8 v4, v9
	v_cmp_lt_i32_e64 s8, v20, v1
	v_cndmask_b32_e64 v1, v17, v18, s4
	v_cndmask_b32_e64 v7, v10, v11, s3
	v_cmp_lt_u16_e64 s7, v26, v25
	v_add_nc_u32_e32 v8, v0, v23
	v_cndmask_b32_e64 v9, v16, v19, s5
	v_add_nc_u32_e32 v1, v0, v1
	s_delay_alu instid0(VALU_DEP_4) | instskip(NEXT) | instid1(SALU_CYCLE_1)
	s_or_b32 s6, s6, s7
	s_and_b32 s6, s8, s6
	s_delay_alu instid0(VALU_DEP_2) | instskip(SKIP_2) | instid1(VALU_DEP_2)
	v_and_b32_e32 v9, 0xff, v9
	v_cndmask_b32_e64 v6, v21, v20, s6
	v_cndmask_b32_e64 v5, v22, v24, s6
	v_add_nc_u32_e32 v0, v0, v6
	v_cndmask_b32_e64 v6, v13, v12, s4
	s_waitcnt lgkmcnt(0)
	v_add_nc_u16 v4, v4, v7
	v_and_b32_e32 v7, 0xff, v7
	v_lshlrev_b16 v5, 8, v5
	ds_load_u8 v1, v1
	ds_load_u8 v8, v8
	;; [unrolled: 1-line block ×3, first 2 shown]
	v_lshlrev_b16 v6, 8, v6
	v_and_b32_e32 v4, 0xff, v4
	v_or_b32_e32 v5, v9, v5
	s_delay_alu instid0(VALU_DEP_3) | instskip(NEXT) | instid1(VALU_DEP_3)
	v_or_b32_e32 v7, v7, v6
	v_or_b32_e32 v4, v4, v6
	s_delay_alu instid0(VALU_DEP_3) | instskip(NEXT) | instid1(VALU_DEP_3)
	v_lshlrev_b32_e32 v5, 16, v5
	v_and_b32_e32 v6, 0xffff, v7
	s_delay_alu instid0(VALU_DEP_3) | instskip(NEXT) | instid1(VALU_DEP_2)
	v_and_b32_e32 v4, 0xffff, v4
	v_or_b32_e32 v6, v6, v5
	s_delay_alu instid0(VALU_DEP_2) | instskip(NEXT) | instid1(VALU_DEP_1)
	v_or_b32_e32 v4, v4, v5
	v_cndmask_b32_e32 v4, v6, v4, vcc_lo
	s_delay_alu instid0(VALU_DEP_1) | instskip(SKIP_1) | instid1(VALU_DEP_1)
	v_lshrrev_b32_e32 v5, 8, v4
	s_waitcnt lgkmcnt(2)
	v_add_nc_u16 v1, v5, v1
	v_and_b32_e32 v5, 0xff, v4
	s_delay_alu instid0(VALU_DEP_2) | instskip(NEXT) | instid1(VALU_DEP_1)
	v_lshlrev_b16 v1, 8, v1
	v_or_b32_e32 v1, v5, v1
	s_delay_alu instid0(VALU_DEP_1) | instskip(NEXT) | instid1(VALU_DEP_1)
	v_and_b32_e32 v1, 0xffff, v1
	v_and_or_b32 v1, 0xffff0000, v4, v1
	s_delay_alu instid0(VALU_DEP_1) | instskip(NEXT) | instid1(VALU_DEP_1)
	v_cndmask_b32_e64 v1, v4, v1, s0
	v_lshrrev_b32_e32 v4, 16, v1
	s_waitcnt lgkmcnt(1)
	s_delay_alu instid0(VALU_DEP_1) | instskip(SKIP_1) | instid1(VALU_DEP_2)
	v_add_nc_u16 v5, v4, v8
	v_and_b32_e32 v4, 0xffffff00, v4
	v_and_b32_e32 v5, 0xff, v5
	s_delay_alu instid0(VALU_DEP_1) | instskip(NEXT) | instid1(VALU_DEP_1)
	v_or_b32_e32 v4, v5, v4
	v_lshlrev_b32_e32 v4, 16, v4
	s_delay_alu instid0(VALU_DEP_1) | instskip(NEXT) | instid1(VALU_DEP_1)
	v_and_or_b32 v4, 0xffff, v1, v4
	v_cndmask_b32_e64 v1, v1, v4, s1
	s_delay_alu instid0(VALU_DEP_1) | instskip(SKIP_2) | instid1(VALU_DEP_2)
	v_lshrrev_b32_e32 v4, 24, v1
	v_lshrrev_b32_e32 v5, 16, v1
	s_waitcnt lgkmcnt(0)
	v_add_nc_u16 v0, v4, v0
	s_delay_alu instid0(VALU_DEP_2) | instskip(NEXT) | instid1(VALU_DEP_2)
	v_and_b32_e32 v4, 0xff, v5
	v_lshlrev_b16 v0, 8, v0
	s_delay_alu instid0(VALU_DEP_1) | instskip(SKIP_1) | instid1(VALU_DEP_1)
	v_or_b32_e32 v0, v4, v0
	v_add_co_u32 v4, s3, s10, v3
	v_add_co_ci_u32_e64 v5, null, s11, 0, s3
	s_delay_alu instid0(VALU_DEP_3) | instskip(NEXT) | instid1(VALU_DEP_1)
	v_lshlrev_b32_e32 v0, 16, v0
	v_and_or_b32 v0, 0xffff, v1, v0
	s_delay_alu instid0(VALU_DEP_1) | instskip(SKIP_1) | instid1(VALU_DEP_1)
	v_cndmask_b32_e64 v3, v1, v0, s2
	v_add_co_u32 v0, s3, v4, v2
	v_add_co_ci_u32_e64 v1, s3, 0, v5, s3
	s_and_saveexec_b32 s3, vcc_lo
	s_cbranch_execnz .LBB103_47
; %bb.43:
	s_or_b32 exec_lo, exec_lo, s3
	s_and_saveexec_b32 s3, s0
	s_cbranch_execnz .LBB103_48
.LBB103_44:
	s_or_b32 exec_lo, exec_lo, s3
	s_and_saveexec_b32 s0, s1
	s_cbranch_execnz .LBB103_49
.LBB103_45:
	s_or_b32 exec_lo, exec_lo, s0
	s_and_saveexec_b32 s0, s2
	s_cbranch_execnz .LBB103_50
.LBB103_46:
	s_nop 0
	s_sendmsg sendmsg(MSG_DEALLOC_VGPRS)
	s_endpgm
.LBB103_47:
	global_store_b8 v[0:1], v3, off
	s_or_b32 exec_lo, exec_lo, s3
	s_and_saveexec_b32 s3, s0
	s_cbranch_execz .LBB103_44
.LBB103_48:
	v_lshrrev_b32_e32 v2, 8, v3
	global_store_b8 v[0:1], v2, off offset:1
	s_or_b32 exec_lo, exec_lo, s3
	s_and_saveexec_b32 s0, s1
	s_cbranch_execz .LBB103_45
.LBB103_49:
	global_store_d16_hi_b8 v[0:1], v3, off offset:2
	s_or_b32 exec_lo, exec_lo, s0
	s_and_saveexec_b32 s0, s2
	s_cbranch_execz .LBB103_46
.LBB103_50:
	v_lshrrev_b32_e32 v2, 24, v3
	global_store_b8 v[0:1], v2, off offset:3
	s_nop 0
	s_sendmsg sendmsg(MSG_DEALLOC_VGPRS)
	s_endpgm
	.section	.rodata,"a",@progbits
	.p2align	6, 0x0
	.amdhsa_kernel _Z20sort_pairs_segmentedILj256ELj4ELj4EhN10test_utils4lessEEvPKT2_PS2_PKjT3_
		.amdhsa_group_segment_fixed_size 1088
		.amdhsa_private_segment_fixed_size 0
		.amdhsa_kernarg_size 28
		.amdhsa_user_sgpr_count 15
		.amdhsa_user_sgpr_dispatch_ptr 0
		.amdhsa_user_sgpr_queue_ptr 0
		.amdhsa_user_sgpr_kernarg_segment_ptr 1
		.amdhsa_user_sgpr_dispatch_id 0
		.amdhsa_user_sgpr_private_segment_size 0
		.amdhsa_wavefront_size32 1
		.amdhsa_uses_dynamic_stack 0
		.amdhsa_enable_private_segment 0
		.amdhsa_system_sgpr_workgroup_id_x 1
		.amdhsa_system_sgpr_workgroup_id_y 0
		.amdhsa_system_sgpr_workgroup_id_z 0
		.amdhsa_system_sgpr_workgroup_info 0
		.amdhsa_system_vgpr_workitem_id 0
		.amdhsa_next_free_vgpr 27
		.amdhsa_next_free_sgpr 16
		.amdhsa_reserve_vcc 1
		.amdhsa_float_round_mode_32 0
		.amdhsa_float_round_mode_16_64 0
		.amdhsa_float_denorm_mode_32 3
		.amdhsa_float_denorm_mode_16_64 3
		.amdhsa_dx10_clamp 1
		.amdhsa_ieee_mode 1
		.amdhsa_fp16_overflow 0
		.amdhsa_workgroup_processor_mode 1
		.amdhsa_memory_ordered 1
		.amdhsa_forward_progress 0
		.amdhsa_shared_vgpr_count 0
		.amdhsa_exception_fp_ieee_invalid_op 0
		.amdhsa_exception_fp_denorm_src 0
		.amdhsa_exception_fp_ieee_div_zero 0
		.amdhsa_exception_fp_ieee_overflow 0
		.amdhsa_exception_fp_ieee_underflow 0
		.amdhsa_exception_fp_ieee_inexact 0
		.amdhsa_exception_int_div_zero 0
	.end_amdhsa_kernel
	.section	.text._Z20sort_pairs_segmentedILj256ELj4ELj4EhN10test_utils4lessEEvPKT2_PS2_PKjT3_,"axG",@progbits,_Z20sort_pairs_segmentedILj256ELj4ELj4EhN10test_utils4lessEEvPKT2_PS2_PKjT3_,comdat
.Lfunc_end103:
	.size	_Z20sort_pairs_segmentedILj256ELj4ELj4EhN10test_utils4lessEEvPKT2_PS2_PKjT3_, .Lfunc_end103-_Z20sort_pairs_segmentedILj256ELj4ELj4EhN10test_utils4lessEEvPKT2_PS2_PKjT3_
                                        ; -- End function
	.section	.AMDGPU.csdata,"",@progbits
; Kernel info:
; codeLenInByte = 3844
; NumSgprs: 18
; NumVgprs: 27
; ScratchSize: 0
; MemoryBound: 0
; FloatMode: 240
; IeeeMode: 1
; LDSByteSize: 1088 bytes/workgroup (compile time only)
; SGPRBlocks: 2
; VGPRBlocks: 3
; NumSGPRsForWavesPerEU: 18
; NumVGPRsForWavesPerEU: 27
; Occupancy: 16
; WaveLimiterHint : 0
; COMPUTE_PGM_RSRC2:SCRATCH_EN: 0
; COMPUTE_PGM_RSRC2:USER_SGPR: 15
; COMPUTE_PGM_RSRC2:TRAP_HANDLER: 0
; COMPUTE_PGM_RSRC2:TGID_X_EN: 1
; COMPUTE_PGM_RSRC2:TGID_Y_EN: 0
; COMPUTE_PGM_RSRC2:TGID_Z_EN: 0
; COMPUTE_PGM_RSRC2:TIDIG_COMP_CNT: 0
	.section	.text._Z9sort_keysILj256ELj4ELj8EhN10test_utils4lessEEvPKT2_PS2_T3_,"axG",@progbits,_Z9sort_keysILj256ELj4ELj8EhN10test_utils4lessEEvPKT2_PS2_T3_,comdat
	.protected	_Z9sort_keysILj256ELj4ELj8EhN10test_utils4lessEEvPKT2_PS2_T3_ ; -- Begin function _Z9sort_keysILj256ELj4ELj8EhN10test_utils4lessEEvPKT2_PS2_T3_
	.globl	_Z9sort_keysILj256ELj4ELj8EhN10test_utils4lessEEvPKT2_PS2_T3_
	.p2align	8
	.type	_Z9sort_keysILj256ELj4ELj8EhN10test_utils4lessEEvPKT2_PS2_T3_,@function
_Z9sort_keysILj256ELj4ELj8EhN10test_utils4lessEEvPKT2_PS2_T3_: ; @_Z9sort_keysILj256ELj4ELj8EhN10test_utils4lessEEvPKT2_PS2_T3_
; %bb.0:
	s_load_b128 s[8:11], s[0:1], 0x0
	s_lshl_b32 s12, s15, 11
	v_lshlrev_b32_e32 v1, 3, v0
	v_lshrrev_b32_e32 v0, 2, v0
	s_waitcnt lgkmcnt(0)
	s_add_u32 s0, s8, s12
	s_addc_u32 s1, s9, 0
	global_load_b64 v[2:3], v1, s[0:1]
	s_mov_b32 s1, exec_lo
	; wave barrier
	s_waitcnt vmcnt(0)
	v_lshrrev_b32_e32 v4, 8, v2
	v_and_b32_e32 v5, 0xff, v2
	v_perm_b32 v6, v2, v2, 0x3020405
	v_and_b32_e32 v13, 0xff, v3
	s_delay_alu instid0(VALU_DEP_4) | instskip(NEXT) | instid1(VALU_DEP_1)
	v_and_b32_e32 v4, 0xff, v4
	v_cmp_lt_u16_e32 vcc_lo, v4, v5
	s_delay_alu instid0(VALU_DEP_4) | instskip(NEXT) | instid1(VALU_DEP_1)
	v_cndmask_b32_e32 v2, v2, v6, vcc_lo
	v_lshrrev_b32_e32 v6, 16, v2
	v_lshrrev_b32_e32 v8, 24, v2
	s_delay_alu instid0(VALU_DEP_2) | instskip(SKIP_1) | instid1(VALU_DEP_2)
	v_perm_b32 v7, 0, v6, 0xc0c0001
	v_and_b32_e32 v6, 0xff, v6
	v_lshlrev_b32_e32 v7, 16, v7
	s_delay_alu instid0(VALU_DEP_2) | instskip(NEXT) | instid1(VALU_DEP_2)
	v_cmp_lt_u16_e32 vcc_lo, v8, v6
	v_and_or_b32 v7, 0xffff, v2, v7
	s_delay_alu instid0(VALU_DEP_1) | instskip(SKIP_2) | instid1(VALU_DEP_3)
	v_cndmask_b32_e32 v2, v2, v7, vcc_lo
	v_min_u16 v7, v8, v6
	v_max_u16 v10, v4, v5
	v_lshrrev_b32_e32 v9, 16, v2
	s_delay_alu instid0(VALU_DEP_3) | instskip(SKIP_1) | instid1(VALU_DEP_4)
	v_lshlrev_b16 v11, 8, v7
	v_and_b32_e32 v12, 0xff, v2
	v_cmp_lt_u16_e32 vcc_lo, v7, v10
	s_delay_alu instid0(VALU_DEP_4) | instskip(NEXT) | instid1(VALU_DEP_3)
	v_and_b32_e32 v9, 0xffffff00, v9
	v_or_b32_e32 v11, v12, v11
	v_lshrrev_b32_e32 v12, 8, v3
	s_delay_alu instid0(VALU_DEP_3) | instskip(NEXT) | instid1(VALU_DEP_3)
	v_or_b32_e32 v9, v10, v9
	v_and_b32_e32 v11, 0xffff, v11
	s_delay_alu instid0(VALU_DEP_2) | instskip(NEXT) | instid1(VALU_DEP_1)
	v_lshlrev_b32_e32 v9, 16, v9
	v_or_b32_e32 v9, v11, v9
	v_and_b32_e32 v11, 0xff, v12
	v_perm_b32 v12, v3, v3, 0x7060405
	s_delay_alu instid0(VALU_DEP_3) | instskip(NEXT) | instid1(VALU_DEP_3)
	v_cndmask_b32_e32 v2, v2, v9, vcc_lo
	v_cmp_lt_u16_e32 vcc_lo, v11, v13
	v_min_u16 v9, v11, v13
	s_delay_alu instid0(VALU_DEP_4) | instskip(SKIP_2) | instid1(VALU_DEP_4)
	v_cndmask_b32_e32 v3, v3, v12, vcc_lo
	v_max_u16 v6, v8, v6
	v_lshrrev_b32_e32 v12, 16, v2
	v_lshlrev_b16 v16, 8, v9
	s_delay_alu instid0(VALU_DEP_4) | instskip(SKIP_2) | instid1(VALU_DEP_3)
	v_lshrrev_b32_e32 v14, 16, v3
	v_lshrrev_b32_e32 v15, 24, v3
	v_perm_b32 v17, v3, v3, 0x6070504
	v_and_b32_e32 v14, 0xff, v14
	s_delay_alu instid0(VALU_DEP_1) | instskip(NEXT) | instid1(VALU_DEP_3)
	v_cmp_lt_u16_e32 vcc_lo, v15, v14
	v_cndmask_b32_e32 v3, v3, v17, vcc_lo
	v_cmp_lt_u16_e32 vcc_lo, v9, v6
	v_min_u16 v4, v4, v5
	v_min_u16 v17, v9, v6
	s_delay_alu instid0(VALU_DEP_4) | instskip(NEXT) | instid1(VALU_DEP_3)
	v_and_b32_e32 v8, 0xffffff00, v3
	v_cmp_lt_u16_e64 s0, v7, v4
	s_delay_alu instid0(VALU_DEP_2) | instskip(SKIP_1) | instid1(VALU_DEP_2)
	v_or_b32_e32 v8, v6, v8
	v_max_u16 v6, v9, v6
	v_and_b32_e32 v8, 0xffff, v8
	s_delay_alu instid0(VALU_DEP_1) | instskip(NEXT) | instid1(VALU_DEP_1)
	v_and_or_b32 v8, 0xffff0000, v3, v8
	v_cndmask_b32_e32 v3, v3, v8, vcc_lo
	v_and_b32_e32 v12, 0xff, v12
	s_delay_alu instid0(VALU_DEP_1) | instskip(SKIP_3) | instid1(VALU_DEP_4)
	v_or_b32_e32 v5, v12, v16
	v_lshlrev_b16 v12, 8, v4
	v_min_u16 v16, v7, v10
	v_max_u16 v10, v7, v10
	v_lshlrev_b32_e32 v5, 16, v5
	s_delay_alu instid0(VALU_DEP_3) | instskip(NEXT) | instid1(VALU_DEP_3)
	v_or_b32_e32 v12, v16, v12
	v_lshlrev_b16 v18, 8, v10
	s_delay_alu instid0(VALU_DEP_3) | instskip(NEXT) | instid1(VALU_DEP_3)
	v_and_or_b32 v5, 0xffff, v2, v5
	v_and_b32_e32 v12, 0xffff, v12
	s_delay_alu instid0(VALU_DEP_2)
	v_cndmask_b32_e32 v2, v2, v5, vcc_lo
	v_max_u16 v5, v11, v13
	v_or_b32_e32 v11, v17, v18
	v_cmp_lt_u16_e32 vcc_lo, v17, v10
	v_max_u16 v13, v15, v14
	v_and_or_b32 v12, 0xffff0000, v2, v12
	v_min_u16 v14, v15, v14
	v_lshlrev_b32_e32 v11, 16, v11
	v_min_u16 v15, v17, v10
	v_lshlrev_b16 v18, 8, v6
	v_cndmask_b32_e64 v2, v2, v12, s0
	v_lshrrev_b32_e32 v12, 16, v3
	v_lshlrev_b16 v7, 8, v14
	v_max_u16 v8, v14, v5
	v_lshlrev_b16 v19, 8, v15
	v_and_or_b32 v9, 0xffff, v2, v11
	v_and_b32_e32 v12, 0xffffff00, v12
	v_min_u16 v11, v14, v5
	v_max_u16 v10, v17, v10
	s_delay_alu instid0(VALU_DEP_4) | instskip(NEXT) | instid1(VALU_DEP_3)
	v_dual_cndmask_b32 v2, v2, v9 :: v_dual_and_b32 v9, 0xff, v3
	v_or_b32_e32 v18, v11, v18
	v_cmp_lt_u16_e32 vcc_lo, v14, v5
	s_delay_alu instid0(VALU_DEP_3) | instskip(NEXT) | instid1(VALU_DEP_4)
	v_lshrrev_b32_e32 v20, 16, v2
	v_or_b32_e32 v7, v9, v7
	v_or_b32_e32 v9, v5, v12
	v_cndmask_b32_e64 v12, v16, v4, s0
	v_and_b32_e32 v21, 0xff, v2
	v_and_b32_e32 v20, 0xffffff00, v20
	v_and_b32_e32 v7, 0xffff, v7
	v_lshlrev_b32_e32 v9, 16, v9
	v_cndmask_b32_e64 v4, v4, v16, s0
	v_or_b32_e32 v19, v21, v19
	v_or_b32_e32 v20, v12, v20
	v_lshlrev_b16 v21, 8, v8
	v_or_b32_e32 v7, v7, v9
	v_and_b32_e32 v9, 0xffff, v18
	v_and_b32_e32 v18, 0xffff, v19
	v_lshlrev_b32_e32 v19, 16, v20
	s_delay_alu instid0(VALU_DEP_4) | instskip(SKIP_2) | instid1(VALU_DEP_4)
	v_cndmask_b32_e32 v3, v3, v7, vcc_lo
	v_cmp_lt_u16_e32 vcc_lo, v15, v12
	v_or_b32_e32 v7, v13, v21
	v_or_b32_e32 v14, v18, v19
	s_delay_alu instid0(VALU_DEP_4) | instskip(NEXT) | instid1(VALU_DEP_2)
	v_and_or_b32 v9, 0xffff0000, v3, v9
	v_dual_cndmask_b32 v2, v2, v14 :: v_dual_lshlrev_b32 v7, 16, v7
	v_cmp_lt_u16_e32 vcc_lo, v11, v6
	s_delay_alu instid0(VALU_DEP_2) | instskip(NEXT) | instid1(VALU_DEP_4)
	v_lshrrev_b32_e32 v14, 16, v2
	v_cndmask_b32_e32 v3, v3, v9, vcc_lo
	v_min_u16 v9, v11, v6
	v_cmp_gt_u16_e32 vcc_lo, v5, v13
	v_max_u16 v5, v11, v6
	v_and_b32_e32 v14, 0xff, v14
	v_and_or_b32 v7, 0xffff, v3, v7
	v_lshlrev_b16 v17, 8, v9
	v_cmp_lt_u16_e64 s0, v9, v10
	v_max_u16 v16, v9, v10
	s_delay_alu instid0(VALU_DEP_4) | instskip(NEXT) | instid1(VALU_DEP_4)
	v_cndmask_b32_e32 v3, v3, v7, vcc_lo
	v_or_b32_e32 v6, v14, v17
	v_min_u16 v7, v15, v12
	v_lshlrev_b16 v14, 8, v4
	v_max_u16 v12, v15, v12
	v_and_b32_e32 v11, 0xffffff00, v3
	v_lshlrev_b32_e32 v6, 16, v6
	v_min_u16 v15, v9, v10
	v_or_b32_e32 v14, v7, v14
	v_lshlrev_b16 v17, 8, v12
	v_or_b32_e32 v11, v10, v11
	v_and_or_b32 v6, 0xffff, v2, v6
	v_lshlrev_b16 v10, 8, v16
	v_and_b32_e32 v14, 0xffff, v14
	s_delay_alu instid0(VALU_DEP_4) | instskip(NEXT) | instid1(VALU_DEP_4)
	v_and_b32_e32 v11, 0xffff, v11
	v_cndmask_b32_e64 v2, v2, v6, s0
	v_or_b32_e32 v6, v15, v17
	s_delay_alu instid0(VALU_DEP_3) | instskip(NEXT) | instid1(VALU_DEP_3)
	v_and_or_b32 v9, 0xffff0000, v3, v11
	v_and_or_b32 v14, 0xffff0000, v2, v14
	s_delay_alu instid0(VALU_DEP_3) | instskip(SKIP_1) | instid1(VALU_DEP_4)
	v_lshlrev_b32_e32 v6, 16, v6
	v_min_u16 v11, v15, v12
	v_cndmask_b32_e64 v3, v3, v9, s0
	v_cmp_lt_u16_e64 s0, v7, v4
	v_dual_cndmask_b32 v9, v8, v13 :: v_dual_cndmask_b32 v8, v13, v8
	v_cmp_lt_u16_e32 vcc_lo, v15, v12
	s_delay_alu instid0(VALU_DEP_4) | instskip(NEXT) | instid1(VALU_DEP_4)
	v_lshrrev_b32_e32 v17, 16, v3
	v_cndmask_b32_e64 v2, v2, v14, s0
	s_delay_alu instid0(VALU_DEP_4)
	v_lshlrev_b16 v19, 8, v9
	v_and_b32_e32 v20, 0xff, v3
	v_max_u16 v14, v7, v4
	v_and_b32_e32 v17, 0xffffff00, v17
	v_and_or_b32 v6, 0xffff, v2, v6
	v_lshlrev_b16 v18, 8, v11
	v_min_u16 v4, v7, v4
	s_delay_alu instid0(VALU_DEP_4) | instskip(NEXT) | instid1(VALU_DEP_4)
	v_or_b32_e32 v13, v5, v17
	v_cndmask_b32_e32 v2, v2, v6, vcc_lo
	v_or_b32_e32 v6, v20, v19
	v_min_u16 v17, v9, v5
	v_cmp_lt_u16_e32 vcc_lo, v9, v5
	v_lshlrev_b32_e32 v13, 16, v13
	v_lshrrev_b32_e32 v20, 16, v2
	v_and_b32_e32 v6, 0xffff, v6
	v_or_b32_e32 v10, v17, v10
	v_and_b32_e32 v21, 0xff, v2
	v_max_u16 v19, v9, v5
	v_and_b32_e32 v20, 0xffffff00, v20
	v_or_b32_e32 v6, v6, v13
	v_and_b32_e32 v10, 0xffff, v10
	v_or_b32_e32 v13, v21, v18
	v_lshlrev_b16 v22, 8, v19
	v_or_b32_e32 v18, v14, v20
	v_cndmask_b32_e32 v3, v3, v6, vcc_lo
	v_cmp_lt_u16_e32 vcc_lo, v17, v16
	v_and_b32_e32 v6, 0xffff, v13
	v_or_b32_e32 v5, v8, v22
	v_lshlrev_b32_e32 v9, 16, v18
	v_and_or_b32 v10, 0xffff0000, v3, v10
	v_min_u16 v7, v17, v16
	s_delay_alu instid0(VALU_DEP_4) | instskip(NEXT) | instid1(VALU_DEP_4)
	v_lshlrev_b32_e32 v5, 16, v5
	v_or_b32_e32 v6, v6, v9
	s_delay_alu instid0(VALU_DEP_4) | instskip(SKIP_2) | instid1(VALU_DEP_3)
	v_cndmask_b32_e32 v3, v3, v10, vcc_lo
	v_cmp_lt_u16_e32 vcc_lo, v11, v14
	v_lshlrev_b16 v10, 8, v7
	v_and_or_b32 v5, 0xffff, v3, v5
	v_cndmask_b32_e32 v2, v2, v6, vcc_lo
	v_cmp_lt_u16_e32 vcc_lo, v8, v19
	v_max_u16 v6, v15, v12
	v_lshlrev_b16 v12, 8, v4
	v_max_u16 v15, v17, v16
	v_lshrrev_b32_e32 v9, 16, v2
	v_cndmask_b32_e32 v3, v3, v5, vcc_lo
	v_min_u16 v5, v11, v14
	v_max_u16 v14, v11, v14
	v_cmp_lt_u16_e32 vcc_lo, v7, v6
	v_and_b32_e32 v9, 0xff, v9
	v_and_b32_e32 v13, 0xffffff00, v3
	v_min_u16 v17, v7, v6
	v_max_u16 v7, v7, v6
	v_max_u16 v16, v8, v19
	v_or_b32_e32 v9, v9, v10
	v_or_b32_e32 v10, v5, v12
	;; [unrolled: 1-line block ×3, first 2 shown]
	v_lshlrev_b16 v13, 8, v14
	v_min_u16 v8, v8, v19
	v_lshlrev_b32_e32 v9, 16, v9
	v_and_b32_e32 v10, 0xffff, v10
	v_and_b32_e32 v12, 0xffff, v12
	v_or_b32_e32 v6, v17, v13
	v_cmp_lt_u16_e64 s0, v17, v14
	v_and_or_b32 v9, 0xffff, v2, v9
	v_lshlrev_b16 v18, 8, v7
	v_and_or_b32 v12, 0xffff0000, v3, v12
	v_lshlrev_b32_e32 v6, 16, v6
	v_min_u16 v19, v17, v14
	v_cndmask_b32_e32 v2, v2, v9, vcc_lo
	v_lshlrev_b16 v9, 8, v8
	v_cndmask_b32_e32 v3, v3, v12, vcc_lo
	v_cmp_lt_u16_e32 vcc_lo, v11, v4
	v_min_u16 v11, v8, v15
	v_and_or_b32 v10, 0xffff0000, v2, v10
	v_max_u16 v12, v8, v15
	v_lshrrev_b32_e32 v13, 16, v3
	v_lshlrev_b16 v20, 8, v19
	v_cndmask_b32_e32 v4, v5, v4, vcc_lo
	v_cndmask_b32_e32 v2, v2, v10, vcc_lo
	v_and_b32_e32 v10, 0xff, v3
	v_and_b32_e32 v13, 0xffffff00, v13
	v_cmp_lt_u16_e32 vcc_lo, v8, v15
	s_delay_alu instid0(VALU_DEP_4) | instskip(NEXT) | instid1(VALU_DEP_4)
	v_and_or_b32 v6, 0xffff, v2, v6
	v_or_b32_e32 v9, v10, v9
	s_delay_alu instid0(VALU_DEP_4) | instskip(SKIP_1) | instid1(VALU_DEP_4)
	v_or_b32_e32 v10, v15, v13
	v_or_b32_e32 v13, v11, v18
	v_cndmask_b32_e64 v2, v2, v6, s0
	s_delay_alu instid0(VALU_DEP_4) | instskip(NEXT) | instid1(VALU_DEP_4)
	v_and_b32_e32 v9, 0xffff, v9
	v_lshlrev_b32_e32 v10, 16, v10
	v_lshlrev_b16 v6, 8, v12
	v_and_b32_e32 v13, 0xffff, v13
	v_lshrrev_b32_e32 v18, 16, v2
	s_delay_alu instid0(VALU_DEP_4) | instskip(SKIP_2) | instid1(VALU_DEP_3)
	v_or_b32_e32 v5, v9, v10
	v_and_b32_e32 v9, 0xff, v2
	v_or_b32_e32 v6, v16, v6
	v_dual_cndmask_b32 v3, v3, v5 :: v_dual_and_b32 v10, 0xffffff00, v18
	s_delay_alu instid0(VALU_DEP_3) | instskip(SKIP_1) | instid1(VALU_DEP_3)
	v_or_b32_e32 v5, v9, v20
	v_cmp_lt_u16_e32 vcc_lo, v11, v7
	v_or_b32_e32 v8, v4, v10
	v_lshlrev_b32_e32 v6, 16, v6
	v_and_or_b32 v9, 0xffff0000, v3, v13
	v_and_b32_e32 v5, 0xffff, v5
	s_delay_alu instid0(VALU_DEP_2) | instskip(SKIP_2) | instid1(VALU_DEP_3)
	v_dual_cndmask_b32 v3, v3, v9 :: v_dual_lshlrev_b32 v8, 16, v8
	v_cmp_lt_u16_e32 vcc_lo, v19, v4
	v_min_u16 v4, v11, v7
	v_or_b32_e32 v5, v5, v8
	v_max_u16 v11, v11, v7
	v_and_or_b32 v6, 0xffff, v3, v6
	s_delay_alu instid0(VALU_DEP_4) | instskip(NEXT) | instid1(VALU_DEP_4)
	v_lshlrev_b16 v8, 8, v4
	v_cndmask_b32_e32 v2, v2, v5, vcc_lo
	v_cmp_gt_u16_e32 vcc_lo, v15, v16
	s_delay_alu instid0(VALU_DEP_2) | instskip(SKIP_2) | instid1(VALU_DEP_3)
	v_lshrrev_b32_e32 v5, 16, v2
	v_cndmask_b32_e32 v3, v3, v6, vcc_lo
	v_max_u16 v6, v17, v14
	v_dual_cndmask_b32 v12, v12, v16 :: v_dual_and_b32 v5, 0xff, v5
	s_delay_alu instid0(VALU_DEP_3) | instskip(NEXT) | instid1(VALU_DEP_3)
	v_and_b32_e32 v9, 0xffffff00, v3
	v_cmp_lt_u16_e64 s0, v4, v6
	v_mbcnt_lo_u32_b32 v4, -1, 0
	s_delay_alu instid0(VALU_DEP_4) | instskip(SKIP_2) | instid1(VALU_DEP_2)
	v_lshlrev_b16 v7, 8, v12
	v_or_b32_e32 v5, v5, v8
	v_or_b32_e32 v9, v6, v9
	v_lshlrev_b32_e32 v5, 16, v5
	s_delay_alu instid0(VALU_DEP_2) | instskip(NEXT) | instid1(VALU_DEP_2)
	v_and_b32_e32 v8, 0xffff, v9
	v_and_or_b32 v5, 0xffff, v2, v5
	s_delay_alu instid0(VALU_DEP_2) | instskip(NEXT) | instid1(VALU_DEP_2)
	v_and_or_b32 v8, 0xffff0000, v3, v8
	v_cndmask_b32_e64 v10, v2, v5, s0
	s_delay_alu instid0(VALU_DEP_2) | instskip(SKIP_2) | instid1(VALU_DEP_2)
	v_cndmask_b32_e64 v13, v3, v8, s0
	v_lshlrev_b32_e32 v3, 3, v4
	s_mov_b32 s0, 0
	v_lshrrev_b32_e32 v2, 16, v13
	s_delay_alu instid0(VALU_DEP_2) | instskip(SKIP_1) | instid1(VALU_DEP_3)
	v_and_b32_e32 v6, 16, v3
	v_and_b32_e32 v8, 0xff, v13
	;; [unrolled: 1-line block ×3, first 2 shown]
	s_delay_alu instid0(VALU_DEP_3) | instskip(SKIP_1) | instid1(VALU_DEP_4)
	v_or_b32_e32 v5, 8, v6
	v_add_nc_u32_e32 v4, 16, v6
	v_or_b32_e32 v7, v8, v7
	v_and_b32_e32 v8, 8, v3
	v_or_b32_e32 v9, v11, v2
	v_and_b32_e32 v2, 24, v3
	v_sub_nc_u32_e32 v14, v4, v5
	v_and_b32_e32 v7, 0xffff, v7
	v_sub_nc_u32_e32 v15, v5, v6
	v_lshlrev_b32_e32 v9, 16, v9
	v_mad_u32_u24 v3, v0, 33, v2
	v_sub_nc_u32_e32 v16, v8, v14
	v_cmp_ge_i32_e32 vcc_lo, v8, v14
	v_mul_u32_u24_e32 v0, 33, v0
	v_or_b32_e32 v17, v7, v9
	v_min_i32_e32 v7, v8, v15
	v_cndmask_b32_e32 v9, 0, v16, vcc_lo
	v_cmp_lt_u16_e32 vcc_lo, v12, v11
	s_delay_alu instid0(VALU_DEP_4)
	v_cndmask_b32_e32 v11, v13, v17, vcc_lo
	ds_store_b64 v3, v[10:11]
	; wave barrier
	v_cmpx_lt_i32_e64 v9, v7
	s_cbranch_execz .LBB104_4
; %bb.1:
	v_add_nc_u32_e32 v10, v0, v6
	s_delay_alu instid0(VALU_DEP_1)
	v_add3_u32 v11, v10, v8, 8
	.p2align	6
.LBB104_2:                              ; =>This Inner Loop Header: Depth=1
	v_sub_nc_u32_e32 v12, v7, v9
	s_delay_alu instid0(VALU_DEP_1) | instskip(NEXT) | instid1(VALU_DEP_1)
	v_lshrrev_b32_e32 v13, 31, v12
	v_add_nc_u32_e32 v12, v12, v13
	s_delay_alu instid0(VALU_DEP_1) | instskip(NEXT) | instid1(VALU_DEP_1)
	v_ashrrev_i32_e32 v12, 1, v12
	v_add_nc_u32_e32 v12, v12, v9
	s_delay_alu instid0(VALU_DEP_1)
	v_add_nc_u32_e32 v13, v10, v12
	v_xad_u32 v14, v12, -1, v11
	v_add_nc_u32_e32 v15, 1, v12
	ds_load_u8 v13, v13
	ds_load_u8 v14, v14
	s_waitcnt lgkmcnt(0)
	v_cmp_lt_u16_e32 vcc_lo, v14, v13
	v_cndmask_b32_e32 v7, v7, v12, vcc_lo
	v_cndmask_b32_e32 v9, v15, v9, vcc_lo
	s_delay_alu instid0(VALU_DEP_1) | instskip(SKIP_1) | instid1(SALU_CYCLE_1)
	v_cmp_ge_i32_e32 vcc_lo, v9, v7
	s_or_b32 s0, vcc_lo, s0
	s_and_not1_b32 exec_lo, exec_lo, s0
	s_cbranch_execnz .LBB104_2
; %bb.3:
	s_or_b32 exec_lo, exec_lo, s0
.LBB104_4:
	s_delay_alu instid0(SALU_CYCLE_1) | instskip(SKIP_4) | instid1(VALU_DEP_4)
	s_or_b32 exec_lo, exec_lo, s1
	v_add_nc_u32_e32 v7, v6, v8
	v_add_nc_u32_e32 v10, v9, v6
	;; [unrolled: 1-line block ×3, first 2 shown]
	v_cmp_lt_i32_e32 vcc_lo, 7, v9
	v_sub_nc_u32_e32 v6, v7, v9
	s_delay_alu instid0(VALU_DEP_4) | instskip(NEXT) | instid1(VALU_DEP_4)
	v_add_nc_u32_e32 v13, v0, v10
	v_sub_nc_u32_e32 v11, v8, v9
                                        ; implicit-def: $vgpr8
                                        ; implicit-def: $vgpr9
	s_delay_alu instid0(VALU_DEP_3)
	v_add_nc_u32_e32 v12, v0, v6
	ds_load_u8 v6, v13
	ds_load_u8 v7, v12 offset:8
	v_cmp_gt_i32_e64 s1, v4, v11
	s_waitcnt lgkmcnt(1)
	v_and_b32_e32 v14, 0xff, v6
	s_waitcnt lgkmcnt(0)
	v_and_b32_e32 v15, 0xff, v7
	s_delay_alu instid0(VALU_DEP_1) | instskip(NEXT) | instid1(VALU_DEP_1)
	v_cmp_lt_u16_e64 s0, v15, v14
	s_or_b32 s0, vcc_lo, s0
	s_delay_alu instid0(SALU_CYCLE_1) | instskip(NEXT) | instid1(SALU_CYCLE_1)
	s_and_b32 vcc_lo, s1, s0
	s_xor_b32 s0, vcc_lo, -1
	s_delay_alu instid0(SALU_CYCLE_1) | instskip(NEXT) | instid1(SALU_CYCLE_1)
	s_and_saveexec_b32 s1, s0
	s_xor_b32 s0, exec_lo, s1
	s_cbranch_execz .LBB104_6
; %bb.5:
	ds_load_u8 v9, v13 offset:1
	v_mov_b32_e32 v8, v7
                                        ; implicit-def: $vgpr12
.LBB104_6:
	s_and_not1_saveexec_b32 s0, s0
	s_cbranch_execz .LBB104_8
; %bb.7:
	ds_load_u8 v8, v12 offset:9
	s_waitcnt lgkmcnt(1)
	v_mov_b32_e32 v9, v6
.LBB104_8:
	s_or_b32 exec_lo, exec_lo, s0
	v_add_nc_u32_e32 v12, 1, v10
	v_add_nc_u32_e32 v14, 1, v11
	s_waitcnt lgkmcnt(0)
	v_and_b32_e32 v15, 0xff, v9
	s_delay_alu instid0(VALU_DEP_3) | instskip(NEXT) | instid1(VALU_DEP_3)
	v_cndmask_b32_e32 v13, v12, v10, vcc_lo
	v_cndmask_b32_e32 v12, v11, v14, vcc_lo
	v_and_b32_e32 v10, 0xff, v8
	s_delay_alu instid0(VALU_DEP_3) | instskip(NEXT) | instid1(VALU_DEP_3)
	v_cmp_ge_i32_e64 s0, v13, v5
	v_cmp_lt_i32_e64 s2, v12, v4
	s_delay_alu instid0(VALU_DEP_3) | instskip(NEXT) | instid1(VALU_DEP_1)
	v_cmp_lt_u16_e64 s1, v10, v15
                                        ; implicit-def: $vgpr10
	s_or_b32 s0, s0, s1
	s_delay_alu instid0(VALU_DEP_2) | instid1(SALU_CYCLE_1)
	s_and_b32 s0, s2, s0
	s_delay_alu instid0(SALU_CYCLE_1) | instskip(NEXT) | instid1(SALU_CYCLE_1)
	s_xor_b32 s1, s0, -1
	s_and_saveexec_b32 s2, s1
	s_delay_alu instid0(SALU_CYCLE_1)
	s_xor_b32 s1, exec_lo, s2
	s_cbranch_execz .LBB104_10
; %bb.9:
	v_add_nc_u32_e32 v10, v0, v13
	ds_load_u8 v10, v10 offset:1
.LBB104_10:
	s_or_saveexec_b32 s1, s1
	v_mov_b32_e32 v11, v8
	s_xor_b32 exec_lo, exec_lo, s1
	s_cbranch_execz .LBB104_12
; %bb.11:
	s_waitcnt lgkmcnt(0)
	v_add_nc_u32_e32 v10, v0, v12
	ds_load_u8 v11, v10 offset:1
	v_mov_b32_e32 v10, v9
.LBB104_12:
	s_or_b32 exec_lo, exec_lo, s1
	v_add_nc_u32_e32 v14, 1, v13
	v_add_nc_u32_e32 v16, 1, v12
	s_waitcnt lgkmcnt(0)
	v_and_b32_e32 v17, 0xff, v10
	s_delay_alu instid0(VALU_DEP_3) | instskip(SKIP_2) | instid1(VALU_DEP_3)
	v_cndmask_b32_e64 v15, v14, v13, s0
	v_and_b32_e32 v13, 0xff, v11
	v_cndmask_b32_e64 v14, v12, v16, s0
                                        ; implicit-def: $vgpr12
	v_cmp_ge_i32_e64 s1, v15, v5
	s_delay_alu instid0(VALU_DEP_3) | instskip(NEXT) | instid1(VALU_DEP_3)
	v_cmp_lt_u16_e64 s2, v13, v17
	v_cmp_lt_i32_e64 s3, v14, v4
	s_delay_alu instid0(VALU_DEP_2)
	s_or_b32 s1, s1, s2
	s_delay_alu instid0(VALU_DEP_1) | instid1(SALU_CYCLE_1)
	s_and_b32 s1, s3, s1
	s_delay_alu instid0(SALU_CYCLE_1) | instskip(NEXT) | instid1(SALU_CYCLE_1)
	s_xor_b32 s2, s1, -1
	s_and_saveexec_b32 s3, s2
	s_delay_alu instid0(SALU_CYCLE_1)
	s_xor_b32 s2, exec_lo, s3
	s_cbranch_execz .LBB104_14
; %bb.13:
	v_add_nc_u32_e32 v12, v0, v15
	ds_load_u8 v12, v12 offset:1
.LBB104_14:
	s_or_saveexec_b32 s2, s2
	v_mov_b32_e32 v13, v11
	s_xor_b32 exec_lo, exec_lo, s2
	s_cbranch_execz .LBB104_16
; %bb.15:
	s_waitcnt lgkmcnt(0)
	v_add_nc_u32_e32 v12, v0, v14
	ds_load_u8 v13, v12 offset:1
	v_mov_b32_e32 v12, v10
.LBB104_16:
	s_or_b32 exec_lo, exec_lo, s2
	v_add_nc_u32_e32 v16, 1, v15
	v_add_nc_u32_e32 v18, 1, v14
	s_waitcnt lgkmcnt(0)
	v_and_b32_e32 v19, 0xff, v12
	s_delay_alu instid0(VALU_DEP_3) | instskip(SKIP_2) | instid1(VALU_DEP_3)
	v_cndmask_b32_e64 v17, v16, v15, s1
	v_and_b32_e32 v15, 0xff, v13
	v_cndmask_b32_e64 v16, v14, v18, s1
                                        ; implicit-def: $vgpr14
	v_cmp_ge_i32_e64 s2, v17, v5
	s_delay_alu instid0(VALU_DEP_3) | instskip(NEXT) | instid1(VALU_DEP_3)
	v_cmp_lt_u16_e64 s3, v15, v19
	v_cmp_lt_i32_e64 s4, v16, v4
	s_delay_alu instid0(VALU_DEP_2)
	s_or_b32 s2, s2, s3
	s_delay_alu instid0(VALU_DEP_1) | instid1(SALU_CYCLE_1)
	s_and_b32 s2, s4, s2
	s_delay_alu instid0(SALU_CYCLE_1) | instskip(NEXT) | instid1(SALU_CYCLE_1)
	s_xor_b32 s3, s2, -1
	s_and_saveexec_b32 s4, s3
	s_delay_alu instid0(SALU_CYCLE_1)
	s_xor_b32 s3, exec_lo, s4
	s_cbranch_execz .LBB104_18
; %bb.17:
	v_add_nc_u32_e32 v14, v0, v17
	ds_load_u8 v14, v14 offset:1
.LBB104_18:
	s_or_saveexec_b32 s3, s3
	v_mov_b32_e32 v15, v13
	s_xor_b32 exec_lo, exec_lo, s3
	s_cbranch_execz .LBB104_20
; %bb.19:
	s_waitcnt lgkmcnt(0)
	v_add_nc_u32_e32 v14, v0, v16
	ds_load_u8 v15, v14 offset:1
	v_mov_b32_e32 v14, v12
.LBB104_20:
	s_or_b32 exec_lo, exec_lo, s3
	v_add_nc_u32_e32 v18, 1, v17
	v_add_nc_u32_e32 v20, 1, v16
	s_waitcnt lgkmcnt(0)
	v_and_b32_e32 v21, 0xff, v14
	s_delay_alu instid0(VALU_DEP_3) | instskip(SKIP_2) | instid1(VALU_DEP_3)
	v_cndmask_b32_e64 v19, v18, v17, s2
	v_and_b32_e32 v17, 0xff, v15
	v_cndmask_b32_e64 v18, v16, v20, s2
                                        ; implicit-def: $vgpr16
	v_cmp_ge_i32_e64 s3, v19, v5
	s_delay_alu instid0(VALU_DEP_3) | instskip(NEXT) | instid1(VALU_DEP_3)
	v_cmp_lt_u16_e64 s4, v17, v21
	v_cmp_lt_i32_e64 s5, v18, v4
	s_delay_alu instid0(VALU_DEP_2)
	s_or_b32 s3, s3, s4
	s_delay_alu instid0(VALU_DEP_1) | instid1(SALU_CYCLE_1)
	s_and_b32 s3, s5, s3
	s_delay_alu instid0(SALU_CYCLE_1) | instskip(NEXT) | instid1(SALU_CYCLE_1)
	s_xor_b32 s4, s3, -1
	s_and_saveexec_b32 s5, s4
	s_delay_alu instid0(SALU_CYCLE_1)
	s_xor_b32 s4, exec_lo, s5
	s_cbranch_execz .LBB104_22
; %bb.21:
	v_add_nc_u32_e32 v16, v0, v19
	ds_load_u8 v16, v16 offset:1
.LBB104_22:
	s_or_saveexec_b32 s4, s4
	v_mov_b32_e32 v17, v15
	s_xor_b32 exec_lo, exec_lo, s4
	s_cbranch_execz .LBB104_24
; %bb.23:
	s_waitcnt lgkmcnt(0)
	v_add_nc_u32_e32 v16, v0, v18
	ds_load_u8 v17, v16 offset:1
	v_mov_b32_e32 v16, v14
.LBB104_24:
	s_or_b32 exec_lo, exec_lo, s4
	v_add_nc_u32_e32 v20, 1, v19
	v_add_nc_u32_e32 v22, 1, v18
	s_waitcnt lgkmcnt(0)
	v_and_b32_e32 v23, 0xff, v16
	s_delay_alu instid0(VALU_DEP_3) | instskip(SKIP_2) | instid1(VALU_DEP_3)
	v_cndmask_b32_e64 v21, v20, v19, s3
	v_and_b32_e32 v19, 0xff, v17
	v_cndmask_b32_e64 v20, v18, v22, s3
                                        ; implicit-def: $vgpr18
	v_cmp_ge_i32_e64 s4, v21, v5
	s_delay_alu instid0(VALU_DEP_3) | instskip(NEXT) | instid1(VALU_DEP_3)
	v_cmp_lt_u16_e64 s5, v19, v23
	v_cmp_lt_i32_e64 s6, v20, v4
	s_delay_alu instid0(VALU_DEP_2)
	s_or_b32 s4, s4, s5
	s_delay_alu instid0(VALU_DEP_1) | instid1(SALU_CYCLE_1)
	s_and_b32 s4, s6, s4
	s_delay_alu instid0(SALU_CYCLE_1) | instskip(NEXT) | instid1(SALU_CYCLE_1)
	s_xor_b32 s5, s4, -1
	s_and_saveexec_b32 s6, s5
	s_delay_alu instid0(SALU_CYCLE_1)
	s_xor_b32 s5, exec_lo, s6
	s_cbranch_execz .LBB104_26
; %bb.25:
	v_add_nc_u32_e32 v18, v0, v21
	ds_load_u8 v18, v18 offset:1
.LBB104_26:
	s_or_saveexec_b32 s5, s5
	v_mov_b32_e32 v19, v17
	s_xor_b32 exec_lo, exec_lo, s5
	s_cbranch_execz .LBB104_28
; %bb.27:
	s_waitcnt lgkmcnt(0)
	v_add_nc_u32_e32 v18, v0, v20
	ds_load_u8 v19, v18 offset:1
	v_mov_b32_e32 v18, v16
.LBB104_28:
	s_or_b32 exec_lo, exec_lo, s5
	v_add_nc_u32_e32 v22, 1, v21
	v_add_nc_u32_e32 v23, 1, v20
	s_waitcnt lgkmcnt(0)
	v_and_b32_e32 v24, 0xff, v18
	s_delay_alu instid0(VALU_DEP_3) | instskip(SKIP_2) | instid1(VALU_DEP_3)
	v_cndmask_b32_e64 v21, v22, v21, s4
	v_and_b32_e32 v22, 0xff, v19
	v_cndmask_b32_e64 v20, v20, v23, s4
	v_cmp_ge_i32_e64 s5, v21, v5
	s_delay_alu instid0(VALU_DEP_3) | instskip(NEXT) | instid1(VALU_DEP_3)
	v_cmp_lt_u16_e64 s6, v22, v24
	v_cmp_lt_i32_e64 s7, v20, v4
                                        ; implicit-def: $vgpr22
	s_delay_alu instid0(VALU_DEP_2)
	s_or_b32 s5, s5, s6
	s_delay_alu instid0(VALU_DEP_1) | instid1(SALU_CYCLE_1)
	s_and_b32 s5, s7, s5
	s_delay_alu instid0(SALU_CYCLE_1) | instskip(NEXT) | instid1(SALU_CYCLE_1)
	s_xor_b32 s6, s5, -1
	s_and_saveexec_b32 s7, s6
	s_delay_alu instid0(SALU_CYCLE_1)
	s_xor_b32 s6, exec_lo, s7
	s_cbranch_execz .LBB104_30
; %bb.29:
	v_add_nc_u32_e32 v22, v0, v21
	ds_load_u8 v22, v22 offset:1
.LBB104_30:
	s_or_saveexec_b32 s6, s6
	v_mov_b32_e32 v23, v19
	s_xor_b32 exec_lo, exec_lo, s6
	s_cbranch_execz .LBB104_32
; %bb.31:
	s_waitcnt lgkmcnt(0)
	v_add_nc_u32_e32 v22, v0, v20
	ds_load_u8 v23, v22 offset:1
	v_mov_b32_e32 v22, v18
.LBB104_32:
	s_or_b32 exec_lo, exec_lo, s6
	v_add_nc_u32_e32 v24, 1, v21
	v_cndmask_b32_e64 v18, v18, v19, s5
	v_dual_cndmask_b32 v6, v6, v7 :: v_dual_add_nc_u32 v19, 1, v20
	s_waitcnt lgkmcnt(0)
	v_and_b32_e32 v25, 0xff, v22
	v_and_b32_e32 v26, 0xff, v23
	v_cndmask_b32_e64 v21, v24, v21, s5
	v_cndmask_b32_e64 v16, v16, v17, s4
	;; [unrolled: 1-line block ×4, first 2 shown]
	v_cmp_lt_u16_e64 s3, v26, v25
	v_cmp_ge_i32_e64 s4, v21, v5
	v_cndmask_b32_e64 v5, v12, v13, s2
	v_cmp_lt_i32_e64 s2, v17, v4
	v_cndmask_b32_e64 v4, v9, v8, s0
	v_cndmask_b32_e64 v7, v10, v11, s1
	s_or_b32 s0, s4, s3
	v_and_b32_e32 v6, 0xff, v6
	s_and_b32 vcc_lo, s2, s0
	v_lshlrev_b16 v4, 8, v4
	v_cndmask_b32_e32 v8, v22, v23, vcc_lo
	v_lshlrev_b16 v5, 8, v5
	v_and_b32_e32 v7, 0xff, v7
	v_lshlrev_b16 v9, 8, v16
	v_and_b32_e32 v10, 0xff, v14
	v_and_b32_e32 v11, 0xff, v18
	v_lshlrev_b16 v8, 8, v8
	v_or_b32_e32 v4, v6, v4
	v_or_b32_e32 v5, v7, v5
	;; [unrolled: 1-line block ×3, first 2 shown]
	s_mov_b32 s0, exec_lo
	v_or_b32_e32 v7, v11, v8
	v_and_b32_e32 v8, 0xffff, v4
	v_lshlrev_b32_e32 v5, 16, v5
	v_and_b32_e32 v9, 0xffff, v6
	v_sub_nc_u32_e64 v6, v2, 16 clamp
	v_lshlrev_b32_e32 v10, 16, v7
	v_min_i32_e32 v4, 16, v2
	v_or_b32_e32 v7, v8, v5
	; wave barrier
	s_delay_alu instid0(VALU_DEP_3)
	v_or_b32_e32 v8, v9, v10
	ds_store_b64 v3, v[7:8]
	; wave barrier
	v_cmpx_lt_u32_e64 v6, v4
	s_cbranch_execz .LBB104_36
; %bb.33:
	s_mov_b32 s1, 0
	.p2align	6
.LBB104_34:                             ; =>This Inner Loop Header: Depth=1
	v_sub_nc_u32_e32 v5, v4, v6
	s_delay_alu instid0(VALU_DEP_1) | instskip(NEXT) | instid1(VALU_DEP_1)
	v_lshrrev_b32_e32 v7, 31, v5
	v_add_nc_u32_e32 v5, v5, v7
	s_delay_alu instid0(VALU_DEP_1) | instskip(NEXT) | instid1(VALU_DEP_1)
	v_ashrrev_i32_e32 v5, 1, v5
	v_add_nc_u32_e32 v5, v5, v6
	s_delay_alu instid0(VALU_DEP_1)
	v_add_nc_u32_e32 v9, 1, v5
	v_add_nc_u32_e32 v7, v0, v5
	v_xad_u32 v8, v5, -1, v3
	ds_load_u8 v7, v7
	ds_load_u8 v8, v8 offset:16
	s_waitcnt lgkmcnt(0)
	v_cmp_lt_u16_e32 vcc_lo, v8, v7
	v_cndmask_b32_e32 v6, v9, v6, vcc_lo
	v_cndmask_b32_e32 v4, v4, v5, vcc_lo
	s_delay_alu instid0(VALU_DEP_1) | instskip(SKIP_1) | instid1(SALU_CYCLE_1)
	v_cmp_ge_i32_e32 vcc_lo, v6, v4
	s_or_b32 s1, vcc_lo, s1
	s_and_not1_b32 exec_lo, exec_lo, s1
	s_cbranch_execnz .LBB104_34
; %bb.35:
	s_or_b32 exec_lo, exec_lo, s1
.LBB104_36:
	s_delay_alu instid0(SALU_CYCLE_1) | instskip(SKIP_3) | instid1(VALU_DEP_3)
	s_or_b32 exec_lo, exec_lo, s0
	v_sub_nc_u32_e32 v4, v2, v6
	v_add_nc_u32_e32 v9, v0, v6
	v_cmp_lt_i32_e32 vcc_lo, 15, v6
	v_add_nc_u32_e32 v8, v0, v4
	v_add_nc_u32_e32 v7, 16, v4
                                        ; implicit-def: $vgpr4
	ds_load_u8 v2, v9
	ds_load_u8 v3, v8 offset:16
	v_cmp_gt_i32_e64 s1, 32, v7
	s_waitcnt lgkmcnt(1)
	v_and_b32_e32 v5, 0xff, v2
	s_waitcnt lgkmcnt(0)
	v_and_b32_e32 v10, 0xff, v3
	s_delay_alu instid0(VALU_DEP_1) | instskip(NEXT) | instid1(VALU_DEP_1)
	v_cmp_lt_u16_e64 s0, v10, v5
                                        ; implicit-def: $vgpr5
	s_or_b32 s0, vcc_lo, s0
	s_delay_alu instid0(SALU_CYCLE_1) | instskip(NEXT) | instid1(SALU_CYCLE_1)
	s_and_b32 vcc_lo, s1, s0
	s_xor_b32 s0, vcc_lo, -1
	s_delay_alu instid0(SALU_CYCLE_1) | instskip(NEXT) | instid1(SALU_CYCLE_1)
	s_and_saveexec_b32 s1, s0
	s_xor_b32 s0, exec_lo, s1
	s_cbranch_execz .LBB104_38
; %bb.37:
	ds_load_u8 v5, v9 offset:1
	v_mov_b32_e32 v4, v3
                                        ; implicit-def: $vgpr8
.LBB104_38:
	s_and_not1_saveexec_b32 s0, s0
	s_cbranch_execz .LBB104_40
; %bb.39:
	ds_load_u8 v4, v8 offset:17
	s_waitcnt lgkmcnt(1)
	v_mov_b32_e32 v5, v2
.LBB104_40:
	s_or_b32 exec_lo, exec_lo, s0
	v_add_nc_u32_e32 v8, 1, v6
	v_add_nc_u32_e32 v10, 1, v7
	s_waitcnt lgkmcnt(0)
	v_and_b32_e32 v11, 0xff, v5
	s_delay_alu instid0(VALU_DEP_3) | instskip(NEXT) | instid1(VALU_DEP_3)
	v_cndmask_b32_e32 v9, v8, v6, vcc_lo
	v_cndmask_b32_e32 v8, v7, v10, vcc_lo
	v_and_b32_e32 v6, 0xff, v4
	s_delay_alu instid0(VALU_DEP_3) | instskip(NEXT) | instid1(VALU_DEP_3)
	v_cmp_lt_i32_e64 s0, 15, v9
	v_cmp_gt_i32_e64 s2, 32, v8
	s_delay_alu instid0(VALU_DEP_3) | instskip(NEXT) | instid1(VALU_DEP_1)
	v_cmp_lt_u16_e64 s1, v6, v11
                                        ; implicit-def: $vgpr6
	s_or_b32 s0, s0, s1
	s_delay_alu instid0(VALU_DEP_2) | instid1(SALU_CYCLE_1)
	s_and_b32 s0, s2, s0
	s_delay_alu instid0(SALU_CYCLE_1) | instskip(NEXT) | instid1(SALU_CYCLE_1)
	s_xor_b32 s1, s0, -1
	s_and_saveexec_b32 s2, s1
	s_delay_alu instid0(SALU_CYCLE_1)
	s_xor_b32 s1, exec_lo, s2
	s_cbranch_execz .LBB104_42
; %bb.41:
	v_add_nc_u32_e32 v6, v0, v9
	ds_load_u8 v6, v6 offset:1
.LBB104_42:
	s_or_saveexec_b32 s1, s1
	v_mov_b32_e32 v7, v4
	s_xor_b32 exec_lo, exec_lo, s1
	s_cbranch_execz .LBB104_44
; %bb.43:
	s_waitcnt lgkmcnt(0)
	v_add_nc_u32_e32 v6, v0, v8
	ds_load_u8 v7, v6 offset:1
	v_mov_b32_e32 v6, v5
.LBB104_44:
	s_or_b32 exec_lo, exec_lo, s1
	v_add_nc_u32_e32 v10, 1, v9
	v_add_nc_u32_e32 v12, 1, v8
	s_waitcnt lgkmcnt(0)
	v_and_b32_e32 v13, 0xff, v6
	s_delay_alu instid0(VALU_DEP_3) | instskip(SKIP_2) | instid1(VALU_DEP_3)
	v_cndmask_b32_e64 v11, v10, v9, s0
	v_and_b32_e32 v9, 0xff, v7
	v_cndmask_b32_e64 v10, v8, v12, s0
                                        ; implicit-def: $vgpr8
	v_cmp_lt_i32_e64 s1, 15, v11
	s_delay_alu instid0(VALU_DEP_3) | instskip(NEXT) | instid1(VALU_DEP_3)
	v_cmp_lt_u16_e64 s2, v9, v13
	v_cmp_gt_i32_e64 s3, 32, v10
	s_delay_alu instid0(VALU_DEP_2)
	s_or_b32 s1, s1, s2
	s_delay_alu instid0(VALU_DEP_1) | instid1(SALU_CYCLE_1)
	s_and_b32 s1, s3, s1
	s_delay_alu instid0(SALU_CYCLE_1) | instskip(NEXT) | instid1(SALU_CYCLE_1)
	s_xor_b32 s2, s1, -1
	s_and_saveexec_b32 s3, s2
	s_delay_alu instid0(SALU_CYCLE_1)
	s_xor_b32 s2, exec_lo, s3
	s_cbranch_execz .LBB104_46
; %bb.45:
	v_add_nc_u32_e32 v8, v0, v11
	ds_load_u8 v8, v8 offset:1
.LBB104_46:
	s_or_saveexec_b32 s2, s2
	v_mov_b32_e32 v9, v7
	s_xor_b32 exec_lo, exec_lo, s2
	s_cbranch_execz .LBB104_48
; %bb.47:
	s_waitcnt lgkmcnt(0)
	v_add_nc_u32_e32 v8, v0, v10
	ds_load_u8 v9, v8 offset:1
	v_mov_b32_e32 v8, v6
.LBB104_48:
	s_or_b32 exec_lo, exec_lo, s2
	v_add_nc_u32_e32 v12, 1, v11
	v_add_nc_u32_e32 v14, 1, v10
	s_waitcnt lgkmcnt(0)
	v_and_b32_e32 v15, 0xff, v8
	s_delay_alu instid0(VALU_DEP_3) | instskip(SKIP_2) | instid1(VALU_DEP_3)
	v_cndmask_b32_e64 v13, v12, v11, s1
	v_and_b32_e32 v11, 0xff, v9
	v_cndmask_b32_e64 v12, v10, v14, s1
                                        ; implicit-def: $vgpr10
	v_cmp_lt_i32_e64 s2, 15, v13
	s_delay_alu instid0(VALU_DEP_3) | instskip(NEXT) | instid1(VALU_DEP_3)
	v_cmp_lt_u16_e64 s3, v11, v15
	v_cmp_gt_i32_e64 s4, 32, v12
	s_delay_alu instid0(VALU_DEP_2)
	s_or_b32 s2, s2, s3
	s_delay_alu instid0(VALU_DEP_1) | instid1(SALU_CYCLE_1)
	s_and_b32 s2, s4, s2
	s_delay_alu instid0(SALU_CYCLE_1) | instskip(NEXT) | instid1(SALU_CYCLE_1)
	s_xor_b32 s3, s2, -1
	s_and_saveexec_b32 s4, s3
	s_delay_alu instid0(SALU_CYCLE_1)
	s_xor_b32 s3, exec_lo, s4
	s_cbranch_execz .LBB104_50
; %bb.49:
	v_add_nc_u32_e32 v10, v0, v13
	ds_load_u8 v10, v10 offset:1
.LBB104_50:
	s_or_saveexec_b32 s3, s3
	v_mov_b32_e32 v11, v9
	s_xor_b32 exec_lo, exec_lo, s3
	s_cbranch_execz .LBB104_52
; %bb.51:
	s_waitcnt lgkmcnt(0)
	v_add_nc_u32_e32 v10, v0, v12
	ds_load_u8 v11, v10 offset:1
	v_mov_b32_e32 v10, v8
.LBB104_52:
	s_or_b32 exec_lo, exec_lo, s3
	v_add_nc_u32_e32 v14, 1, v13
	v_add_nc_u32_e32 v16, 1, v12
	s_waitcnt lgkmcnt(0)
	v_and_b32_e32 v17, 0xff, v10
	s_delay_alu instid0(VALU_DEP_3) | instskip(SKIP_2) | instid1(VALU_DEP_3)
	v_cndmask_b32_e64 v15, v14, v13, s2
	v_and_b32_e32 v13, 0xff, v11
	v_cndmask_b32_e64 v14, v12, v16, s2
                                        ; implicit-def: $vgpr12
	v_cmp_lt_i32_e64 s3, 15, v15
	s_delay_alu instid0(VALU_DEP_3) | instskip(NEXT) | instid1(VALU_DEP_3)
	v_cmp_lt_u16_e64 s4, v13, v17
	v_cmp_gt_i32_e64 s5, 32, v14
	s_delay_alu instid0(VALU_DEP_2)
	s_or_b32 s3, s3, s4
	s_delay_alu instid0(VALU_DEP_1) | instid1(SALU_CYCLE_1)
	s_and_b32 s3, s5, s3
	s_delay_alu instid0(SALU_CYCLE_1) | instskip(NEXT) | instid1(SALU_CYCLE_1)
	s_xor_b32 s4, s3, -1
	s_and_saveexec_b32 s5, s4
	s_delay_alu instid0(SALU_CYCLE_1)
	s_xor_b32 s4, exec_lo, s5
	s_cbranch_execz .LBB104_54
; %bb.53:
	v_add_nc_u32_e32 v12, v0, v15
	ds_load_u8 v12, v12 offset:1
.LBB104_54:
	s_or_saveexec_b32 s4, s4
	v_mov_b32_e32 v13, v11
	s_xor_b32 exec_lo, exec_lo, s4
	s_cbranch_execz .LBB104_56
; %bb.55:
	s_waitcnt lgkmcnt(0)
	v_add_nc_u32_e32 v12, v0, v14
	ds_load_u8 v13, v12 offset:1
	v_mov_b32_e32 v12, v10
.LBB104_56:
	s_or_b32 exec_lo, exec_lo, s4
	v_add_nc_u32_e32 v16, 1, v15
	v_add_nc_u32_e32 v18, 1, v14
	s_waitcnt lgkmcnt(0)
	v_and_b32_e32 v19, 0xff, v12
	s_delay_alu instid0(VALU_DEP_3) | instskip(SKIP_2) | instid1(VALU_DEP_3)
	v_cndmask_b32_e64 v17, v16, v15, s3
	v_and_b32_e32 v15, 0xff, v13
	v_cndmask_b32_e64 v16, v14, v18, s3
	v_cmp_lt_i32_e64 s4, 15, v17
	s_delay_alu instid0(VALU_DEP_3) | instskip(NEXT) | instid1(VALU_DEP_3)
	v_cmp_lt_u16_e64 s5, v15, v19
	v_cmp_gt_i32_e64 s6, 32, v16
                                        ; implicit-def: $vgpr15
	s_delay_alu instid0(VALU_DEP_2)
	s_or_b32 s4, s4, s5
	s_delay_alu instid0(VALU_DEP_1) | instid1(SALU_CYCLE_1)
	s_and_b32 s4, s6, s4
	s_delay_alu instid0(SALU_CYCLE_1) | instskip(NEXT) | instid1(SALU_CYCLE_1)
	s_xor_b32 s5, s4, -1
	s_and_saveexec_b32 s6, s5
	s_delay_alu instid0(SALU_CYCLE_1)
	s_xor_b32 s5, exec_lo, s6
	s_cbranch_execz .LBB104_58
; %bb.57:
	v_add_nc_u32_e32 v14, v0, v17
	ds_load_u8 v15, v14 offset:1
.LBB104_58:
	s_or_saveexec_b32 s5, s5
	v_mov_b32_e32 v14, v13
	s_xor_b32 exec_lo, exec_lo, s5
	s_cbranch_execz .LBB104_60
; %bb.59:
	v_add_nc_u32_e32 v14, v0, v16
	s_waitcnt lgkmcnt(0)
	v_mov_b32_e32 v15, v12
	ds_load_u8 v14, v14 offset:1
.LBB104_60:
	s_or_b32 exec_lo, exec_lo, s5
	v_add_nc_u32_e32 v18, 1, v17
	v_add_nc_u32_e32 v19, 1, v16
	s_waitcnt lgkmcnt(0)
	v_and_b32_e32 v21, 0xff, v15
	s_delay_alu instid0(VALU_DEP_3) | instskip(SKIP_2) | instid1(VALU_DEP_3)
	v_cndmask_b32_e64 v20, v18, v17, s4
	v_and_b32_e32 v17, 0xff, v14
	v_cndmask_b32_e64 v16, v16, v19, s4
                                        ; implicit-def: $vgpr19
	v_cmp_gt_i32_e64 s5, 16, v20
	s_delay_alu instid0(VALU_DEP_3) | instskip(NEXT) | instid1(VALU_DEP_3)
	v_cmp_ge_u16_e64 s6, v17, v21
	v_cmp_lt_i32_e64 s7, 31, v16
                                        ; implicit-def: $vgpr17
	s_delay_alu instid0(VALU_DEP_2)
	s_and_b32 s5, s5, s6
	s_delay_alu instid0(VALU_DEP_1) | instid1(SALU_CYCLE_1)
	s_or_b32 s5, s7, s5
	s_delay_alu instid0(SALU_CYCLE_1) | instskip(NEXT) | instid1(SALU_CYCLE_1)
	s_and_saveexec_b32 s6, s5
	s_xor_b32 s5, exec_lo, s6
	s_cbranch_execz .LBB104_62
; %bb.61:
	v_add_nc_u32_e32 v0, v0, v20
	v_add_nc_u32_e32 v19, 1, v20
                                        ; implicit-def: $vgpr20
	ds_load_u8 v17, v0 offset:1
                                        ; implicit-def: $vgpr0
.LBB104_62:
	s_or_saveexec_b32 s5, s5
	v_mov_b32_e32 v18, v15
	s_xor_b32 exec_lo, exec_lo, s5
	s_cbranch_execz .LBB104_64
; %bb.63:
	s_waitcnt lgkmcnt(0)
	v_dual_mov_b32 v17, v15 :: v_dual_add_nc_u32 v0, v0, v16
	v_dual_mov_b32 v19, v20 :: v_dual_add_nc_u32 v16, 1, v16
	v_mov_b32_e32 v18, v14
	ds_load_u8 v0, v0 offset:1
	s_waitcnt lgkmcnt(0)
	v_mov_b32_e32 v14, v0
.LBB104_64:
	s_or_b32 exec_lo, exec_lo, s5
	s_waitcnt lgkmcnt(0)
	v_and_b32_e32 v0, 0xff, v17
	s_delay_alu instid0(VALU_DEP_2) | instskip(SKIP_3) | instid1(VALU_DEP_4)
	v_dual_cndmask_b32 v2, v2, v3 :: v_dual_and_b32 v15, 0xff, v14
	v_cndmask_b32_e64 v12, v12, v13, s4
	v_cndmask_b32_e64 v10, v10, v11, s3
	v_cmp_lt_i32_e64 s3, 15, v19
	v_cmp_lt_u16_e64 s4, v15, v0
	v_cndmask_b32_e64 v0, v8, v9, s2
	v_cmp_gt_i32_e64 s2, 32, v16
	v_cndmask_b32_e64 v4, v5, v4, s0
	v_cndmask_b32_e64 v3, v6, v7, s1
	s_or_b32 s0, s3, s4
	v_and_b32_e32 v2, 0xff, v2
	s_and_b32 vcc_lo, s2, s0
	v_lshlrev_b16 v4, 8, v4
	v_cndmask_b32_e32 v5, v17, v14, vcc_lo
	v_lshlrev_b16 v0, 8, v0
	v_and_b32_e32 v3, 0xff, v3
	v_lshlrev_b16 v6, 8, v12
	v_and_b32_e32 v7, 0xff, v10
	;; [unrolled: 2-line block ×3, first 2 shown]
	v_or_b32_e32 v2, v2, v4
	v_or_b32_e32 v0, v3, v0
	;; [unrolled: 1-line block ×3, first 2 shown]
	s_add_u32 s0, s10, s12
	v_or_b32_e32 v4, v8, v5
	v_and_b32_e32 v2, 0xffff, v2
	v_lshlrev_b32_e32 v5, 16, v0
	v_and_b32_e32 v3, 0xffff, v3
	s_addc_u32 s1, s11, 0
	v_lshlrev_b32_e32 v4, 16, v4
	v_add_co_u32 v0, s0, s0, v1
	s_delay_alu instid0(VALU_DEP_1) | instskip(SKIP_1) | instid1(VALU_DEP_4)
	v_add_co_ci_u32_e64 v1, null, s1, 0, s0
	v_or_b32_e32 v2, v2, v5
	v_or_b32_e32 v3, v3, v4
	global_store_b64 v[0:1], v[2:3], off
	s_nop 0
	s_sendmsg sendmsg(MSG_DEALLOC_VGPRS)
	s_endpgm
	.section	.rodata,"a",@progbits
	.p2align	6, 0x0
	.amdhsa_kernel _Z9sort_keysILj256ELj4ELj8EhN10test_utils4lessEEvPKT2_PS2_T3_
		.amdhsa_group_segment_fixed_size 2112
		.amdhsa_private_segment_fixed_size 0
		.amdhsa_kernarg_size 20
		.amdhsa_user_sgpr_count 15
		.amdhsa_user_sgpr_dispatch_ptr 0
		.amdhsa_user_sgpr_queue_ptr 0
		.amdhsa_user_sgpr_kernarg_segment_ptr 1
		.amdhsa_user_sgpr_dispatch_id 0
		.amdhsa_user_sgpr_private_segment_size 0
		.amdhsa_wavefront_size32 1
		.amdhsa_uses_dynamic_stack 0
		.amdhsa_enable_private_segment 0
		.amdhsa_system_sgpr_workgroup_id_x 1
		.amdhsa_system_sgpr_workgroup_id_y 0
		.amdhsa_system_sgpr_workgroup_id_z 0
		.amdhsa_system_sgpr_workgroup_info 0
		.amdhsa_system_vgpr_workitem_id 0
		.amdhsa_next_free_vgpr 27
		.amdhsa_next_free_sgpr 16
		.amdhsa_reserve_vcc 1
		.amdhsa_float_round_mode_32 0
		.amdhsa_float_round_mode_16_64 0
		.amdhsa_float_denorm_mode_32 3
		.amdhsa_float_denorm_mode_16_64 3
		.amdhsa_dx10_clamp 1
		.amdhsa_ieee_mode 1
		.amdhsa_fp16_overflow 0
		.amdhsa_workgroup_processor_mode 1
		.amdhsa_memory_ordered 1
		.amdhsa_forward_progress 0
		.amdhsa_shared_vgpr_count 0
		.amdhsa_exception_fp_ieee_invalid_op 0
		.amdhsa_exception_fp_denorm_src 0
		.amdhsa_exception_fp_ieee_div_zero 0
		.amdhsa_exception_fp_ieee_overflow 0
		.amdhsa_exception_fp_ieee_underflow 0
		.amdhsa_exception_fp_ieee_inexact 0
		.amdhsa_exception_int_div_zero 0
	.end_amdhsa_kernel
	.section	.text._Z9sort_keysILj256ELj4ELj8EhN10test_utils4lessEEvPKT2_PS2_T3_,"axG",@progbits,_Z9sort_keysILj256ELj4ELj8EhN10test_utils4lessEEvPKT2_PS2_T3_,comdat
.Lfunc_end104:
	.size	_Z9sort_keysILj256ELj4ELj8EhN10test_utils4lessEEvPKT2_PS2_T3_, .Lfunc_end104-_Z9sort_keysILj256ELj4ELj8EhN10test_utils4lessEEvPKT2_PS2_T3_
                                        ; -- End function
	.section	.AMDGPU.csdata,"",@progbits
; Kernel info:
; codeLenInByte = 5328
; NumSgprs: 18
; NumVgprs: 27
; ScratchSize: 0
; MemoryBound: 0
; FloatMode: 240
; IeeeMode: 1
; LDSByteSize: 2112 bytes/workgroup (compile time only)
; SGPRBlocks: 2
; VGPRBlocks: 3
; NumSGPRsForWavesPerEU: 18
; NumVGPRsForWavesPerEU: 27
; Occupancy: 16
; WaveLimiterHint : 0
; COMPUTE_PGM_RSRC2:SCRATCH_EN: 0
; COMPUTE_PGM_RSRC2:USER_SGPR: 15
; COMPUTE_PGM_RSRC2:TRAP_HANDLER: 0
; COMPUTE_PGM_RSRC2:TGID_X_EN: 1
; COMPUTE_PGM_RSRC2:TGID_Y_EN: 0
; COMPUTE_PGM_RSRC2:TGID_Z_EN: 0
; COMPUTE_PGM_RSRC2:TIDIG_COMP_CNT: 0
	.section	.text._Z10sort_pairsILj256ELj4ELj8EhN10test_utils4lessEEvPKT2_PS2_T3_,"axG",@progbits,_Z10sort_pairsILj256ELj4ELj8EhN10test_utils4lessEEvPKT2_PS2_T3_,comdat
	.protected	_Z10sort_pairsILj256ELj4ELj8EhN10test_utils4lessEEvPKT2_PS2_T3_ ; -- Begin function _Z10sort_pairsILj256ELj4ELj8EhN10test_utils4lessEEvPKT2_PS2_T3_
	.globl	_Z10sort_pairsILj256ELj4ELj8EhN10test_utils4lessEEvPKT2_PS2_T3_
	.p2align	8
	.type	_Z10sort_pairsILj256ELj4ELj8EhN10test_utils4lessEEvPKT2_PS2_T3_,@function
_Z10sort_pairsILj256ELj4ELj8EhN10test_utils4lessEEvPKT2_PS2_T3_: ; @_Z10sort_pairsILj256ELj4ELj8EhN10test_utils4lessEEvPKT2_PS2_T3_
; %bb.0:
	s_load_b128 s[36:39], s[0:1], 0x0
	s_lshl_b32 s40, s15, 11
	v_lshlrev_b32_e32 v3, 3, v0
	v_lshrrev_b32_e32 v0, 2, v0
	s_mov_b32 s28, 0
	s_mov_b32 s29, exec_lo
	s_waitcnt lgkmcnt(0)
	s_add_u32 s0, s36, s40
	s_addc_u32 s1, s37, 0
	global_load_b64 v[1:2], v3, s[0:1]
	; wave barrier
	s_waitcnt vmcnt(0)
	v_lshrrev_b32_e32 v6, 8, v1
	v_and_b32_e32 v4, 0xff, v1
	v_perm_b32 v7, v1, v1, 0x3020405
	v_and_b32_e32 v11, 0xff, v2
	v_perm_b32 v10, v2, v2, 0x7060405
	v_and_b32_e32 v5, 0xff, v6
	s_delay_alu instid0(VALU_DEP_1) | instskip(SKIP_1) | instid1(VALU_DEP_1)
	v_cmp_lt_u16_e32 vcc_lo, v5, v4
	v_cndmask_b32_e32 v4, v1, v7, vcc_lo
	v_lshrrev_b32_e32 v5, 16, v4
	v_lshrrev_b32_e32 v9, 24, v4
	s_delay_alu instid0(VALU_DEP_2) | instskip(SKIP_1) | instid1(VALU_DEP_2)
	v_perm_b32 v7, 0, v5, 0xc0c0001
	v_and_b32_e32 v5, 0xff, v5
	v_lshlrev_b32_e32 v8, 16, v7
	v_lshrrev_b32_e32 v7, 8, v2
	s_delay_alu instid0(VALU_DEP_3) | instskip(NEXT) | instid1(VALU_DEP_3)
	v_cmp_lt_u16_e64 s0, v9, v5
	v_and_or_b32 v8, 0xffff, v4, v8
	s_delay_alu instid0(VALU_DEP_3) | instskip(NEXT) | instid1(VALU_DEP_2)
	v_and_b32_e32 v12, 0xff, v7
	v_cndmask_b32_e64 v4, v4, v8, s0
	s_delay_alu instid0(VALU_DEP_2) | instskip(NEXT) | instid1(VALU_DEP_2)
	v_cmp_lt_u16_e64 s1, v12, v11
	v_lshrrev_b32_e32 v8, 16, v4
	s_delay_alu instid0(VALU_DEP_2) | instskip(SKIP_2) | instid1(VALU_DEP_4)
	v_cndmask_b32_e64 v5, v2, v10, s1
	v_lshrrev_b32_e32 v9, 8, v4
	v_perm_b32 v11, v4, v4, 0x7050604
	v_and_b32_e32 v8, 0xff, v8
	s_delay_alu instid0(VALU_DEP_4) | instskip(NEXT) | instid1(VALU_DEP_4)
	v_lshrrev_b32_e32 v10, 16, v5
	v_and_b32_e32 v9, 0xff, v9
	v_lshrrev_b32_e32 v12, 24, v5
	v_perm_b32 v13, v5, v5, 0x6070504
	s_delay_alu instid0(VALU_DEP_4) | instskip(NEXT) | instid1(VALU_DEP_4)
	v_and_b32_e32 v10, 0xff, v10
	v_cmp_lt_u16_e64 s3, v8, v9
	s_delay_alu instid0(VALU_DEP_2) | instskip(NEXT) | instid1(VALU_DEP_2)
	v_cmp_lt_u16_e64 s4, v12, v10
	v_cndmask_b32_e64 v4, v4, v11, s3
	s_delay_alu instid0(VALU_DEP_2) | instskip(NEXT) | instid1(VALU_DEP_2)
	v_cndmask_b32_e64 v5, v5, v13, s4
	v_lshrrev_b32_e32 v8, 16, v4
	v_lshrrev_b32_e32 v10, 24, v4
	s_delay_alu instid0(VALU_DEP_3) | instskip(NEXT) | instid1(VALU_DEP_3)
	v_lshlrev_b16 v9, 8, v5
	v_and_b32_e32 v8, 0xff, v8
	s_delay_alu instid0(VALU_DEP_1) | instskip(SKIP_1) | instid1(VALU_DEP_2)
	v_or_b32_e32 v8, v8, v9
	v_and_b32_e32 v9, 0xff, v5
	v_lshlrev_b32_e32 v8, 16, v8
	s_delay_alu instid0(VALU_DEP_2) | instskip(NEXT) | instid1(VALU_DEP_2)
	v_cmp_lt_u16_e64 s2, v9, v10
	v_and_or_b32 v8, 0xffff, v4, v8
	s_delay_alu instid0(VALU_DEP_1) | instskip(SKIP_1) | instid1(VALU_DEP_2)
	v_cndmask_b32_e64 v8, v4, v8, s2
	v_perm_b32 v4, v4, v5, 0x3020107
	v_lshrrev_b32_e32 v9, 8, v8
	v_perm_b32 v10, 0, v8, 0xc0c0001
	v_and_b32_e32 v11, 0xff, v8
	s_delay_alu instid0(VALU_DEP_4) | instskip(NEXT) | instid1(VALU_DEP_4)
	v_cndmask_b32_e64 v4, v5, v4, s2
	v_and_b32_e32 v9, 0xff, v9
	s_delay_alu instid0(VALU_DEP_4) | instskip(NEXT) | instid1(VALU_DEP_2)
	v_and_or_b32 v10, 0xffff0000, v8, v10
	v_cmp_lt_u16_e64 s5, v9, v11
	s_delay_alu instid0(VALU_DEP_4) | instskip(SKIP_1) | instid1(VALU_DEP_3)
	v_lshrrev_b32_e32 v9, 8, v4
	v_perm_b32 v11, v4, v4, 0x7050604
	v_cndmask_b32_e64 v5, v8, v10, s5
	v_lshrrev_b32_e32 v8, 16, v4
	s_delay_alu instid0(VALU_DEP_4) | instskip(NEXT) | instid1(VALU_DEP_3)
	v_and_b32_e32 v9, 0xff, v9
	v_lshrrev_b32_e32 v10, 16, v5
	s_delay_alu instid0(VALU_DEP_3) | instskip(NEXT) | instid1(VALU_DEP_2)
	v_and_b32_e32 v8, 0xff, v8
	v_perm_b32 v12, 0, v10, 0xc0c0001
	s_delay_alu instid0(VALU_DEP_2) | instskip(SKIP_2) | instid1(VALU_DEP_4)
	v_cmp_lt_u16_e64 s6, v8, v9
	v_lshrrev_b32_e32 v9, 24, v5
	v_and_b32_e32 v10, 0xff, v10
	v_lshlrev_b32_e32 v8, 16, v12
	s_delay_alu instid0(VALU_DEP_4) | instskip(NEXT) | instid1(VALU_DEP_3)
	v_cndmask_b32_e64 v4, v4, v11, s6
	v_cmp_lt_u16_e64 s7, v9, v10
	s_delay_alu instid0(VALU_DEP_3) | instskip(NEXT) | instid1(VALU_DEP_3)
	v_and_or_b32 v8, 0xffff, v5, v8
	v_lshrrev_b32_e32 v11, 8, v4
	v_and_b32_e32 v13, 0xff, v4
	v_perm_b32 v12, v4, v4, 0x7060405
	s_delay_alu instid0(VALU_DEP_4) | instskip(NEXT) | instid1(VALU_DEP_4)
	v_cndmask_b32_e64 v5, v5, v8, s7
	v_and_b32_e32 v11, 0xff, v11
	s_delay_alu instid0(VALU_DEP_2) | instskip(NEXT) | instid1(VALU_DEP_2)
	v_lshrrev_b32_e32 v8, 16, v5
	v_cmp_lt_u16_e64 s8, v11, v13
	v_lshrrev_b32_e32 v9, 8, v5
	v_perm_b32 v11, v5, v5, 0x7050604
	s_delay_alu instid0(VALU_DEP_4) | instskip(NEXT) | instid1(VALU_DEP_4)
	v_and_b32_e32 v8, 0xff, v8
	v_cndmask_b32_e64 v4, v4, v12, s8
	s_delay_alu instid0(VALU_DEP_4) | instskip(NEXT) | instid1(VALU_DEP_2)
	v_and_b32_e32 v9, 0xff, v9
	v_lshrrev_b32_e32 v10, 16, v4
	v_lshrrev_b32_e32 v12, 24, v4
	s_delay_alu instid0(VALU_DEP_3) | instskip(SKIP_1) | instid1(VALU_DEP_4)
	v_cmp_lt_u16_e64 s10, v8, v9
	v_perm_b32 v13, v4, v4, 0x6070504
	v_and_b32_e32 v10, 0xff, v10
	s_delay_alu instid0(VALU_DEP_3) | instskip(NEXT) | instid1(VALU_DEP_2)
	v_cndmask_b32_e64 v5, v5, v11, s10
	v_cmp_lt_u16_e64 s11, v12, v10
	s_delay_alu instid0(VALU_DEP_2) | instskip(SKIP_1) | instid1(VALU_DEP_3)
	v_lshrrev_b32_e32 v8, 16, v5
	v_lshrrev_b32_e32 v10, 24, v5
	v_cndmask_b32_e64 v4, v4, v13, s11
	s_delay_alu instid0(VALU_DEP_3) | instskip(NEXT) | instid1(VALU_DEP_2)
	v_and_b32_e32 v8, 0xff, v8
	v_lshlrev_b16 v9, 8, v4
	s_delay_alu instid0(VALU_DEP_1) | instskip(SKIP_1) | instid1(VALU_DEP_2)
	v_or_b32_e32 v8, v8, v9
	v_and_b32_e32 v9, 0xff, v4
	v_lshlrev_b32_e32 v8, 16, v8
	s_delay_alu instid0(VALU_DEP_2) | instskip(NEXT) | instid1(VALU_DEP_2)
	v_cmp_lt_u16_e64 s9, v9, v10
	v_and_or_b32 v8, 0xffff, v5, v8
	s_delay_alu instid0(VALU_DEP_1) | instskip(SKIP_1) | instid1(VALU_DEP_2)
	v_cndmask_b32_e64 v8, v5, v8, s9
	v_perm_b32 v5, v5, v4, 0x3020107
	v_lshrrev_b32_e32 v9, 8, v8
	v_perm_b32 v10, 0, v8, 0xc0c0001
	v_and_b32_e32 v11, 0xff, v8
	s_delay_alu instid0(VALU_DEP_4) | instskip(NEXT) | instid1(VALU_DEP_4)
	v_cndmask_b32_e64 v4, v4, v5, s9
	v_and_b32_e32 v9, 0xff, v9
	s_delay_alu instid0(VALU_DEP_4) | instskip(NEXT) | instid1(VALU_DEP_2)
	v_and_or_b32 v10, 0xffff0000, v8, v10
	v_cmp_lt_u16_e64 s12, v9, v11
	s_delay_alu instid0(VALU_DEP_4) | instskip(SKIP_1) | instid1(VALU_DEP_3)
	v_lshrrev_b32_e32 v9, 8, v4
	v_perm_b32 v11, v4, v4, 0x7050604
	v_cndmask_b32_e64 v5, v8, v10, s12
	v_lshrrev_b32_e32 v8, 16, v4
	s_delay_alu instid0(VALU_DEP_4) | instskip(NEXT) | instid1(VALU_DEP_3)
	v_and_b32_e32 v9, 0xff, v9
	v_lshrrev_b32_e32 v10, 16, v5
	s_delay_alu instid0(VALU_DEP_3) | instskip(NEXT) | instid1(VALU_DEP_2)
	v_and_b32_e32 v8, 0xff, v8
	v_perm_b32 v12, 0, v10, 0xc0c0001
	s_delay_alu instid0(VALU_DEP_2) | instskip(SKIP_2) | instid1(VALU_DEP_4)
	v_cmp_lt_u16_e64 s13, v8, v9
	v_lshrrev_b32_e32 v9, 24, v5
	v_and_b32_e32 v10, 0xff, v10
	v_lshlrev_b32_e32 v8, 16, v12
	s_delay_alu instid0(VALU_DEP_4) | instskip(NEXT) | instid1(VALU_DEP_3)
	v_cndmask_b32_e64 v4, v4, v11, s13
	v_cmp_lt_u16_e64 s14, v9, v10
	s_delay_alu instid0(VALU_DEP_3) | instskip(NEXT) | instid1(VALU_DEP_3)
	v_and_or_b32 v8, 0xffff, v5, v8
	v_lshrrev_b32_e32 v11, 8, v4
	v_and_b32_e32 v13, 0xff, v4
	v_perm_b32 v12, v4, v4, 0x7060405
	s_delay_alu instid0(VALU_DEP_4) | instskip(NEXT) | instid1(VALU_DEP_4)
	v_cndmask_b32_e64 v5, v5, v8, s14
	v_and_b32_e32 v11, 0xff, v11
	s_delay_alu instid0(VALU_DEP_2) | instskip(NEXT) | instid1(VALU_DEP_2)
	v_lshrrev_b32_e32 v8, 16, v5
	v_cmp_lt_u16_e64 s15, v11, v13
	v_lshrrev_b32_e32 v9, 8, v5
	v_perm_b32 v11, v5, v5, 0x7050604
	s_delay_alu instid0(VALU_DEP_4) | instskip(NEXT) | instid1(VALU_DEP_4)
	v_and_b32_e32 v8, 0xff, v8
	v_cndmask_b32_e64 v4, v4, v12, s15
	s_delay_alu instid0(VALU_DEP_4) | instskip(NEXT) | instid1(VALU_DEP_2)
	v_and_b32_e32 v9, 0xff, v9
	v_lshrrev_b32_e32 v10, 16, v4
	v_lshrrev_b32_e32 v12, 24, v4
	s_delay_alu instid0(VALU_DEP_3) | instskip(SKIP_1) | instid1(VALU_DEP_4)
	v_cmp_lt_u16_e64 s22, v8, v9
	v_perm_b32 v13, v4, v4, 0x6070504
	v_and_b32_e32 v10, 0xff, v10
	s_delay_alu instid0(VALU_DEP_3) | instskip(NEXT) | instid1(VALU_DEP_2)
	v_cndmask_b32_e64 v5, v5, v11, s22
	v_cmp_lt_u16_e64 s23, v12, v10
	s_delay_alu instid0(VALU_DEP_2) | instskip(SKIP_1) | instid1(VALU_DEP_3)
	v_lshrrev_b32_e32 v8, 16, v5
	v_lshrrev_b32_e32 v10, 24, v5
	v_cndmask_b32_e64 v4, v4, v13, s23
	s_delay_alu instid0(VALU_DEP_3) | instskip(NEXT) | instid1(VALU_DEP_2)
	v_and_b32_e32 v8, 0xff, v8
	v_lshlrev_b16 v9, 8, v4
	s_delay_alu instid0(VALU_DEP_1) | instskip(SKIP_1) | instid1(VALU_DEP_2)
	v_or_b32_e32 v8, v8, v9
	v_and_b32_e32 v9, 0xff, v4
	v_lshlrev_b32_e32 v8, 16, v8
	s_delay_alu instid0(VALU_DEP_2) | instskip(NEXT) | instid1(VALU_DEP_2)
	v_cmp_lt_u16_e64 s16, v9, v10
	v_and_or_b32 v8, 0xffff, v5, v8
	s_delay_alu instid0(VALU_DEP_1) | instskip(SKIP_1) | instid1(VALU_DEP_2)
	v_cndmask_b32_e64 v8, v5, v8, s16
	v_perm_b32 v5, v5, v4, 0x3020107
	v_lshrrev_b32_e32 v9, 8, v8
	v_perm_b32 v10, 0, v8, 0xc0c0001
	v_and_b32_e32 v11, 0xff, v8
	s_delay_alu instid0(VALU_DEP_4) | instskip(NEXT) | instid1(VALU_DEP_4)
	v_cndmask_b32_e64 v4, v4, v5, s16
	v_and_b32_e32 v9, 0xff, v9
	s_delay_alu instid0(VALU_DEP_4) | instskip(NEXT) | instid1(VALU_DEP_2)
	v_and_or_b32 v10, 0xffff0000, v8, v10
	v_cmp_lt_u16_e64 s25, v9, v11
	s_delay_alu instid0(VALU_DEP_4) | instskip(SKIP_1) | instid1(VALU_DEP_3)
	v_lshrrev_b32_e32 v9, 8, v4
	v_perm_b32 v11, v4, v4, 0x7050604
	v_cndmask_b32_e64 v5, v8, v10, s25
	v_lshrrev_b32_e32 v8, 16, v4
	s_delay_alu instid0(VALU_DEP_4) | instskip(NEXT) | instid1(VALU_DEP_3)
	v_and_b32_e32 v9, 0xff, v9
	v_lshrrev_b32_e32 v10, 16, v5
	s_delay_alu instid0(VALU_DEP_3) | instskip(NEXT) | instid1(VALU_DEP_2)
	v_and_b32_e32 v8, 0xff, v8
	v_perm_b32 v12, 0, v10, 0xc0c0001
	s_delay_alu instid0(VALU_DEP_2) | instskip(SKIP_2) | instid1(VALU_DEP_4)
	v_cmp_lt_u16_e64 s24, v8, v9
	v_lshrrev_b32_e32 v9, 24, v5
	v_and_b32_e32 v10, 0xff, v10
	v_lshlrev_b32_e32 v8, 16, v12
	s_delay_alu instid0(VALU_DEP_4) | instskip(NEXT) | instid1(VALU_DEP_3)
	v_cndmask_b32_e64 v4, v4, v11, s24
	v_cmp_lt_u16_e64 s18, v9, v10
	s_delay_alu instid0(VALU_DEP_3) | instskip(NEXT) | instid1(VALU_DEP_3)
	v_and_or_b32 v8, 0xffff, v5, v8
	v_lshrrev_b32_e32 v11, 8, v4
	v_and_b32_e32 v13, 0xff, v4
	v_perm_b32 v12, v4, v4, 0x7060405
	s_delay_alu instid0(VALU_DEP_4) | instskip(NEXT) | instid1(VALU_DEP_4)
	v_cndmask_b32_e64 v5, v5, v8, s18
	v_and_b32_e32 v11, 0xff, v11
	s_delay_alu instid0(VALU_DEP_2) | instskip(NEXT) | instid1(VALU_DEP_2)
	v_lshrrev_b32_e32 v8, 16, v5
	v_cmp_lt_u16_e64 s17, v11, v13
	v_lshrrev_b32_e32 v9, 8, v5
	v_perm_b32 v11, v5, v5, 0x7050604
	s_delay_alu instid0(VALU_DEP_4) | instskip(NEXT) | instid1(VALU_DEP_4)
	v_and_b32_e32 v8, 0xff, v8
	v_cndmask_b32_e64 v4, v4, v12, s17
	s_delay_alu instid0(VALU_DEP_4) | instskip(NEXT) | instid1(VALU_DEP_2)
	v_and_b32_e32 v9, 0xff, v9
	v_lshrrev_b32_e32 v10, 16, v4
	v_lshrrev_b32_e32 v12, 24, v4
	s_delay_alu instid0(VALU_DEP_3) | instskip(SKIP_1) | instid1(VALU_DEP_4)
	v_cmp_lt_u16_e64 s21, v8, v9
	v_perm_b32 v13, v4, v4, 0x6070504
	v_and_b32_e32 v10, 0xff, v10
	s_delay_alu instid0(VALU_DEP_3) | instskip(NEXT) | instid1(VALU_DEP_2)
	v_cndmask_b32_e64 v5, v5, v11, s21
	v_cmp_lt_u16_e64 s19, v12, v10
	v_mbcnt_lo_u32_b32 v10, -1, 0
	s_delay_alu instid0(VALU_DEP_3) | instskip(SKIP_1) | instid1(VALU_DEP_4)
	v_lshrrev_b32_e32 v8, 16, v5
	v_lshrrev_b32_e32 v12, 24, v5
	v_cndmask_b32_e64 v4, v4, v13, s19
	s_delay_alu instid0(VALU_DEP_4) | instskip(NEXT) | instid1(VALU_DEP_4)
	v_lshlrev_b32_e32 v11, 3, v10
	v_and_b32_e32 v8, 0xff, v8
	s_delay_alu instid0(VALU_DEP_3) | instskip(NEXT) | instid1(VALU_DEP_3)
	v_lshlrev_b16 v9, 8, v4
	v_and_b32_e32 v10, 16, v11
	v_perm_b32 v13, v5, v4, 0x3020107
	s_delay_alu instid0(VALU_DEP_3) | instskip(SKIP_1) | instid1(VALU_DEP_2)
	v_or_b32_e32 v8, v8, v9
	v_and_b32_e32 v9, 0xff, v4
	v_lshlrev_b32_e32 v8, 16, v8
	s_delay_alu instid0(VALU_DEP_2) | instskip(SKIP_1) | instid1(VALU_DEP_3)
	v_cmp_lt_u16_e64 s20, v9, v12
	v_or_b32_e32 v9, 8, v10
	v_and_or_b32 v14, 0xffff, v5, v8
	v_add_nc_u32_e32 v8, 16, v10
	s_delay_alu instid0(VALU_DEP_4)
	v_cndmask_b32_e64 v12, v4, v13, s20
	v_and_b32_e32 v13, 8, v11
	v_sub_nc_u32_e32 v17, v9, v10
	v_cndmask_b32_e64 v15, v5, v14, s20
	v_and_b32_e32 v5, 24, v11
	v_sub_nc_u32_e32 v14, v8, v9
	v_lshrrev_b32_e32 v11, 16, v12
	v_lshrrev_b32_e32 v16, 8, v12
	v_perm_b32 v20, v12, v12, 0x7050604
	v_mad_u32_u24 v4, v0, 33, v5
	v_sub_nc_u32_e32 v18, v13, v14
	v_and_b32_e32 v19, 0xff, v11
	v_and_b32_e32 v16, 0xff, v16
	v_cmp_ge_i32_e64 s26, v13, v14
	v_min_i32_e32 v11, v13, v17
	v_mul_u32_u24_e32 v0, 33, v0
	s_delay_alu instid0(VALU_DEP_3) | instskip(SKIP_1) | instid1(VALU_DEP_1)
	v_cndmask_b32_e64 v14, 0, v18, s26
	v_cmp_lt_u16_e64 s26, v19, v16
	v_cndmask_b32_e64 v16, v12, v20, s26
	ds_store_b64 v4, v[15:16]
	; wave barrier
	v_cmpx_lt_i32_e64 v14, v11
	s_cbranch_execz .LBB105_4
; %bb.1:
	v_add_nc_u32_e32 v12, v0, v10
	s_delay_alu instid0(VALU_DEP_1)
	v_add3_u32 v15, v12, v13, 8
	.p2align	6
.LBB105_2:                              ; =>This Inner Loop Header: Depth=1
	v_sub_nc_u32_e32 v16, v11, v14
	s_delay_alu instid0(VALU_DEP_1) | instskip(NEXT) | instid1(VALU_DEP_1)
	v_lshrrev_b32_e32 v17, 31, v16
	v_add_nc_u32_e32 v16, v16, v17
	s_delay_alu instid0(VALU_DEP_1) | instskip(NEXT) | instid1(VALU_DEP_1)
	v_ashrrev_i32_e32 v16, 1, v16
	v_add_nc_u32_e32 v16, v16, v14
	s_delay_alu instid0(VALU_DEP_1)
	v_add_nc_u32_e32 v17, v12, v16
	v_xad_u32 v18, v16, -1, v15
	v_add_nc_u32_e32 v19, 1, v16
	ds_load_u8 v17, v17
	ds_load_u8 v18, v18
	s_waitcnt lgkmcnt(0)
	v_cmp_lt_u16_e64 s27, v18, v17
	s_delay_alu instid0(VALU_DEP_1) | instskip(SKIP_1) | instid1(VALU_DEP_1)
	v_cndmask_b32_e64 v11, v11, v16, s27
	v_cndmask_b32_e64 v14, v19, v14, s27
	v_cmp_ge_i32_e64 s27, v14, v11
	s_delay_alu instid0(VALU_DEP_1) | instskip(NEXT) | instid1(SALU_CYCLE_1)
	s_or_b32 s28, s27, s28
	s_and_not1_b32 exec_lo, exec_lo, s28
	s_cbranch_execnz .LBB105_2
; %bb.3:
	s_or_b32 exec_lo, exec_lo, s28
.LBB105_4:
	s_delay_alu instid0(SALU_CYCLE_1)
	s_or_b32 exec_lo, exec_lo, s29
	v_add_nc_u32_e32 v11, v10, v13
	v_add_nc_u32_e32 v10, v14, v10
	;; [unrolled: 1-line block ×3, first 2 shown]
	v_cmp_lt_i32_e64 s27, 7, v14
	v_lshrrev_b32_e32 v25, 16, v1
	v_sub_nc_u32_e32 v11, v11, v14
	v_add_nc_u32_e32 v17, v0, v10
	v_sub_nc_u32_e32 v13, v13, v14
	v_lshrrev_b32_e32 v26, 24, v1
	v_lshrrev_b32_e32 v23, 16, v2
	v_add_nc_u32_e32 v16, v0, v11
	v_lshrrev_b32_e32 v24, 24, v2
	v_cmp_gt_i32_e64 s29, v8, v13
                                        ; implicit-def: $vgpr14
	ds_load_u8 v11, v17
	ds_load_u8 v12, v16 offset:8
	s_waitcnt lgkmcnt(1)
	v_and_b32_e32 v15, 0xff, v11
	s_waitcnt lgkmcnt(0)
	v_and_b32_e32 v18, 0xff, v12
	s_delay_alu instid0(VALU_DEP_1) | instskip(NEXT) | instid1(VALU_DEP_1)
	v_cmp_lt_u16_e64 s28, v18, v15
                                        ; implicit-def: $vgpr15
	s_or_b32 s27, s27, s28
	s_delay_alu instid0(SALU_CYCLE_1) | instskip(NEXT) | instid1(SALU_CYCLE_1)
	s_and_b32 s27, s29, s27
	s_xor_b32 s28, s27, -1
	s_delay_alu instid0(SALU_CYCLE_1) | instskip(NEXT) | instid1(SALU_CYCLE_1)
	s_and_saveexec_b32 s29, s28
	s_xor_b32 s28, exec_lo, s29
	s_cbranch_execz .LBB105_6
; %bb.5:
	ds_load_u8 v15, v17 offset:1
	v_mov_b32_e32 v14, v12
                                        ; implicit-def: $vgpr16
.LBB105_6:
	s_and_not1_saveexec_b32 s28, s28
	s_cbranch_execz .LBB105_8
; %bb.7:
	ds_load_u8 v14, v16 offset:9
	s_waitcnt lgkmcnt(1)
	v_mov_b32_e32 v15, v11
.LBB105_8:
	s_or_b32 exec_lo, exec_lo, s28
	v_add_nc_u32_e32 v16, 1, v10
	v_add_nc_u32_e32 v17, 1, v13
	s_waitcnt lgkmcnt(0)
	v_and_b32_e32 v18, 0xff, v15
	v_and_b32_e32 v19, 0xff, v14
	v_cndmask_b32_e64 v16, v16, v10, s27
	v_cndmask_b32_e64 v17, v13, v17, s27
	s_delay_alu instid0(VALU_DEP_3) | instskip(NEXT) | instid1(VALU_DEP_3)
	v_cmp_lt_u16_e64 s29, v19, v18
                                        ; implicit-def: $vgpr18
	v_cmp_ge_i32_e64 s28, v16, v9
	s_delay_alu instid0(VALU_DEP_3) | instskip(NEXT) | instid1(VALU_DEP_2)
	v_cmp_lt_i32_e64 s30, v17, v8
	s_or_b32 s28, s28, s29
	s_delay_alu instid0(VALU_DEP_1) | instid1(SALU_CYCLE_1)
	s_and_b32 s28, s30, s28
	s_delay_alu instid0(SALU_CYCLE_1) | instskip(NEXT) | instid1(SALU_CYCLE_1)
	s_xor_b32 s29, s28, -1
	s_and_saveexec_b32 s30, s29
	s_delay_alu instid0(SALU_CYCLE_1)
	s_xor_b32 s29, exec_lo, s30
	s_cbranch_execz .LBB105_10
; %bb.9:
	v_add_nc_u32_e32 v18, v0, v16
	ds_load_u8 v18, v18 offset:1
.LBB105_10:
	s_or_saveexec_b32 s29, s29
	v_mov_b32_e32 v19, v14
	s_xor_b32 exec_lo, exec_lo, s29
	s_cbranch_execz .LBB105_12
; %bb.11:
	s_waitcnt lgkmcnt(0)
	v_add_nc_u32_e32 v18, v0, v17
	ds_load_u8 v19, v18 offset:1
	v_mov_b32_e32 v18, v15
.LBB105_12:
	s_or_b32 exec_lo, exec_lo, s29
	v_add_nc_u32_e32 v20, 1, v16
	v_add_nc_u32_e32 v21, 1, v17
	s_waitcnt lgkmcnt(0)
	v_and_b32_e32 v22, 0xff, v18
	v_and_b32_e32 v27, 0xff, v19
	v_cndmask_b32_e64 v20, v20, v16, s28
	v_cndmask_b32_e64 v21, v17, v21, s28
	s_delay_alu instid0(VALU_DEP_3) | instskip(NEXT) | instid1(VALU_DEP_3)
	v_cmp_lt_u16_e64 s30, v27, v22
                                        ; implicit-def: $vgpr22
	v_cmp_ge_i32_e64 s29, v20, v9
	s_delay_alu instid0(VALU_DEP_3) | instskip(NEXT) | instid1(VALU_DEP_2)
	v_cmp_lt_i32_e64 s31, v21, v8
	s_or_b32 s29, s29, s30
	s_delay_alu instid0(VALU_DEP_1) | instid1(SALU_CYCLE_1)
	s_and_b32 s29, s31, s29
	s_delay_alu instid0(SALU_CYCLE_1) | instskip(NEXT) | instid1(SALU_CYCLE_1)
	s_xor_b32 s30, s29, -1
	s_and_saveexec_b32 s31, s30
	s_delay_alu instid0(SALU_CYCLE_1)
	s_xor_b32 s30, exec_lo, s31
	s_cbranch_execz .LBB105_14
; %bb.13:
	v_add_nc_u32_e32 v22, v0, v20
	ds_load_u8 v22, v22 offset:1
.LBB105_14:
	s_or_saveexec_b32 s30, s30
	v_mov_b32_e32 v27, v19
	s_xor_b32 exec_lo, exec_lo, s30
	s_cbranch_execz .LBB105_16
; %bb.15:
	s_waitcnt lgkmcnt(0)
	v_add_nc_u32_e32 v22, v0, v21
	ds_load_u8 v27, v22 offset:1
	v_mov_b32_e32 v22, v18
.LBB105_16:
	s_or_b32 exec_lo, exec_lo, s30
	v_add_nc_u32_e32 v28, 1, v20
	v_add_nc_u32_e32 v29, 1, v21
	s_waitcnt lgkmcnt(0)
	v_and_b32_e32 v30, 0xff, v22
	v_and_b32_e32 v31, 0xff, v27
	v_cndmask_b32_e64 v28, v28, v20, s29
	v_cndmask_b32_e64 v29, v21, v29, s29
	s_delay_alu instid0(VALU_DEP_3) | instskip(NEXT) | instid1(VALU_DEP_3)
	v_cmp_lt_u16_e64 s31, v31, v30
                                        ; implicit-def: $vgpr30
	v_cmp_ge_i32_e64 s30, v28, v9
	s_delay_alu instid0(VALU_DEP_3) | instskip(NEXT) | instid1(VALU_DEP_2)
	v_cmp_lt_i32_e64 s33, v29, v8
	s_or_b32 s30, s30, s31
	s_delay_alu instid0(VALU_DEP_1) | instid1(SALU_CYCLE_1)
	s_and_b32 s30, s33, s30
	s_delay_alu instid0(SALU_CYCLE_1) | instskip(NEXT) | instid1(SALU_CYCLE_1)
	s_xor_b32 s31, s30, -1
	s_and_saveexec_b32 s33, s31
	s_delay_alu instid0(SALU_CYCLE_1)
	s_xor_b32 s31, exec_lo, s33
	s_cbranch_execz .LBB105_18
; %bb.17:
	v_add_nc_u32_e32 v30, v0, v28
	ds_load_u8 v30, v30 offset:1
.LBB105_18:
	s_or_saveexec_b32 s31, s31
	v_mov_b32_e32 v31, v27
	s_xor_b32 exec_lo, exec_lo, s31
	s_cbranch_execz .LBB105_20
; %bb.19:
	s_waitcnt lgkmcnt(0)
	v_add_nc_u32_e32 v30, v0, v29
	ds_load_u8 v31, v30 offset:1
	v_mov_b32_e32 v30, v22
.LBB105_20:
	s_or_b32 exec_lo, exec_lo, s31
	v_add_nc_u32_e32 v32, 1, v28
	v_add_nc_u32_e32 v33, 1, v29
	s_waitcnt lgkmcnt(0)
	v_and_b32_e32 v34, 0xff, v30
	v_and_b32_e32 v35, 0xff, v31
	v_cndmask_b32_e64 v32, v32, v28, s30
	v_cndmask_b32_e64 v33, v29, v33, s30
	s_delay_alu instid0(VALU_DEP_3) | instskip(NEXT) | instid1(VALU_DEP_3)
	v_cmp_lt_u16_e64 s33, v35, v34
                                        ; implicit-def: $vgpr35
	v_cmp_ge_i32_e64 s31, v32, v9
	s_delay_alu instid0(VALU_DEP_3) | instskip(NEXT) | instid1(VALU_DEP_2)
	v_cmp_lt_i32_e64 s34, v33, v8
	s_or_b32 s31, s31, s33
	s_delay_alu instid0(VALU_DEP_1) | instid1(SALU_CYCLE_1)
	s_and_b32 s31, s34, s31
	s_delay_alu instid0(SALU_CYCLE_1) | instskip(NEXT) | instid1(SALU_CYCLE_1)
	s_xor_b32 s33, s31, -1
	s_and_saveexec_b32 s34, s33
	s_delay_alu instid0(SALU_CYCLE_1)
	s_xor_b32 s33, exec_lo, s34
	s_cbranch_execz .LBB105_22
; %bb.21:
	v_add_nc_u32_e32 v34, v0, v32
	ds_load_u8 v35, v34 offset:1
.LBB105_22:
	s_or_saveexec_b32 s33, s33
	v_mov_b32_e32 v37, v31
	s_xor_b32 exec_lo, exec_lo, s33
	s_cbranch_execz .LBB105_24
; %bb.23:
	s_waitcnt lgkmcnt(0)
	v_dual_mov_b32 v35, v30 :: v_dual_add_nc_u32 v34, v0, v33
	ds_load_u8 v37, v34 offset:1
.LBB105_24:
	s_or_b32 exec_lo, exec_lo, s33
	v_add_nc_u32_e32 v34, 1, v32
	v_add_nc_u32_e32 v36, 1, v33
	s_waitcnt lgkmcnt(0)
	v_and_b32_e32 v38, 0xff, v35
                                        ; implicit-def: $vgpr42
	s_delay_alu instid0(VALU_DEP_3) | instskip(SKIP_2) | instid1(VALU_DEP_3)
	v_cndmask_b32_e64 v40, v34, v32, s31
	v_and_b32_e32 v34, 0xff, v37
	v_cndmask_b32_e64 v41, v33, v36, s31
	v_cmp_ge_i32_e64 s33, v40, v9
	s_delay_alu instid0(VALU_DEP_3) | instskip(NEXT) | instid1(VALU_DEP_3)
	v_cmp_lt_u16_e64 s34, v34, v38
	v_cmp_lt_i32_e64 s35, v41, v8
	s_delay_alu instid0(VALU_DEP_2)
	s_or_b32 s33, s33, s34
	s_delay_alu instid0(VALU_DEP_1) | instid1(SALU_CYCLE_1)
	s_and_b32 s34, s35, s33
	s_delay_alu instid0(SALU_CYCLE_1) | instskip(NEXT) | instid1(SALU_CYCLE_1)
	s_xor_b32 s33, s34, -1
	s_and_saveexec_b32 s35, s33
	s_delay_alu instid0(SALU_CYCLE_1)
	s_xor_b32 s33, exec_lo, s35
	s_cbranch_execz .LBB105_26
; %bb.25:
	v_add_nc_u32_e32 v34, v0, v40
	ds_load_u8 v42, v34 offset:1
.LBB105_26:
	s_or_saveexec_b32 s33, s33
	v_mov_b32_e32 v43, v37
	s_xor_b32 exec_lo, exec_lo, s33
	s_cbranch_execz .LBB105_28
; %bb.27:
	v_add_nc_u32_e32 v34, v0, v41
	s_waitcnt lgkmcnt(0)
	v_mov_b32_e32 v42, v35
	ds_load_u8 v43, v34 offset:1
.LBB105_28:
	s_or_b32 exec_lo, exec_lo, s33
	v_add_nc_u32_e32 v34, 1, v40
	v_add_nc_u32_e32 v36, 1, v41
	s_waitcnt lgkmcnt(0)
	v_and_b32_e32 v44, 0xff, v42
	s_delay_alu instid0(VALU_DEP_3) | instskip(SKIP_2) | instid1(VALU_DEP_3)
	v_cndmask_b32_e64 v38, v34, v40, s34
	v_and_b32_e32 v34, 0xff, v43
	v_cndmask_b32_e64 v39, v41, v36, s34
	v_cmp_ge_i32_e64 s33, v38, v9
	s_delay_alu instid0(VALU_DEP_3) | instskip(NEXT) | instid1(VALU_DEP_3)
	v_cmp_lt_u16_e64 s35, v34, v44
	v_cmp_lt_i32_e64 s36, v39, v8
                                        ; implicit-def: $vgpr34
	s_delay_alu instid0(VALU_DEP_2)
	s_or_b32 s33, s33, s35
	s_delay_alu instid0(VALU_DEP_1) | instid1(SALU_CYCLE_1)
	s_and_b32 s33, s36, s33
	s_delay_alu instid0(SALU_CYCLE_1) | instskip(NEXT) | instid1(SALU_CYCLE_1)
	s_xor_b32 s35, s33, -1
	s_and_saveexec_b32 s36, s35
	s_delay_alu instid0(SALU_CYCLE_1)
	s_xor_b32 s35, exec_lo, s36
	s_cbranch_execz .LBB105_30
; %bb.29:
	v_add_nc_u32_e32 v34, v0, v38
	ds_load_u8 v34, v34 offset:1
.LBB105_30:
	s_or_saveexec_b32 s35, s35
	v_mov_b32_e32 v36, v43
	s_xor_b32 exec_lo, exec_lo, s35
	s_cbranch_execz .LBB105_32
; %bb.31:
	s_waitcnt lgkmcnt(0)
	v_add_nc_u32_e32 v34, v0, v39
	ds_load_u8 v36, v34 offset:1
	v_mov_b32_e32 v34, v42
.LBB105_32:
	s_or_b32 exec_lo, exec_lo, s35
	v_add_nc_u16 v1, v1, 1
	v_add_nc_u16 v6, v6, 1
	;; [unrolled: 1-line block ×4, first 2 shown]
	v_lshlrev_b16 v7, 8, v7
	v_and_b32_e32 v45, 0xff, v1
	v_lshlrev_b16 v44, 8, v6
	v_and_b32_e32 v2, 0xff, v2
	v_lshlrev_b16 v26, 8, v26
	v_add_nc_u16 v23, v23, 1
	v_and_b32_e32 v25, 0xff, v25
	v_or_b32_e32 v44, v45, v44
	v_lshlrev_b16 v1, 8, v1
	v_or_b32_e32 v2, v7, v2
	v_lshlrev_b16 v24, 8, v24
	v_and_b32_e32 v23, 0xff, v23
	v_and_b32_e32 v7, 0xffff, v44
	;; [unrolled: 1-line block ×3, first 2 shown]
	v_or_b32_e32 v25, v26, v25
	v_add_nc_u16 v2, v2, 0x100
	v_cndmask_b32_e64 v30, v30, v31, s31
	v_cndmask_b32_e64 v14, v15, v14, s28
	v_or_b32_e32 v1, v6, v1
	v_or_b32_e32 v6, v24, v23
	v_add_nc_u16 v23, v25, 0x100
	v_and_b32_e32 v2, 0xffff, v2
	v_cndmask_b32_e64 v11, v11, v12, s27
	v_and_b32_e32 v1, 0xffff, v1
	v_add_nc_u16 v6, v6, 0x100
	v_lshlrev_b32_e32 v24, 16, v23
	v_cndmask_b32_e64 v10, v10, v13, s27
	s_waitcnt lgkmcnt(0)
	v_dual_cndmask_b32 v1, v7, v1 :: v_dual_and_b32 v12, 0xff, v34
	v_perm_b32 v7, 0, v23, 0xc0c0001
	v_lshlrev_b32_e32 v6, 16, v6
	v_and_b32_e32 v13, 0xff, v36
	v_add_nc_u32_e32 v25, 1, v38
	v_or_b32_e32 v1, v1, v24
	v_lshlrev_b32_e32 v7, 16, v7
	v_or_b32_e32 v2, v2, v6
	v_cmp_lt_u16_e32 vcc_lo, v13, v12
	v_add_nc_u32_e32 v24, 1, v39
	v_cndmask_b32_e64 v26, v38, v39, s33
	v_and_or_b32 v6, 0xffff, v1, v7
	v_perm_b32 v7, v2, v2, 0x7060405
	v_cndmask_b32_e64 v18, v18, v19, s29
	v_cndmask_b32_e64 v19, v20, v21, s29
	;; [unrolled: 1-line block ×7, first 2 shown]
	v_cmp_ge_i32_e64 s0, v20, v9
	v_perm_b32 v6, v1, v1, 0x7050604
	v_perm_b32 v7, v2, v2, 0x6070504
	v_cndmask_b32_e64 v27, v28, v29, s30
	v_cndmask_b32_e64 v32, v32, v33, s31
	s_or_b32 s0, s0, vcc_lo
	v_cndmask_b32_e64 v1, v1, v6, s3
	v_cndmask_b32_e64 v2, v2, v7, s4
	v_lshlrev_b16 v14, 8, v14
	v_and_b32_e32 v11, 0xff, v11
	v_add_nc_u32_e32 v17, v0, v5
	v_lshrrev_b32_e32 v6, 16, v1
	v_lshlrev_b16 v7, 8, v2
	v_add_nc_u32_e32 v10, v0, v10
	v_or_b32_e32 v14, v11, v14
	s_delay_alu instid0(VALU_DEP_4) | instskip(SKIP_3) | instid1(VALU_DEP_4)
	v_and_b32_e32 v6, 0xff, v6
	; wave barrier
	v_cndmask_b32_e64 v23, v42, v43, s33
	v_lshlrev_b16 v22, 8, v22
	v_and_b32_e32 v18, 0xff, v18
	v_or_b32_e32 v6, v6, v7
	v_and_b32_e32 v14, 0xffff, v14
	s_delay_alu instid0(VALU_DEP_2) | instskip(NEXT) | instid1(VALU_DEP_1)
	v_lshlrev_b32_e32 v6, 16, v6
	v_and_or_b32 v6, 0xffff, v1, v6
	s_delay_alu instid0(VALU_DEP_1) | instskip(SKIP_1) | instid1(VALU_DEP_2)
	v_cndmask_b32_e64 v6, v1, v6, s2
	v_perm_b32 v1, v1, v2, 0x3020107
	v_perm_b32 v7, 0, v6, 0xc0c0001
	s_delay_alu instid0(VALU_DEP_2) | instskip(NEXT) | instid1(VALU_DEP_2)
	v_cndmask_b32_e64 v1, v2, v1, s2
	v_and_or_b32 v7, 0xffff0000, v6, v7
	s_delay_alu instid0(VALU_DEP_1) | instskip(NEXT) | instid1(VALU_DEP_1)
	v_cndmask_b32_e64 v6, v6, v7, s5
	v_lshrrev_b32_e32 v7, 16, v6
	s_delay_alu instid0(VALU_DEP_1) | instskip(SKIP_1) | instid1(VALU_DEP_2)
	v_perm_b32 v2, 0, v7, 0xc0c0001
	v_perm_b32 v7, v1, v1, 0x7050604
	v_lshlrev_b32_e32 v2, 16, v2
	s_delay_alu instid0(VALU_DEP_2) | instskip(NEXT) | instid1(VALU_DEP_2)
	v_cndmask_b32_e64 v1, v1, v7, s6
	v_and_or_b32 v2, 0xffff, v6, v2
	s_delay_alu instid0(VALU_DEP_2) | instskip(NEXT) | instid1(VALU_DEP_2)
	v_perm_b32 v7, v1, v1, 0x7060405
	v_cndmask_b32_e64 v2, v6, v2, s7
	s_delay_alu instid0(VALU_DEP_2) | instskip(NEXT) | instid1(VALU_DEP_2)
	v_cndmask_b32_e64 v1, v1, v7, s8
	v_perm_b32 v6, v2, v2, 0x7050604
	s_delay_alu instid0(VALU_DEP_2) | instskip(NEXT) | instid1(VALU_DEP_2)
	v_perm_b32 v7, v1, v1, 0x6070504
	v_cndmask_b32_e64 v2, v2, v6, s10
	s_delay_alu instid0(VALU_DEP_2) | instskip(NEXT) | instid1(VALU_DEP_2)
	v_cndmask_b32_e64 v1, v1, v7, s11
	v_lshrrev_b32_e32 v6, 16, v2
	s_delay_alu instid0(VALU_DEP_2) | instskip(NEXT) | instid1(VALU_DEP_2)
	v_lshlrev_b16 v7, 8, v1
	v_and_b32_e32 v6, 0xff, v6
	s_delay_alu instid0(VALU_DEP_1) | instskip(NEXT) | instid1(VALU_DEP_1)
	v_or_b32_e32 v6, v6, v7
	v_lshlrev_b32_e32 v6, 16, v6
	s_delay_alu instid0(VALU_DEP_1) | instskip(NEXT) | instid1(VALU_DEP_1)
	v_and_or_b32 v6, 0xffff, v2, v6
	v_cndmask_b32_e64 v6, v2, v6, s9
	v_perm_b32 v2, v2, v1, 0x3020107
	s_delay_alu instid0(VALU_DEP_2) | instskip(NEXT) | instid1(VALU_DEP_2)
	v_perm_b32 v7, 0, v6, 0xc0c0001
	v_cndmask_b32_e64 v1, v1, v2, s9
	s_delay_alu instid0(VALU_DEP_2) | instskip(NEXT) | instid1(VALU_DEP_1)
	v_and_or_b32 v7, 0xffff0000, v6, v7
	v_cndmask_b32_e64 v6, v6, v7, s12
	s_delay_alu instid0(VALU_DEP_1) | instskip(NEXT) | instid1(VALU_DEP_1)
	v_lshrrev_b32_e32 v7, 16, v6
	v_perm_b32 v2, 0, v7, 0xc0c0001
	v_perm_b32 v7, v1, v1, 0x7050604
	s_delay_alu instid0(VALU_DEP_2) | instskip(NEXT) | instid1(VALU_DEP_2)
	v_lshlrev_b32_e32 v2, 16, v2
	v_cndmask_b32_e64 v1, v1, v7, s13
	s_delay_alu instid0(VALU_DEP_2) | instskip(NEXT) | instid1(VALU_DEP_2)
	v_and_or_b32 v2, 0xffff, v6, v2
	v_perm_b32 v7, v1, v1, 0x7060405
	s_delay_alu instid0(VALU_DEP_2) | instskip(NEXT) | instid1(VALU_DEP_2)
	v_cndmask_b32_e64 v2, v6, v2, s14
	v_cndmask_b32_e64 v1, v1, v7, s15
	s_delay_alu instid0(VALU_DEP_2) | instskip(NEXT) | instid1(VALU_DEP_2)
	v_perm_b32 v6, v2, v2, 0x7050604
	v_perm_b32 v7, v1, v1, 0x6070504
	s_delay_alu instid0(VALU_DEP_2) | instskip(NEXT) | instid1(VALU_DEP_2)
	v_cndmask_b32_e64 v2, v2, v6, s22
	v_cndmask_b32_e64 v1, v1, v7, s23
	s_delay_alu instid0(VALU_DEP_2) | instskip(NEXT) | instid1(VALU_DEP_2)
	v_lshrrev_b32_e32 v6, 16, v2
	v_lshlrev_b16 v7, 8, v1
	s_delay_alu instid0(VALU_DEP_2) | instskip(NEXT) | instid1(VALU_DEP_1)
	v_and_b32_e32 v6, 0xff, v6
	v_or_b32_e32 v6, v6, v7
	s_delay_alu instid0(VALU_DEP_1) | instskip(NEXT) | instid1(VALU_DEP_1)
	v_lshlrev_b32_e32 v6, 16, v6
	v_and_or_b32 v6, 0xffff, v2, v6
	s_delay_alu instid0(VALU_DEP_1) | instskip(SKIP_1) | instid1(VALU_DEP_2)
	v_cndmask_b32_e64 v6, v2, v6, s16
	v_perm_b32 v2, v2, v1, 0x3020107
	v_perm_b32 v7, 0, v6, 0xc0c0001
	s_delay_alu instid0(VALU_DEP_2) | instskip(NEXT) | instid1(VALU_DEP_2)
	v_cndmask_b32_e64 v1, v1, v2, s16
	v_and_or_b32 v7, 0xffff0000, v6, v7
	s_delay_alu instid0(VALU_DEP_2) | instskip(NEXT) | instid1(VALU_DEP_2)
	v_perm_b32 v15, v1, v1, 0x7050604
	v_cndmask_b32_e64 v6, v6, v7, s25
	s_delay_alu instid0(VALU_DEP_2) | instskip(SKIP_2) | instid1(VALU_DEP_4)
	v_cndmask_b32_e64 v1, v1, v15, s24
	v_cndmask_b32_e64 v7, v35, v37, s34
	;; [unrolled: 1-line block ×3, first 2 shown]
	v_lshrrev_b32_e32 v31, 16, v6
	s_delay_alu instid0(VALU_DEP_4) | instskip(NEXT) | instid1(VALU_DEP_3)
	v_perm_b32 v15, v1, v1, 0x7060405
	v_add_nc_u32_e32 v21, v0, v35
	s_delay_alu instid0(VALU_DEP_3) | instskip(NEXT) | instid1(VALU_DEP_3)
	v_perm_b32 v2, 0, v31, 0xc0c0001
	v_cndmask_b32_e64 v1, v1, v15, s17
	s_delay_alu instid0(VALU_DEP_2) | instskip(NEXT) | instid1(VALU_DEP_2)
	v_lshlrev_b32_e32 v2, 16, v2
	v_perm_b32 v12, v1, v1, 0x6070504
	s_delay_alu instid0(VALU_DEP_2) | instskip(NEXT) | instid1(VALU_DEP_2)
	v_and_or_b32 v2, 0xffff, v6, v2
	v_cndmask_b32_e64 v1, v1, v12, s19
	v_add_nc_u32_e32 v12, v0, v32
	s_delay_alu instid0(VALU_DEP_3) | instskip(NEXT) | instid1(VALU_DEP_3)
	v_cndmask_b32_e64 v2, v6, v2, s18
	v_lshlrev_b16 v25, 8, v1
	v_cndmask_b32_e64 v6, v39, v24, s33
	v_add_nc_u32_e32 v24, v0, v26
	s_delay_alu instid0(VALU_DEP_4) | instskip(NEXT) | instid1(VALU_DEP_3)
	v_perm_b32 v15, v2, v2, 0x7050604
	v_cmp_lt_i32_e64 s1, v6, v8
	v_and_b32_e32 v8, 0xff, v30
	s_delay_alu instid0(VALU_DEP_3) | instskip(SKIP_1) | instid1(VALU_DEP_4)
	v_cndmask_b32_e64 v13, v2, v15, s21
	v_add_nc_u32_e32 v15, v0, v16
	s_and_b32 vcc_lo, s1, s0
	v_add_nc_u32_e32 v16, v0, v19
	v_cndmask_b32_e32 v6, v20, v6, vcc_lo
	v_lshrrev_b32_e32 v2, 16, v13
	v_perm_b32 v26, v13, v1, 0x3020107
	v_add_nc_u32_e32 v19, v0, v27
	s_mov_b32 s0, 0
	v_add_nc_u32_e32 v11, v0, v6
	v_and_b32_e32 v2, 0xff, v2
	v_cndmask_b32_e64 v1, v1, v26, s20
	v_cndmask_b32_e32 v26, v34, v36, vcc_lo
	s_mov_b32 s1, exec_lo
	s_delay_alu instid0(VALU_DEP_3) | instskip(SKIP_3) | instid1(VALU_DEP_4)
	v_or_b32_e32 v2, v2, v25
	v_lshlrev_b16 v25, 8, v7
	v_perm_b32 v7, v1, v1, 0x7050604
	v_lshlrev_b16 v20, 8, v26
	v_lshlrev_b32_e32 v2, 16, v2
	s_delay_alu instid0(VALU_DEP_4) | instskip(NEXT) | instid1(VALU_DEP_2)
	v_or_b32_e32 v8, v8, v25
	v_and_or_b32 v9, 0xffff, v13, v2
	v_cndmask_b32_e64 v2, v1, v7, s26
	s_delay_alu instid0(VALU_DEP_2)
	v_cndmask_b32_e64 v1, v13, v9, s20
	v_and_b32_e32 v13, 0xff, v23
	ds_store_b64 v17, v[1:2]
	; wave barrier
	ds_load_u8 v2, v10
	ds_load_u8 v7, v15
	ds_load_u8 v1, v16
	ds_load_u8 v6, v19
	ds_load_u8 v10, v12
	ds_load_u8 v12, v21
	ds_load_u8 v9, v24
	ds_load_u8 v11, v11
	v_or_b32_e32 v15, v18, v22
	v_or_b32_e32 v13, v13, v20
	v_and_b32_e32 v16, 0xffff, v8
	v_sub_nc_u32_e64 v8, v5, 16 clamp
	s_delay_alu instid0(VALU_DEP_4) | instskip(NEXT) | instid1(VALU_DEP_4)
	v_lshlrev_b32_e32 v15, 16, v15
	v_lshlrev_b32_e32 v18, 16, v13
	v_min_i32_e32 v13, 16, v5
	; wave barrier
	s_delay_alu instid0(VALU_DEP_3) | instskip(NEXT) | instid1(VALU_DEP_3)
	v_or_b32_e32 v14, v14, v15
	v_or_b32_e32 v15, v16, v18
	ds_store_b64 v17, v[14:15]
	; wave barrier
	v_cmpx_lt_u32_e64 v8, v13
	s_cbranch_execz .LBB105_35
	.p2align	6
.LBB105_33:                             ; =>This Inner Loop Header: Depth=1
	v_sub_nc_u32_e32 v14, v13, v8
	s_delay_alu instid0(VALU_DEP_1) | instskip(NEXT) | instid1(VALU_DEP_1)
	v_lshrrev_b32_e32 v15, 31, v14
	v_add_nc_u32_e32 v14, v14, v15
	s_delay_alu instid0(VALU_DEP_1) | instskip(NEXT) | instid1(VALU_DEP_1)
	v_ashrrev_i32_e32 v14, 1, v14
	v_add_nc_u32_e32 v14, v14, v8
	s_delay_alu instid0(VALU_DEP_1)
	v_add_nc_u32_e32 v17, 1, v14
	v_add_nc_u32_e32 v15, v0, v14
	v_xad_u32 v16, v14, -1, v4
	ds_load_u8 v15, v15
	ds_load_u8 v16, v16 offset:16
	s_waitcnt lgkmcnt(0)
	v_cmp_lt_u16_e32 vcc_lo, v16, v15
	v_cndmask_b32_e32 v8, v17, v8, vcc_lo
	v_cndmask_b32_e32 v13, v13, v14, vcc_lo
	s_delay_alu instid0(VALU_DEP_1) | instskip(SKIP_1) | instid1(SALU_CYCLE_1)
	v_cmp_ge_i32_e32 vcc_lo, v8, v13
	s_or_b32 s0, vcc_lo, s0
	s_and_not1_b32 exec_lo, exec_lo, s0
	s_cbranch_execnz .LBB105_33
; %bb.34:
	s_or_b32 exec_lo, exec_lo, s0
.LBB105_35:
	s_delay_alu instid0(SALU_CYCLE_1) | instskip(SKIP_3) | instid1(VALU_DEP_3)
	s_or_b32 exec_lo, exec_lo, s1
	v_sub_nc_u32_e32 v14, v5, v8
	v_add_nc_u32_e32 v18, v0, v8
	v_cmp_lt_i32_e32 vcc_lo, 15, v8
	v_add_nc_u32_e32 v17, v0, v14
	v_add_nc_u32_e32 v16, 16, v14
                                        ; implicit-def: $vgpr14
	ds_load_u8 v5, v18
	ds_load_u8 v13, v17 offset:16
	v_cmp_gt_i32_e64 s1, 32, v16
	s_waitcnt lgkmcnt(1)
	v_and_b32_e32 v15, 0xff, v5
	s_waitcnt lgkmcnt(0)
	v_and_b32_e32 v19, 0xff, v13
	s_delay_alu instid0(VALU_DEP_1) | instskip(NEXT) | instid1(VALU_DEP_1)
	v_cmp_lt_u16_e64 s0, v19, v15
                                        ; implicit-def: $vgpr15
	s_or_b32 s0, vcc_lo, s0
	s_delay_alu instid0(SALU_CYCLE_1) | instskip(NEXT) | instid1(SALU_CYCLE_1)
	s_and_b32 vcc_lo, s1, s0
	s_xor_b32 s0, vcc_lo, -1
	s_delay_alu instid0(SALU_CYCLE_1) | instskip(NEXT) | instid1(SALU_CYCLE_1)
	s_and_saveexec_b32 s1, s0
	s_xor_b32 s0, exec_lo, s1
	s_cbranch_execz .LBB105_37
; %bb.36:
	ds_load_u8 v15, v18 offset:1
	v_mov_b32_e32 v14, v13
                                        ; implicit-def: $vgpr17
.LBB105_37:
	s_and_not1_saveexec_b32 s0, s0
	s_cbranch_execz .LBB105_39
; %bb.38:
	ds_load_u8 v14, v17 offset:17
	s_waitcnt lgkmcnt(1)
	v_mov_b32_e32 v15, v5
.LBB105_39:
	s_or_b32 exec_lo, exec_lo, s0
	v_add_nc_u32_e32 v18, 1, v16
	v_add_nc_u32_e32 v17, 1, v8
	s_waitcnt lgkmcnt(0)
	s_delay_alu instid0(VALU_DEP_2) | instskip(NEXT) | instid1(VALU_DEP_2)
	v_dual_cndmask_b32 v22, v16, v18 :: v_dual_and_b32 v19, 0xff, v15
	v_cndmask_b32_e32 v21, v17, v8, vcc_lo
	v_and_b32_e32 v17, 0xff, v14
	s_delay_alu instid0(VALU_DEP_3) | instskip(NEXT) | instid1(VALU_DEP_3)
	v_cmp_gt_i32_e64 s2, 32, v22
	v_cmp_lt_i32_e64 s0, 15, v21
	s_delay_alu instid0(VALU_DEP_3) | instskip(NEXT) | instid1(VALU_DEP_1)
	v_cmp_lt_u16_e64 s1, v17, v19
                                        ; implicit-def: $vgpr17
	s_or_b32 s0, s0, s1
	s_delay_alu instid0(VALU_DEP_3) | instid1(SALU_CYCLE_1)
	s_and_b32 s0, s2, s0
	s_delay_alu instid0(SALU_CYCLE_1) | instskip(NEXT) | instid1(SALU_CYCLE_1)
	s_xor_b32 s1, s0, -1
	s_and_saveexec_b32 s2, s1
	s_delay_alu instid0(SALU_CYCLE_1)
	s_xor_b32 s1, exec_lo, s2
	s_cbranch_execz .LBB105_41
; %bb.40:
	v_add_nc_u32_e32 v17, v0, v21
	ds_load_u8 v17, v17 offset:1
.LBB105_41:
	s_or_saveexec_b32 s1, s1
	v_mov_b32_e32 v18, v14
	s_xor_b32 exec_lo, exec_lo, s1
	s_cbranch_execz .LBB105_43
; %bb.42:
	s_waitcnt lgkmcnt(0)
	v_add_nc_u32_e32 v17, v0, v22
	ds_load_u8 v18, v17 offset:1
	v_mov_b32_e32 v17, v15
.LBB105_43:
	s_or_b32 exec_lo, exec_lo, s1
	v_add_nc_u32_e32 v19, 1, v21
	v_add_nc_u32_e32 v20, 1, v22
	s_waitcnt lgkmcnt(0)
	v_and_b32_e32 v23, 0xff, v17
	s_delay_alu instid0(VALU_DEP_3) | instskip(SKIP_2) | instid1(VALU_DEP_3)
	v_cndmask_b32_e64 v25, v19, v21, s0
	v_and_b32_e32 v19, 0xff, v18
	v_cndmask_b32_e64 v26, v22, v20, s0
	v_cmp_lt_i32_e64 s1, 15, v25
	s_delay_alu instid0(VALU_DEP_3) | instskip(NEXT) | instid1(VALU_DEP_3)
	v_cmp_lt_u16_e64 s2, v19, v23
	v_cmp_gt_i32_e64 s3, 32, v26
                                        ; implicit-def: $vgpr19
	s_delay_alu instid0(VALU_DEP_2)
	s_or_b32 s1, s1, s2
	s_delay_alu instid0(VALU_DEP_1) | instid1(SALU_CYCLE_1)
	s_and_b32 s1, s3, s1
	s_delay_alu instid0(SALU_CYCLE_1) | instskip(NEXT) | instid1(SALU_CYCLE_1)
	s_xor_b32 s2, s1, -1
	s_and_saveexec_b32 s3, s2
	s_delay_alu instid0(SALU_CYCLE_1)
	s_xor_b32 s2, exec_lo, s3
	s_cbranch_execz .LBB105_45
; %bb.44:
	v_add_nc_u32_e32 v19, v0, v25
	ds_load_u8 v19, v19 offset:1
.LBB105_45:
	s_or_saveexec_b32 s2, s2
	v_mov_b32_e32 v20, v18
	s_xor_b32 exec_lo, exec_lo, s2
	s_cbranch_execz .LBB105_47
; %bb.46:
	s_waitcnt lgkmcnt(0)
	v_add_nc_u32_e32 v19, v0, v26
	ds_load_u8 v20, v19 offset:1
	v_mov_b32_e32 v19, v17
.LBB105_47:
	s_or_b32 exec_lo, exec_lo, s2
	v_add_nc_u32_e32 v23, 1, v25
	v_add_nc_u32_e32 v24, 1, v26
	s_waitcnt lgkmcnt(0)
	v_and_b32_e32 v27, 0xff, v19
	s_delay_alu instid0(VALU_DEP_3) | instskip(SKIP_2) | instid1(VALU_DEP_3)
	v_cndmask_b32_e64 v29, v23, v25, s1
	v_and_b32_e32 v23, 0xff, v20
	v_cndmask_b32_e64 v30, v26, v24, s1
	v_cmp_lt_i32_e64 s2, 15, v29
	s_delay_alu instid0(VALU_DEP_3) | instskip(NEXT) | instid1(VALU_DEP_3)
	v_cmp_lt_u16_e64 s3, v23, v27
	v_cmp_gt_i32_e64 s4, 32, v30
                                        ; implicit-def: $vgpr23
	s_delay_alu instid0(VALU_DEP_2)
	s_or_b32 s2, s2, s3
	s_delay_alu instid0(VALU_DEP_1) | instid1(SALU_CYCLE_1)
	s_and_b32 s2, s4, s2
	s_delay_alu instid0(SALU_CYCLE_1) | instskip(NEXT) | instid1(SALU_CYCLE_1)
	s_xor_b32 s3, s2, -1
	s_and_saveexec_b32 s4, s3
	s_delay_alu instid0(SALU_CYCLE_1)
	s_xor_b32 s3, exec_lo, s4
	s_cbranch_execz .LBB105_49
; %bb.48:
	v_add_nc_u32_e32 v23, v0, v29
	ds_load_u8 v23, v23 offset:1
.LBB105_49:
	s_or_saveexec_b32 s3, s3
	v_mov_b32_e32 v24, v20
	s_xor_b32 exec_lo, exec_lo, s3
	s_cbranch_execz .LBB105_51
; %bb.50:
	s_waitcnt lgkmcnt(0)
	v_add_nc_u32_e32 v23, v0, v30
	ds_load_u8 v24, v23 offset:1
	v_mov_b32_e32 v23, v19
.LBB105_51:
	s_or_b32 exec_lo, exec_lo, s3
	v_add_nc_u32_e32 v27, 1, v29
	v_add_nc_u32_e32 v28, 1, v30
	s_waitcnt lgkmcnt(0)
	v_and_b32_e32 v33, 0xff, v23
	s_delay_alu instid0(VALU_DEP_3) | instskip(SKIP_2) | instid1(VALU_DEP_3)
	v_cndmask_b32_e64 v31, v27, v29, s2
	v_and_b32_e32 v27, 0xff, v24
	v_cndmask_b32_e64 v32, v30, v28, s2
	v_cmp_lt_i32_e64 s3, 15, v31
	s_delay_alu instid0(VALU_DEP_3) | instskip(NEXT) | instid1(VALU_DEP_3)
	v_cmp_lt_u16_e64 s4, v27, v33
	v_cmp_gt_i32_e64 s5, 32, v32
                                        ; implicit-def: $vgpr27
	s_delay_alu instid0(VALU_DEP_2)
	s_or_b32 s3, s3, s4
	s_delay_alu instid0(VALU_DEP_1) | instid1(SALU_CYCLE_1)
	s_and_b32 s3, s5, s3
	s_delay_alu instid0(SALU_CYCLE_1) | instskip(NEXT) | instid1(SALU_CYCLE_1)
	s_xor_b32 s4, s3, -1
	s_and_saveexec_b32 s5, s4
	s_delay_alu instid0(SALU_CYCLE_1)
	s_xor_b32 s4, exec_lo, s5
	s_cbranch_execz .LBB105_53
; %bb.52:
	v_add_nc_u32_e32 v27, v0, v31
	ds_load_u8 v27, v27 offset:1
.LBB105_53:
	s_or_saveexec_b32 s4, s4
	v_mov_b32_e32 v28, v24
	s_xor_b32 exec_lo, exec_lo, s4
	s_cbranch_execz .LBB105_55
; %bb.54:
	s_waitcnt lgkmcnt(0)
	v_add_nc_u32_e32 v27, v0, v32
	ds_load_u8 v28, v27 offset:1
	v_mov_b32_e32 v27, v23
.LBB105_55:
	s_or_b32 exec_lo, exec_lo, s4
	v_add_nc_u32_e32 v33, 1, v31
	v_add_nc_u32_e32 v34, 1, v32
	s_waitcnt lgkmcnt(0)
	v_and_b32_e32 v37, 0xff, v27
                                        ; implicit-def: $vgpr41
	s_delay_alu instid0(VALU_DEP_3) | instskip(SKIP_2) | instid1(VALU_DEP_3)
	v_cndmask_b32_e64 v35, v33, v31, s3
	v_and_b32_e32 v33, 0xff, v28
	v_cndmask_b32_e64 v36, v32, v34, s3
	v_cmp_lt_i32_e64 s4, 15, v35
	s_delay_alu instid0(VALU_DEP_3) | instskip(NEXT) | instid1(VALU_DEP_3)
	v_cmp_lt_u16_e64 s5, v33, v37
	v_cmp_gt_i32_e64 s6, 32, v36
	s_delay_alu instid0(VALU_DEP_2)
	s_or_b32 s4, s4, s5
	s_delay_alu instid0(VALU_DEP_1) | instid1(SALU_CYCLE_1)
	s_and_b32 s4, s6, s4
	s_delay_alu instid0(SALU_CYCLE_1) | instskip(NEXT) | instid1(SALU_CYCLE_1)
	s_xor_b32 s5, s4, -1
	s_and_saveexec_b32 s6, s5
	s_delay_alu instid0(SALU_CYCLE_1)
	s_xor_b32 s5, exec_lo, s6
	s_cbranch_execz .LBB105_57
; %bb.56:
	v_add_nc_u32_e32 v33, v0, v35
	ds_load_u8 v41, v33 offset:1
.LBB105_57:
	s_or_saveexec_b32 s5, s5
	v_mov_b32_e32 v33, v28
	s_xor_b32 exec_lo, exec_lo, s5
	s_cbranch_execz .LBB105_59
; %bb.58:
	v_add_nc_u32_e32 v33, v0, v36
	s_waitcnt lgkmcnt(0)
	v_mov_b32_e32 v41, v27
	ds_load_u8 v33, v33 offset:1
.LBB105_59:
	s_or_b32 exec_lo, exec_lo, s5
	v_add_nc_u32_e32 v34, 1, v35
	v_add_nc_u32_e32 v37, 1, v36
	s_waitcnt lgkmcnt(0)
	v_and_b32_e32 v38, 0xff, v41
                                        ; implicit-def: $vgpr39
	s_delay_alu instid0(VALU_DEP_3) | instskip(SKIP_2) | instid1(VALU_DEP_3)
	v_cndmask_b32_e64 v42, v34, v35, s4
	v_and_b32_e32 v34, 0xff, v33
	v_cndmask_b32_e64 v37, v36, v37, s4
	v_cmp_gt_i32_e64 s5, 16, v42
	s_delay_alu instid0(VALU_DEP_3) | instskip(NEXT) | instid1(VALU_DEP_3)
	v_cmp_ge_u16_e64 s6, v34, v38
	v_cmp_lt_i32_e64 s7, 31, v37
                                        ; implicit-def: $vgpr38
	s_delay_alu instid0(VALU_DEP_2)
	s_and_b32 s5, s5, s6
	s_delay_alu instid0(VALU_DEP_1) | instid1(SALU_CYCLE_1)
	s_or_b32 s5, s7, s5
	s_delay_alu instid0(SALU_CYCLE_1) | instskip(NEXT) | instid1(SALU_CYCLE_1)
	s_and_saveexec_b32 s6, s5
	s_xor_b32 s5, exec_lo, s6
	s_cbranch_execz .LBB105_61
; %bb.60:
	v_add_nc_u32_e32 v34, v0, v42
	v_add_nc_u32_e32 v38, 1, v42
	ds_load_u8 v39, v34 offset:1
.LBB105_61:
	s_or_saveexec_b32 s5, s5
	v_mov_b32_e32 v34, v41
	v_mov_b32_e32 v40, v42
	s_xor_b32 exec_lo, exec_lo, s5
	s_cbranch_execz .LBB105_63
; %bb.62:
	s_waitcnt lgkmcnt(0)
	v_add_nc_u32_e32 v39, 1, v37
	v_add_nc_u32_e32 v34, v0, v37
	v_mov_b32_e32 v40, v37
	s_delay_alu instid0(VALU_DEP_3)
	v_dual_mov_b32 v38, v42 :: v_dual_mov_b32 v37, v39
	v_mov_b32_e32 v39, v41
	ds_load_u8 v43, v34 offset:1
	s_waitcnt lgkmcnt(0)
	v_dual_mov_b32 v34, v33 :: v_dual_mov_b32 v33, v43
.LBB105_63:
	s_or_b32 exec_lo, exec_lo, s5
	v_lshlrev_b16 v12, 8, v12
	v_and_b32_e32 v10, 0xff, v10
	v_lshlrev_b16 v11, 8, v11
	v_dual_cndmask_b32 v8, v8, v16 :: v_dual_and_b32 v9, 0xff, v9
	v_lshlrev_b16 v7, 8, v7
	v_and_b32_e32 v2, 0xff, v2
	v_lshlrev_b16 v6, 8, v6
	v_and_b32_e32 v1, 0xff, v1
	v_cndmask_b32_e64 v25, v25, v26, s1
	v_cndmask_b32_e64 v21, v21, v22, s0
	s_waitcnt lgkmcnt(0)
	v_dual_cndmask_b32 v5, v5, v13 :: v_dual_and_b32 v22, 0xff, v39
	v_and_b32_e32 v26, 0xff, v33
	v_or_b32_e32 v10, v10, v12
	v_or_b32_e32 v9, v9, v11
	;; [unrolled: 1-line block ×4, first 2 shown]
	v_cmp_lt_i32_e64 s5, 15, v38
	v_cmp_lt_u16_e64 s6, v26, v22
	v_and_b32_e32 v6, 0xffff, v10
	v_lshlrev_b32_e32 v7, 16, v9
	v_and_b32_e32 v9, 0xffff, v2
	v_lshlrev_b32_e32 v1, 16, v1
	v_cmp_gt_i32_e64 s7, 32, v37
	s_or_b32 s5, s5, s6
	v_or_b32_e32 v2, v6, v7
	v_cndmask_b32_e64 v29, v29, v30, s2
	v_or_b32_e32 v1, v9, v1
	s_and_b32 s5, s7, s5
	v_cndmask_b32_e64 v35, v35, v36, s4
	v_cndmask_b32_e64 v31, v31, v32, s3
	;; [unrolled: 1-line block ×3, first 2 shown]
	; wave barrier
	ds_store_b64 v4, v[1:2]
	v_add_nc_u32_e32 v1, v0, v8
	v_add_nc_u32_e32 v2, v0, v21
	;; [unrolled: 1-line block ×8, first 2 shown]
	; wave barrier
	ds_load_u8 v1, v1
	ds_load_u8 v2, v2
	;; [unrolled: 1-line block ×8, first 2 shown]
	v_cndmask_b32_e64 v6, v39, v33, s5
	v_cndmask_b32_e64 v11, v27, v28, s4
	;; [unrolled: 1-line block ×6, first 2 shown]
	s_add_u32 s0, s38, s40
	s_addc_u32 s1, s39, 0
	s_waitcnt lgkmcnt(7)
	v_add_nc_u16 v1, v1, v5
	s_waitcnt lgkmcnt(6)
	v_add_nc_u16 v2, v2, v12
	;; [unrolled: 2-line block ×8, first 2 shown]
	v_lshlrev_b16 v2, 8, v2
	v_and_b32_e32 v1, 0xff, v1
	v_lshlrev_b16 v5, 8, v5
	v_and_b32_e32 v4, 0xff, v4
	;; [unrolled: 2-line block ×4, first 2 shown]
	v_or_b32_e32 v1, v1, v2
	v_or_b32_e32 v2, v4, v5
	;; [unrolled: 1-line block ×3, first 2 shown]
	s_delay_alu instid0(VALU_DEP_4) | instskip(NEXT) | instid1(VALU_DEP_4)
	v_or_b32_e32 v0, v8, v0
	v_and_b32_e32 v5, 0xffff, v1
	s_delay_alu instid0(VALU_DEP_4) | instskip(NEXT) | instid1(VALU_DEP_4)
	v_lshlrev_b32_e32 v2, 16, v2
	v_and_b32_e32 v4, 0xffff, v4
	s_delay_alu instid0(VALU_DEP_4) | instskip(SKIP_1) | instid1(VALU_DEP_1)
	v_lshlrev_b32_e32 v6, 16, v0
	v_add_co_u32 v0, s0, s0, v3
	v_add_co_ci_u32_e64 v1, null, s1, 0, s0
	v_or_b32_e32 v2, v5, v2
	s_delay_alu instid0(VALU_DEP_4)
	v_or_b32_e32 v3, v4, v6
	global_store_b64 v[0:1], v[2:3], off
	s_nop 0
	s_sendmsg sendmsg(MSG_DEALLOC_VGPRS)
	s_endpgm
	.section	.rodata,"a",@progbits
	.p2align	6, 0x0
	.amdhsa_kernel _Z10sort_pairsILj256ELj4ELj8EhN10test_utils4lessEEvPKT2_PS2_T3_
		.amdhsa_group_segment_fixed_size 2112
		.amdhsa_private_segment_fixed_size 0
		.amdhsa_kernarg_size 20
		.amdhsa_user_sgpr_count 15
		.amdhsa_user_sgpr_dispatch_ptr 0
		.amdhsa_user_sgpr_queue_ptr 0
		.amdhsa_user_sgpr_kernarg_segment_ptr 1
		.amdhsa_user_sgpr_dispatch_id 0
		.amdhsa_user_sgpr_private_segment_size 0
		.amdhsa_wavefront_size32 1
		.amdhsa_uses_dynamic_stack 0
		.amdhsa_enable_private_segment 0
		.amdhsa_system_sgpr_workgroup_id_x 1
		.amdhsa_system_sgpr_workgroup_id_y 0
		.amdhsa_system_sgpr_workgroup_id_z 0
		.amdhsa_system_sgpr_workgroup_info 0
		.amdhsa_system_vgpr_workitem_id 0
		.amdhsa_next_free_vgpr 46
		.amdhsa_next_free_sgpr 41
		.amdhsa_reserve_vcc 1
		.amdhsa_float_round_mode_32 0
		.amdhsa_float_round_mode_16_64 0
		.amdhsa_float_denorm_mode_32 3
		.amdhsa_float_denorm_mode_16_64 3
		.amdhsa_dx10_clamp 1
		.amdhsa_ieee_mode 1
		.amdhsa_fp16_overflow 0
		.amdhsa_workgroup_processor_mode 1
		.amdhsa_memory_ordered 1
		.amdhsa_forward_progress 0
		.amdhsa_shared_vgpr_count 0
		.amdhsa_exception_fp_ieee_invalid_op 0
		.amdhsa_exception_fp_denorm_src 0
		.amdhsa_exception_fp_ieee_div_zero 0
		.amdhsa_exception_fp_ieee_overflow 0
		.amdhsa_exception_fp_ieee_underflow 0
		.amdhsa_exception_fp_ieee_inexact 0
		.amdhsa_exception_int_div_zero 0
	.end_amdhsa_kernel
	.section	.text._Z10sort_pairsILj256ELj4ELj8EhN10test_utils4lessEEvPKT2_PS2_T3_,"axG",@progbits,_Z10sort_pairsILj256ELj4ELj8EhN10test_utils4lessEEvPKT2_PS2_T3_,comdat
.Lfunc_end105:
	.size	_Z10sort_pairsILj256ELj4ELj8EhN10test_utils4lessEEvPKT2_PS2_T3_, .Lfunc_end105-_Z10sort_pairsILj256ELj4ELj8EhN10test_utils4lessEEvPKT2_PS2_T3_
                                        ; -- End function
	.section	.AMDGPU.csdata,"",@progbits
; Kernel info:
; codeLenInByte = 6976
; NumSgprs: 43
; NumVgprs: 46
; ScratchSize: 0
; MemoryBound: 0
; FloatMode: 240
; IeeeMode: 1
; LDSByteSize: 2112 bytes/workgroup (compile time only)
; SGPRBlocks: 5
; VGPRBlocks: 5
; NumSGPRsForWavesPerEU: 43
; NumVGPRsForWavesPerEU: 46
; Occupancy: 16
; WaveLimiterHint : 0
; COMPUTE_PGM_RSRC2:SCRATCH_EN: 0
; COMPUTE_PGM_RSRC2:USER_SGPR: 15
; COMPUTE_PGM_RSRC2:TRAP_HANDLER: 0
; COMPUTE_PGM_RSRC2:TGID_X_EN: 1
; COMPUTE_PGM_RSRC2:TGID_Y_EN: 0
; COMPUTE_PGM_RSRC2:TGID_Z_EN: 0
; COMPUTE_PGM_RSRC2:TIDIG_COMP_CNT: 0
	.section	.text._Z19sort_keys_segmentedILj256ELj4ELj8EhN10test_utils4lessEEvPKT2_PS2_PKjT3_,"axG",@progbits,_Z19sort_keys_segmentedILj256ELj4ELj8EhN10test_utils4lessEEvPKT2_PS2_PKjT3_,comdat
	.protected	_Z19sort_keys_segmentedILj256ELj4ELj8EhN10test_utils4lessEEvPKT2_PS2_PKjT3_ ; -- Begin function _Z19sort_keys_segmentedILj256ELj4ELj8EhN10test_utils4lessEEvPKT2_PS2_PKjT3_
	.globl	_Z19sort_keys_segmentedILj256ELj4ELj8EhN10test_utils4lessEEvPKT2_PS2_PKjT3_
	.p2align	8
	.type	_Z19sort_keys_segmentedILj256ELj4ELj8EhN10test_utils4lessEEvPKT2_PS2_PKjT3_,@function
_Z19sort_keys_segmentedILj256ELj4ELj8EhN10test_utils4lessEEvPKT2_PS2_PKjT3_: ; @_Z19sort_keys_segmentedILj256ELj4ELj8EhN10test_utils4lessEEvPKT2_PS2_PKjT3_
; %bb.0:
	s_clause 0x1
	s_load_b64 s[2:3], s[0:1], 0x10
	s_load_b128 s[16:19], s[0:1], 0x0
	v_lshrrev_b32_e32 v5, 2, v0
	v_mov_b32_e32 v1, 0
                                        ; implicit-def: $vgpr10
	s_delay_alu instid0(VALU_DEP_2) | instskip(NEXT) | instid1(VALU_DEP_1)
	v_lshl_or_b32 v0, s15, 6, v5
	v_lshlrev_b64 v[1:2], 2, v[0:1]
	v_lshlrev_b32_e32 v3, 5, v0
	s_waitcnt lgkmcnt(0)
	s_delay_alu instid0(VALU_DEP_2) | instskip(NEXT) | instid1(VALU_DEP_3)
	v_add_co_u32 v1, vcc_lo, s2, v1
	v_add_co_ci_u32_e32 v2, vcc_lo, s3, v2, vcc_lo
	s_delay_alu instid0(VALU_DEP_3) | instskip(SKIP_2) | instid1(VALU_DEP_1)
	v_add_co_u32 v0, s0, s16, v3
	global_load_b32 v4, v[1:2], off
	v_mbcnt_lo_u32_b32 v1, -1, 0
	v_lshlrev_b32_e32 v6, 3, v1
	v_add_co_ci_u32_e64 v1, null, s17, 0, s0
	s_delay_alu instid0(VALU_DEP_2) | instskip(NEXT) | instid1(VALU_DEP_1)
	v_and_b32_e32 v2, 24, v6
	v_add_co_u32 v0, vcc_lo, v0, v2
	s_delay_alu instid0(VALU_DEP_3)
	v_add_co_ci_u32_e32 v1, vcc_lo, 0, v1, vcc_lo
	s_waitcnt vmcnt(0)
	v_cmp_lt_u32_e32 vcc_lo, v2, v4
	s_and_saveexec_b32 s0, vcc_lo
	s_cbranch_execz .LBB106_2
; %bb.1:
	global_load_u8 v10, v[0:1], off
.LBB106_2:
	s_or_b32 exec_lo, exec_lo, s0
	v_or_b32_e32 v8, 1, v2
                                        ; implicit-def: $vgpr11
	s_delay_alu instid0(VALU_DEP_1) | instskip(NEXT) | instid1(VALU_DEP_1)
	v_cmp_lt_u32_e64 s0, v8, v4
	s_and_saveexec_b32 s1, s0
	s_cbranch_execz .LBB106_4
; %bb.3:
	global_load_u8 v11, v[0:1], off offset:1
.LBB106_4:
	s_or_b32 exec_lo, exec_lo, s1
	v_or_b32_e32 v7, 2, v2
                                        ; implicit-def: $vgpr12
	s_delay_alu instid0(VALU_DEP_1) | instskip(NEXT) | instid1(VALU_DEP_1)
	v_cmp_lt_u32_e64 s1, v7, v4
	s_and_saveexec_b32 s2, s1
	s_cbranch_execz .LBB106_6
; %bb.5:
	global_load_u8 v12, v[0:1], off offset:2
.LBB106_6:
	s_or_b32 exec_lo, exec_lo, s2
	v_or_b32_e32 v9, 3, v2
                                        ; implicit-def: $vgpr15
	s_delay_alu instid0(VALU_DEP_1) | instskip(NEXT) | instid1(VALU_DEP_1)
	v_cmp_lt_u32_e64 s2, v9, v4
	s_and_saveexec_b32 s3, s2
	s_cbranch_execz .LBB106_8
; %bb.7:
	global_load_u8 v15, v[0:1], off offset:3
.LBB106_8:
	s_or_b32 exec_lo, exec_lo, s3
	v_or_b32_e32 v13, 4, v2
                                        ; implicit-def: $vgpr16
	s_delay_alu instid0(VALU_DEP_1) | instskip(NEXT) | instid1(VALU_DEP_1)
	v_cmp_lt_u32_e64 s3, v13, v4
	s_and_saveexec_b32 s4, s3
	s_cbranch_execz .LBB106_10
; %bb.9:
	global_load_u8 v16, v[0:1], off offset:4
.LBB106_10:
	s_or_b32 exec_lo, exec_lo, s4
	v_or_b32_e32 v14, 5, v2
                                        ; implicit-def: $vgpr18
	s_delay_alu instid0(VALU_DEP_1) | instskip(NEXT) | instid1(VALU_DEP_1)
	v_cmp_lt_u32_e64 s4, v14, v4
	s_and_saveexec_b32 s5, s4
	s_cbranch_execz .LBB106_12
; %bb.11:
	global_load_u8 v18, v[0:1], off offset:5
.LBB106_12:
	s_or_b32 exec_lo, exec_lo, s5
	v_or_b32_e32 v17, 6, v2
                                        ; implicit-def: $vgpr20
	s_delay_alu instid0(VALU_DEP_1) | instskip(NEXT) | instid1(VALU_DEP_1)
	v_cmp_lt_u32_e64 s5, v17, v4
	s_and_saveexec_b32 s6, s5
	s_cbranch_execz .LBB106_14
; %bb.13:
	global_load_u8 v20, v[0:1], off offset:6
.LBB106_14:
	s_or_b32 exec_lo, exec_lo, s6
	v_or_b32_e32 v19, 7, v2
                                        ; implicit-def: $vgpr21
	s_delay_alu instid0(VALU_DEP_1) | instskip(NEXT) | instid1(VALU_DEP_1)
	v_cmp_lt_u32_e64 s6, v19, v4
	s_and_saveexec_b32 s7, s6
	s_cbranch_execz .LBB106_16
; %bb.15:
	global_load_u8 v21, v[0:1], off offset:7
.LBB106_16:
	s_or_b32 exec_lo, exec_lo, s7
	s_waitcnt vmcnt(0)
	v_and_b32_e32 v0, 0xff, v10
	v_lshlrev_b16 v1, 8, v11
	v_and_b32_e32 v10, 0xff, v12
	v_lshlrev_b16 v11, 8, v15
	v_cmp_lt_i32_e64 s7, v8, v4
	v_and_b32_e32 v8, 0xff, v16
	v_or_b32_e32 v1, v0, v1
	v_or_b32_e32 v0, 0xffffff00, v0
	;; [unrolled: 1-line block ×3, first 2 shown]
	v_and_b32_e32 v12, 0xff, v20
	v_lshlrev_b16 v15, 8, v21
	v_and_b32_e32 v1, 0xffff, v1
	v_and_b32_e32 v0, 0xffff, v0
	v_lshlrev_b32_e32 v10, 16, v10
	v_cmp_lt_i32_e64 s8, v9, v4
	s_mov_b32 s9, exec_lo
	s_delay_alu instid0(VALU_DEP_2) | instskip(SKIP_2) | instid1(VALU_DEP_2)
	v_or_b32_e32 v11, v1, v10
	v_or_b32_e32 v0, v0, v10
	v_lshlrev_b16 v10, 8, v18
	v_cndmask_b32_e64 v0, v0, v11, s7
	s_delay_alu instid0(VALU_DEP_2) | instskip(SKIP_2) | instid1(VALU_DEP_4)
	v_or_b32_e32 v8, v8, v10
	v_or_b32_e32 v10, v12, v15
	v_cmp_lt_i32_e64 s7, v7, v4
	v_lshrrev_b32_e32 v1, 16, v0
	s_delay_alu instid0(VALU_DEP_3) | instskip(NEXT) | instid1(VALU_DEP_2)
	v_lshlrev_b32_e32 v10, 16, v10
	v_or_b32_e32 v1, 0xff, v1
	s_delay_alu instid0(VALU_DEP_1) | instskip(NEXT) | instid1(VALU_DEP_1)
	v_lshlrev_b32_e32 v1, 16, v1
	v_and_or_b32 v0, 0xffff, v0, v1
	v_and_b32_e32 v1, 0xffff, v8
	v_or_b32_e32 v8, 0xff, v8
	s_delay_alu instid0(VALU_DEP_3) | instskip(NEXT) | instid1(VALU_DEP_3)
	v_cndmask_b32_e64 v0, v0, v11, s7
	v_or_b32_e32 v1, v1, v10
	s_delay_alu instid0(VALU_DEP_3) | instskip(SKIP_1) | instid1(VALU_DEP_4)
	v_and_b32_e32 v7, 0xffff, v8
	v_cmp_lt_i32_e64 s7, v13, v4
	v_lshrrev_b32_e32 v8, 16, v0
	s_delay_alu instid0(VALU_DEP_3) | instskip(NEXT) | instid1(VALU_DEP_2)
	v_and_or_b32 v7, 0xffff0000, v1, v7
	v_or_b32_e32 v8, 0xffffff00, v8
	s_delay_alu instid0(VALU_DEP_2) | instskip(NEXT) | instid1(VALU_DEP_2)
	v_cndmask_b32_e64 v7, v7, v1, s7
	v_lshlrev_b32_e32 v8, 16, v8
	s_delay_alu instid0(VALU_DEP_2) | instskip(NEXT) | instid1(VALU_DEP_2)
	v_or_b32_e32 v10, 0xffffff00, v7
	v_and_or_b32 v0, 0xffff, v0, v8
	s_delay_alu instid0(VALU_DEP_2) | instskip(NEXT) | instid1(VALU_DEP_2)
	v_and_b32_e32 v8, 0xffff, v10
	v_cndmask_b32_e64 v0, v0, v11, s8
	s_delay_alu instid0(VALU_DEP_2) | instskip(NEXT) | instid1(VALU_DEP_2)
	v_and_or_b32 v7, 0xffff0000, v7, v8
	v_cndmask_b32_e64 v0, v0, v11, s7
	v_cmp_lt_i32_e64 s7, v14, v4
	s_delay_alu instid0(VALU_DEP_1) | instskip(NEXT) | instid1(VALU_DEP_3)
	v_cndmask_b32_e64 v7, v7, v1, s7
	v_cndmask_b32_e64 v0, v0, v11, s7
	v_cmp_lt_i32_e64 s7, v17, v4
	s_delay_alu instid0(VALU_DEP_3) | instskip(NEXT) | instid1(VALU_DEP_2)
	v_lshrrev_b32_e32 v8, 16, v7
	v_cndmask_b32_e64 v0, v0, v11, s7
	s_delay_alu instid0(VALU_DEP_2) | instskip(NEXT) | instid1(VALU_DEP_1)
	v_or_b32_e32 v8, 0xff, v8
	v_lshlrev_b32_e32 v8, 16, v8
	s_delay_alu instid0(VALU_DEP_1) | instskip(NEXT) | instid1(VALU_DEP_1)
	v_and_or_b32 v7, 0xffff, v7, v8
	v_cndmask_b32_e64 v7, v7, v1, s7
	v_cmp_lt_i32_e64 s7, v19, v4
	s_delay_alu instid0(VALU_DEP_2) | instskip(NEXT) | instid1(VALU_DEP_2)
	v_lshrrev_b32_e32 v8, 16, v7
	v_cndmask_b32_e64 v0, v0, v11, s7
	s_delay_alu instid0(VALU_DEP_2) | instskip(NEXT) | instid1(VALU_DEP_1)
	v_or_b32_e32 v8, 0xffffff00, v8
	v_lshlrev_b32_e32 v8, 16, v8
	s_delay_alu instid0(VALU_DEP_1) | instskip(NEXT) | instid1(VALU_DEP_1)
	v_and_or_b32 v7, 0xffff, v7, v8
	v_cndmask_b32_e64 v1, v7, v1, s7
	v_cmpx_lt_i32_e64 v2, v4
	s_cbranch_execz .LBB106_18
; %bb.17:
	v_lshrrev_b32_e32 v7, 8, v0
	v_perm_b32 v8, 0, v0, 0xc0c0001
	v_and_b32_e32 v9, 0xff, v0
	v_and_b32_e32 v16, 0xff, v1
	s_delay_alu instid0(VALU_DEP_4) | instskip(NEXT) | instid1(VALU_DEP_4)
	v_and_b32_e32 v7, 0xff, v7
	v_and_or_b32 v8, 0xffff0000, v0, v8
	s_delay_alu instid0(VALU_DEP_2) | instskip(SKIP_2) | instid1(VALU_DEP_3)
	v_cmp_lt_u16_e64 s7, v7, v9
	v_max_u16 v13, v7, v9
	v_min_u16 v7, v7, v9
	v_cndmask_b32_e64 v0, v0, v8, s7
	s_delay_alu instid0(VALU_DEP_1) | instskip(SKIP_1) | instid1(VALU_DEP_2)
	v_lshrrev_b32_e32 v8, 16, v0
	v_lshrrev_b32_e32 v11, 24, v0
	v_perm_b32 v10, 0, v8, 0xc0c0001
	v_and_b32_e32 v8, 0xff, v8
	s_delay_alu instid0(VALU_DEP_2) | instskip(NEXT) | instid1(VALU_DEP_2)
	v_lshlrev_b32_e32 v10, 16, v10
	v_cmp_lt_u16_e64 s7, v11, v8
	s_delay_alu instid0(VALU_DEP_2) | instskip(NEXT) | instid1(VALU_DEP_1)
	v_and_or_b32 v10, 0xffff, v0, v10
	v_cndmask_b32_e64 v0, v0, v10, s7
	v_min_u16 v10, v11, v8
	v_max_u16 v8, v11, v8
	s_delay_alu instid0(VALU_DEP_3) | instskip(NEXT) | instid1(VALU_DEP_3)
	v_lshrrev_b32_e32 v12, 16, v0
	v_lshlrev_b16 v14, 8, v10
	v_and_b32_e32 v15, 0xff, v0
	v_cmp_lt_u16_e64 s7, v10, v13
	v_cmp_lt_u16_e64 s8, v10, v7
	v_and_b32_e32 v12, 0xffffff00, v12
	s_delay_alu instid0(VALU_DEP_4) | instskip(SKIP_1) | instid1(VALU_DEP_3)
	v_or_b32_e32 v14, v15, v14
	v_lshrrev_b32_e32 v15, 8, v1
	v_or_b32_e32 v12, v13, v12
	s_delay_alu instid0(VALU_DEP_3) | instskip(NEXT) | instid1(VALU_DEP_2)
	v_and_b32_e32 v14, 0xffff, v14
	v_lshlrev_b32_e32 v12, 16, v12
	s_delay_alu instid0(VALU_DEP_1) | instskip(SKIP_2) | instid1(VALU_DEP_3)
	v_or_b32_e32 v12, v14, v12
	v_and_b32_e32 v14, 0xff, v15
	v_perm_b32 v15, v1, v1, 0x7060405
	v_cndmask_b32_e64 v0, v0, v12, s7
	s_delay_alu instid0(VALU_DEP_3) | instskip(SKIP_1) | instid1(VALU_DEP_2)
	v_cmp_lt_u16_e64 s7, v14, v16
	v_min_u16 v12, v14, v16
	v_cndmask_b32_e64 v1, v1, v15, s7
	s_delay_alu instid0(VALU_DEP_4) | instskip(NEXT) | instid1(VALU_DEP_3)
	v_lshrrev_b32_e32 v15, 16, v0
	v_lshlrev_b16 v19, 8, v12
	s_delay_alu instid0(VALU_DEP_3) | instskip(SKIP_1) | instid1(VALU_DEP_4)
	v_lshrrev_b32_e32 v17, 16, v1
	v_lshrrev_b32_e32 v18, 24, v1
	v_and_b32_e32 v15, 0xff, v15
	v_perm_b32 v20, v1, v1, 0x6070504
	s_delay_alu instid0(VALU_DEP_4) | instskip(NEXT) | instid1(VALU_DEP_3)
	v_and_b32_e32 v17, 0xff, v17
	v_or_b32_e32 v9, v15, v19
	v_lshlrev_b16 v15, 8, v7
	v_min_u16 v19, v10, v13
	s_delay_alu instid0(VALU_DEP_4) | instskip(SKIP_2) | instid1(VALU_DEP_4)
	v_cmp_lt_u16_e64 s7, v18, v17
	v_max_u16 v13, v10, v13
	v_lshlrev_b32_e32 v9, 16, v9
	v_or_b32_e32 v15, v19, v15
	s_delay_alu instid0(VALU_DEP_4) | instskip(SKIP_1) | instid1(VALU_DEP_4)
	v_cndmask_b32_e64 v1, v1, v20, s7
	v_cmp_lt_u16_e64 s7, v12, v8
	v_and_or_b32 v9, 0xffff, v0, v9
	v_min_u16 v20, v12, v8
	v_lshlrev_b16 v21, 8, v13
	v_and_b32_e32 v11, 0xffffff00, v1
	v_and_b32_e32 v15, 0xffff, v15
	v_cndmask_b32_e64 v0, v0, v9, s7
	v_max_u16 v9, v14, v16
	v_or_b32_e32 v14, v20, v21
	v_or_b32_e32 v11, v8, v11
	v_max_u16 v8, v12, v8
	v_and_or_b32 v15, 0xffff0000, v0, v15
	v_max_u16 v16, v18, v17
	v_lshlrev_b32_e32 v14, 16, v14
	v_and_b32_e32 v11, 0xffff, v11
	v_min_u16 v17, v18, v17
	v_cndmask_b32_e64 v0, v0, v15, s8
	v_min_u16 v18, v20, v13
	v_lshlrev_b16 v21, 8, v8
	v_and_or_b32 v11, 0xffff0000, v1, v11
	v_lshlrev_b16 v10, 8, v17
	v_and_or_b32 v12, 0xffff, v0, v14
	v_min_u16 v14, v17, v9
	v_lshlrev_b16 v22, 8, v18
	v_cndmask_b32_e64 v1, v1, v11, s7
	v_cmp_lt_u16_e64 s7, v20, v13
	v_max_u16 v11, v17, v9
	v_or_b32_e32 v21, v14, v21
	v_max_u16 v13, v20, v13
	v_lshrrev_b32_e32 v15, 16, v1
	v_cndmask_b32_e64 v0, v0, v12, s7
	v_and_b32_e32 v12, 0xff, v1
	v_cmp_lt_u16_e64 s7, v17, v9
	s_delay_alu instid0(VALU_DEP_4) | instskip(NEXT) | instid1(VALU_DEP_4)
	v_and_b32_e32 v15, 0xffffff00, v15
	v_lshrrev_b32_e32 v23, 16, v0
	s_delay_alu instid0(VALU_DEP_4) | instskip(SKIP_1) | instid1(VALU_DEP_4)
	v_or_b32_e32 v10, v12, v10
	v_and_b32_e32 v24, 0xff, v0
	v_or_b32_e32 v12, v9, v15
	v_cndmask_b32_e64 v15, v19, v7, s8
	v_and_b32_e32 v23, 0xffffff00, v23
	v_and_b32_e32 v10, 0xffff, v10
	v_or_b32_e32 v22, v24, v22
	v_lshlrev_b32_e32 v12, 16, v12
	v_lshlrev_b16 v24, 8, v11
	v_or_b32_e32 v23, v15, v23
	v_cndmask_b32_e64 v7, v7, v19, s8
	s_delay_alu instid0(VALU_DEP_4) | instskip(SKIP_3) | instid1(VALU_DEP_4)
	v_or_b32_e32 v10, v10, v12
	v_and_b32_e32 v12, 0xffff, v21
	v_and_b32_e32 v21, 0xffff, v22
	v_lshlrev_b32_e32 v22, 16, v23
	v_cndmask_b32_e64 v1, v1, v10, s7
	v_cmp_lt_u16_e64 s7, v18, v15
	v_or_b32_e32 v10, v16, v24
	s_delay_alu instid0(VALU_DEP_4) | instskip(NEXT) | instid1(VALU_DEP_4)
	v_or_b32_e32 v17, v21, v22
	v_and_or_b32 v12, 0xffff0000, v1, v12
	s_delay_alu instid0(VALU_DEP_3) | instskip(NEXT) | instid1(VALU_DEP_3)
	v_lshlrev_b32_e32 v10, 16, v10
	v_cndmask_b32_e64 v0, v0, v17, s7
	v_cmp_lt_u16_e64 s7, v14, v8
	s_delay_alu instid0(VALU_DEP_2) | instskip(NEXT) | instid1(VALU_DEP_2)
	v_lshrrev_b32_e32 v17, 16, v0
	v_cndmask_b32_e64 v1, v1, v12, s7
	v_min_u16 v12, v14, v8
	v_cmp_gt_u16_e64 s7, v9, v16
	v_max_u16 v8, v14, v8
	v_and_b32_e32 v17, 0xff, v17
	v_and_or_b32 v10, 0xffff, v1, v10
	v_lshlrev_b16 v20, 8, v12
	v_cmp_lt_u16_e64 s8, v12, v13
	v_max_u16 v19, v12, v13
	s_delay_alu instid0(VALU_DEP_4) | instskip(NEXT) | instid1(VALU_DEP_4)
	v_cndmask_b32_e64 v1, v1, v10, s7
	v_or_b32_e32 v9, v17, v20
	v_min_u16 v10, v18, v15
	v_lshlrev_b16 v17, 8, v7
	v_max_u16 v15, v18, v15
	v_and_b32_e32 v14, 0xffffff00, v1
	v_lshlrev_b32_e32 v9, 16, v9
	v_min_u16 v18, v12, v13
	v_or_b32_e32 v17, v10, v17
	v_lshlrev_b16 v20, 8, v15
	v_or_b32_e32 v14, v13, v14
	v_and_or_b32 v9, 0xffff, v0, v9
	v_lshlrev_b16 v13, 8, v19
	v_and_b32_e32 v17, 0xffff, v17
	s_delay_alu instid0(VALU_DEP_4) | instskip(NEXT) | instid1(VALU_DEP_4)
	v_and_b32_e32 v14, 0xffff, v14
	v_cndmask_b32_e64 v0, v0, v9, s8
	v_or_b32_e32 v9, v18, v20
	s_delay_alu instid0(VALU_DEP_3) | instskip(NEXT) | instid1(VALU_DEP_3)
	v_and_or_b32 v12, 0xffff0000, v1, v14
	v_and_or_b32 v17, 0xffff0000, v0, v17
	s_delay_alu instid0(VALU_DEP_3) | instskip(SKIP_1) | instid1(VALU_DEP_4)
	v_lshlrev_b32_e32 v9, 16, v9
	v_min_u16 v14, v18, v15
	v_cndmask_b32_e64 v1, v1, v12, s8
	v_cmp_lt_u16_e64 s8, v10, v7
	v_cndmask_b32_e64 v12, v11, v16, s7
	v_cndmask_b32_e64 v11, v16, v11, s7
	v_cmp_lt_u16_e64 s7, v18, v15
	v_lshrrev_b32_e32 v20, 16, v1
	v_cndmask_b32_e64 v0, v0, v17, s8
	v_lshlrev_b16 v22, 8, v12
	v_and_b32_e32 v23, 0xff, v1
	v_max_u16 v17, v10, v7
	v_and_b32_e32 v20, 0xffffff00, v20
	v_and_or_b32 v9, 0xffff, v0, v9
	v_lshlrev_b16 v21, 8, v14
	v_min_u16 v7, v10, v7
	s_delay_alu instid0(VALU_DEP_4) | instskip(NEXT) | instid1(VALU_DEP_4)
	v_or_b32_e32 v16, v8, v20
	v_cndmask_b32_e64 v0, v0, v9, s7
	v_or_b32_e32 v9, v23, v22
	v_min_u16 v20, v12, v8
	v_cmp_lt_u16_e64 s7, v12, v8
	v_lshlrev_b32_e32 v16, 16, v16
	v_lshrrev_b32_e32 v23, 16, v0
	v_and_b32_e32 v9, 0xffff, v9
	v_or_b32_e32 v13, v20, v13
	v_and_b32_e32 v24, 0xff, v0
	v_max_u16 v22, v12, v8
	v_and_b32_e32 v23, 0xffffff00, v23
	v_or_b32_e32 v9, v9, v16
	v_and_b32_e32 v13, 0xffff, v13
	v_or_b32_e32 v16, v24, v21
	v_lshlrev_b16 v25, 8, v22
	v_or_b32_e32 v21, v17, v23
	v_cndmask_b32_e64 v1, v1, v9, s7
	v_cmp_lt_u16_e64 s7, v20, v19
	v_and_b32_e32 v9, 0xffff, v16
	v_or_b32_e32 v8, v11, v25
	v_lshlrev_b32_e32 v12, 16, v21
	v_and_or_b32 v13, 0xffff0000, v1, v13
	v_min_u16 v10, v20, v19
	s_delay_alu instid0(VALU_DEP_4) | instskip(NEXT) | instid1(VALU_DEP_4)
	v_lshlrev_b32_e32 v8, 16, v8
	v_or_b32_e32 v9, v9, v12
	s_delay_alu instid0(VALU_DEP_4) | instskip(SKIP_2) | instid1(VALU_DEP_3)
	v_cndmask_b32_e64 v1, v1, v13, s7
	v_cmp_lt_u16_e64 s7, v14, v17
	v_lshlrev_b16 v13, 8, v10
	v_and_or_b32 v8, 0xffff, v1, v8
	s_delay_alu instid0(VALU_DEP_3)
	v_cndmask_b32_e64 v0, v0, v9, s7
	v_cmp_lt_u16_e64 s7, v11, v22
	v_max_u16 v9, v18, v15
	v_lshlrev_b16 v15, 8, v7
	v_max_u16 v18, v20, v19
	v_lshrrev_b32_e32 v12, 16, v0
	v_cndmask_b32_e64 v1, v1, v8, s7
	v_min_u16 v8, v14, v17
	v_max_u16 v17, v14, v17
	v_cmp_lt_u16_e64 s7, v10, v9
	v_and_b32_e32 v12, 0xff, v12
	v_and_b32_e32 v16, 0xffffff00, v1
	v_min_u16 v20, v10, v9
	v_max_u16 v19, v11, v22
	v_min_u16 v11, v11, v22
	v_or_b32_e32 v12, v12, v13
	v_or_b32_e32 v13, v8, v15
	;; [unrolled: 1-line block ×3, first 2 shown]
	v_lshlrev_b16 v16, 8, v17
	v_max_u16 v9, v10, v9
	v_lshlrev_b32_e32 v12, 16, v12
	v_and_b32_e32 v13, 0xffff, v13
	v_and_b32_e32 v15, 0xffff, v15
	v_or_b32_e32 v10, v20, v16
	v_cmp_lt_u16_e64 s8, v20, v17
	v_and_or_b32 v12, 0xffff, v0, v12
	v_lshlrev_b16 v21, 8, v9
	v_and_or_b32 v15, 0xffff0000, v1, v15
	v_lshlrev_b32_e32 v10, 16, v10
	v_min_u16 v22, v20, v17
	v_cndmask_b32_e64 v0, v0, v12, s7
	v_lshlrev_b16 v12, 8, v11
	v_cndmask_b32_e64 v1, v1, v15, s7
	v_cmp_lt_u16_e64 s7, v14, v7
	v_max_u16 v15, v11, v18
	v_and_or_b32 v13, 0xffff0000, v0, v13
	v_lshlrev_b16 v23, 8, v22
	v_lshrrev_b32_e32 v16, 16, v1
	v_and_b32_e32 v14, 0xff, v1
	v_cndmask_b32_e64 v7, v8, v7, s7
	v_cndmask_b32_e64 v0, v0, v13, s7
	v_min_u16 v13, v11, v18
	v_and_b32_e32 v16, 0xffffff00, v16
	v_or_b32_e32 v12, v14, v12
	v_cmp_lt_u16_e64 s7, v11, v18
	v_and_or_b32 v10, 0xffff, v0, v10
	s_delay_alu instid0(VALU_DEP_4) | instskip(NEXT) | instid1(VALU_DEP_4)
	v_or_b32_e32 v14, v18, v16
	v_and_b32_e32 v12, 0xffff, v12
	v_or_b32_e32 v16, v13, v21
	s_delay_alu instid0(VALU_DEP_4) | instskip(SKIP_2) | instid1(VALU_DEP_4)
	v_cndmask_b32_e64 v0, v0, v10, s8
	v_lshlrev_b16 v10, 8, v15
	v_lshlrev_b32_e32 v14, 16, v14
	v_and_b32_e32 v16, 0xffff, v16
	s_delay_alu instid0(VALU_DEP_4) | instskip(NEXT) | instid1(VALU_DEP_4)
	v_lshrrev_b32_e32 v21, 16, v0
	v_or_b32_e32 v10, v19, v10
	s_delay_alu instid0(VALU_DEP_4) | instskip(SKIP_1) | instid1(VALU_DEP_4)
	v_or_b32_e32 v8, v12, v14
	v_and_b32_e32 v12, 0xff, v0
	v_and_b32_e32 v14, 0xffffff00, v21
	s_delay_alu instid0(VALU_DEP_4) | instskip(NEXT) | instid1(VALU_DEP_4)
	v_lshlrev_b32_e32 v10, 16, v10
	v_cndmask_b32_e64 v1, v1, v8, s7
	s_delay_alu instid0(VALU_DEP_4) | instskip(SKIP_2) | instid1(VALU_DEP_4)
	v_or_b32_e32 v8, v12, v23
	v_cmp_lt_u16_e64 s7, v13, v9
	v_or_b32_e32 v11, v7, v14
	v_and_or_b32 v12, 0xffff0000, v1, v16
	s_delay_alu instid0(VALU_DEP_4) | instskip(NEXT) | instid1(VALU_DEP_3)
	v_and_b32_e32 v8, 0xffff, v8
	v_lshlrev_b32_e32 v11, 16, v11
	s_delay_alu instid0(VALU_DEP_3) | instskip(SKIP_2) | instid1(VALU_DEP_4)
	v_cndmask_b32_e64 v1, v1, v12, s7
	v_cmp_lt_u16_e64 s7, v22, v7
	v_min_u16 v7, v13, v9
	v_or_b32_e32 v8, v8, v11
	v_max_u16 v9, v13, v9
	v_and_or_b32 v10, 0xffff, v1, v10
	s_delay_alu instid0(VALU_DEP_4) | instskip(NEXT) | instid1(VALU_DEP_4)
	v_lshlrev_b16 v11, 8, v7
	v_cndmask_b32_e64 v0, v0, v8, s7
	v_cmp_gt_u16_e64 s7, v18, v19
	s_delay_alu instid0(VALU_DEP_2) | instskip(NEXT) | instid1(VALU_DEP_2)
	v_lshrrev_b32_e32 v8, 16, v0
	v_cndmask_b32_e64 v1, v1, v10, s7
	v_max_u16 v10, v20, v17
	s_delay_alu instid0(VALU_DEP_3) | instskip(NEXT) | instid1(VALU_DEP_3)
	v_and_b32_e32 v8, 0xff, v8
	v_and_b32_e32 v12, 0xffffff00, v1
	s_delay_alu instid0(VALU_DEP_3) | instskip(SKIP_1) | instid1(VALU_DEP_4)
	v_cmp_lt_u16_e64 s8, v7, v10
	v_cndmask_b32_e64 v7, v15, v19, s7
	v_or_b32_e32 v8, v8, v11
	s_delay_alu instid0(VALU_DEP_4) | instskip(NEXT) | instid1(VALU_DEP_3)
	v_or_b32_e32 v12, v10, v12
	v_cmp_lt_u16_e64 s7, v7, v9
	s_delay_alu instid0(VALU_DEP_3) | instskip(NEXT) | instid1(VALU_DEP_3)
	v_lshlrev_b32_e32 v8, 16, v8
	v_and_b32_e32 v11, 0xffff, v12
	s_delay_alu instid0(VALU_DEP_2) | instskip(NEXT) | instid1(VALU_DEP_2)
	v_and_or_b32 v8, 0xffff, v0, v8
	v_and_or_b32 v11, 0xffff0000, v1, v11
	s_delay_alu instid0(VALU_DEP_2) | instskip(NEXT) | instid1(VALU_DEP_2)
	v_cndmask_b32_e64 v0, v0, v8, s8
	v_cndmask_b32_e64 v1, v1, v11, s8
	v_lshlrev_b16 v11, 8, v7
	s_delay_alu instid0(VALU_DEP_2) | instskip(SKIP_1) | instid1(VALU_DEP_2)
	v_lshrrev_b32_e32 v8, 16, v1
	v_and_b32_e32 v10, 0xff, v1
	v_and_b32_e32 v8, 0xffffff00, v8
	s_delay_alu instid0(VALU_DEP_2) | instskip(NEXT) | instid1(VALU_DEP_2)
	v_or_b32_e32 v10, v10, v11
	v_or_b32_e32 v8, v9, v8
	s_delay_alu instid0(VALU_DEP_2) | instskip(NEXT) | instid1(VALU_DEP_2)
	v_and_b32_e32 v10, 0xffff, v10
	v_lshlrev_b32_e32 v8, 16, v8
	s_delay_alu instid0(VALU_DEP_1) | instskip(NEXT) | instid1(VALU_DEP_1)
	v_or_b32_e32 v8, v10, v8
	v_cndmask_b32_e64 v1, v1, v8, s7
.LBB106_18:
	s_or_b32 exec_lo, exec_lo, s9
	v_and_b32_e32 v7, 16, v6
	v_and_b32_e32 v10, 8, v6
	s_mov_b32 s8, exec_lo
	; wave barrier
	s_delay_alu instid0(VALU_DEP_2) | instskip(NEXT) | instid1(VALU_DEP_1)
	v_min_i32_e32 v8, v4, v7
	v_add_nc_u32_e32 v7, 8, v8
	s_delay_alu instid0(VALU_DEP_1) | instskip(NEXT) | instid1(VALU_DEP_1)
	v_min_i32_e32 v7, v4, v7
	v_add_nc_u32_e32 v9, 8, v7
	v_sub_nc_u32_e32 v12, v7, v8
	s_delay_alu instid0(VALU_DEP_2) | instskip(SKIP_1) | instid1(VALU_DEP_2)
	v_min_i32_e32 v6, v4, v9
	v_min_i32_e32 v9, v4, v10
	v_sub_nc_u32_e32 v10, v6, v7
	s_delay_alu instid0(VALU_DEP_1) | instskip(SKIP_1) | instid1(VALU_DEP_1)
	v_sub_nc_u32_e32 v11, v9, v10
	v_cmp_ge_i32_e64 s7, v9, v10
	v_cndmask_b32_e64 v10, 0, v11, s7
	v_min_i32_e32 v11, v9, v12
	v_mad_u32_u24 v12, v5, 33, v2
	v_mul_u32_u24_e32 v5, 33, v5
	ds_store_b64 v12, v[0:1]
	; wave barrier
	v_cmpx_lt_i32_e64 v10, v11
	s_cbranch_execz .LBB106_22
; %bb.19:
	v_add_nc_u32_e32 v0, v5, v8
	v_add3_u32 v1, v5, v7, v9
	s_mov_b32 s9, 0
	.p2align	6
.LBB106_20:                             ; =>This Inner Loop Header: Depth=1
	v_sub_nc_u32_e32 v12, v11, v10
	s_delay_alu instid0(VALU_DEP_1) | instskip(NEXT) | instid1(VALU_DEP_1)
	v_lshrrev_b32_e32 v13, 31, v12
	v_add_nc_u32_e32 v12, v12, v13
	s_delay_alu instid0(VALU_DEP_1) | instskip(NEXT) | instid1(VALU_DEP_1)
	v_ashrrev_i32_e32 v12, 1, v12
	v_add_nc_u32_e32 v12, v12, v10
	s_delay_alu instid0(VALU_DEP_1)
	v_add_nc_u32_e32 v13, v0, v12
	v_xad_u32 v14, v12, -1, v1
	v_add_nc_u32_e32 v15, 1, v12
	ds_load_u8 v13, v13
	ds_load_u8 v14, v14
	s_waitcnt lgkmcnt(0)
	v_cmp_lt_u16_e64 s7, v14, v13
	s_delay_alu instid0(VALU_DEP_1) | instskip(SKIP_1) | instid1(VALU_DEP_1)
	v_cndmask_b32_e64 v11, v11, v12, s7
	v_cndmask_b32_e64 v10, v15, v10, s7
	v_cmp_ge_i32_e64 s7, v10, v11
	s_delay_alu instid0(VALU_DEP_1) | instskip(NEXT) | instid1(SALU_CYCLE_1)
	s_or_b32 s9, s7, s9
	s_and_not1_b32 exec_lo, exec_lo, s9
	s_cbranch_execnz .LBB106_20
; %bb.21:
	s_or_b32 exec_lo, exec_lo, s9
.LBB106_22:
	s_delay_alu instid0(SALU_CYCLE_1) | instskip(SKIP_2) | instid1(VALU_DEP_2)
	s_or_b32 exec_lo, exec_lo, s8
	v_add_nc_u32_e32 v0, v7, v9
	v_add_nc_u32_e32 v11, v10, v8
	v_sub_nc_u32_e32 v10, v0, v10
	s_delay_alu instid0(VALU_DEP_2) | instskip(SKIP_1) | instid1(VALU_DEP_3)
	v_add_nc_u32_e32 v13, v5, v11
	v_cmp_le_i32_e64 s7, v7, v11
	v_add_nc_u32_e32 v12, v5, v10
	v_cmp_gt_i32_e64 s9, v6, v10
	ds_load_u8 v0, v13
	ds_load_u8 v1, v12
	s_waitcnt lgkmcnt(1)
	v_and_b32_e32 v8, 0xff, v0
	s_waitcnt lgkmcnt(0)
	v_and_b32_e32 v9, 0xff, v1
	s_delay_alu instid0(VALU_DEP_1) | instskip(NEXT) | instid1(VALU_DEP_1)
	v_cmp_lt_u16_e64 s8, v9, v8
                                        ; implicit-def: $vgpr8
                                        ; implicit-def: $vgpr9
	s_or_b32 s7, s7, s8
	s_delay_alu instid0(SALU_CYCLE_1) | instskip(NEXT) | instid1(SALU_CYCLE_1)
	s_and_b32 s7, s9, s7
	s_xor_b32 s8, s7, -1
	s_delay_alu instid0(SALU_CYCLE_1) | instskip(NEXT) | instid1(SALU_CYCLE_1)
	s_and_saveexec_b32 s9, s8
	s_xor_b32 s8, exec_lo, s9
	s_cbranch_execz .LBB106_24
; %bb.23:
	ds_load_u8 v9, v13 offset:1
	v_mov_b32_e32 v8, v1
                                        ; implicit-def: $vgpr12
.LBB106_24:
	s_and_not1_saveexec_b32 s8, s8
	s_cbranch_execz .LBB106_26
; %bb.25:
	ds_load_u8 v8, v12 offset:1
	s_waitcnt lgkmcnt(1)
	v_mov_b32_e32 v9, v0
.LBB106_26:
	s_or_b32 exec_lo, exec_lo, s8
	v_add_nc_u32_e32 v12, 1, v11
	v_add_nc_u32_e32 v14, 1, v10
	s_waitcnt lgkmcnt(0)
	v_and_b32_e32 v15, 0xff, v9
	s_delay_alu instid0(VALU_DEP_3) | instskip(SKIP_2) | instid1(VALU_DEP_3)
	v_cndmask_b32_e64 v13, v12, v11, s7
	v_and_b32_e32 v11, 0xff, v8
	v_cndmask_b32_e64 v12, v10, v14, s7
                                        ; implicit-def: $vgpr10
	v_cmp_ge_i32_e64 s8, v13, v7
	s_delay_alu instid0(VALU_DEP_3) | instskip(NEXT) | instid1(VALU_DEP_3)
	v_cmp_lt_u16_e64 s9, v11, v15
	v_cmp_lt_i32_e64 s10, v12, v6
	s_delay_alu instid0(VALU_DEP_2)
	s_or_b32 s8, s8, s9
	s_delay_alu instid0(VALU_DEP_1) | instid1(SALU_CYCLE_1)
	s_and_b32 s8, s10, s8
	s_delay_alu instid0(SALU_CYCLE_1) | instskip(NEXT) | instid1(SALU_CYCLE_1)
	s_xor_b32 s9, s8, -1
	s_and_saveexec_b32 s10, s9
	s_delay_alu instid0(SALU_CYCLE_1)
	s_xor_b32 s9, exec_lo, s10
	s_cbranch_execz .LBB106_28
; %bb.27:
	v_add_nc_u32_e32 v10, v5, v13
	ds_load_u8 v10, v10 offset:1
.LBB106_28:
	s_or_saveexec_b32 s9, s9
	v_mov_b32_e32 v11, v8
	s_xor_b32 exec_lo, exec_lo, s9
	s_cbranch_execz .LBB106_30
; %bb.29:
	s_waitcnt lgkmcnt(0)
	v_add_nc_u32_e32 v10, v5, v12
	ds_load_u8 v11, v10 offset:1
	v_mov_b32_e32 v10, v9
.LBB106_30:
	s_or_b32 exec_lo, exec_lo, s9
	v_add_nc_u32_e32 v14, 1, v13
	v_add_nc_u32_e32 v16, 1, v12
	s_waitcnt lgkmcnt(0)
	v_and_b32_e32 v17, 0xff, v10
	s_delay_alu instid0(VALU_DEP_3) | instskip(SKIP_2) | instid1(VALU_DEP_3)
	v_cndmask_b32_e64 v15, v14, v13, s8
	v_and_b32_e32 v13, 0xff, v11
	v_cndmask_b32_e64 v14, v12, v16, s8
                                        ; implicit-def: $vgpr12
	v_cmp_ge_i32_e64 s9, v15, v7
	s_delay_alu instid0(VALU_DEP_3) | instskip(NEXT) | instid1(VALU_DEP_3)
	v_cmp_lt_u16_e64 s10, v13, v17
	v_cmp_lt_i32_e64 s11, v14, v6
	s_delay_alu instid0(VALU_DEP_2)
	s_or_b32 s9, s9, s10
	s_delay_alu instid0(VALU_DEP_1) | instid1(SALU_CYCLE_1)
	s_and_b32 s9, s11, s9
	s_delay_alu instid0(SALU_CYCLE_1) | instskip(NEXT) | instid1(SALU_CYCLE_1)
	s_xor_b32 s10, s9, -1
	s_and_saveexec_b32 s11, s10
	s_delay_alu instid0(SALU_CYCLE_1)
	s_xor_b32 s10, exec_lo, s11
	s_cbranch_execz .LBB106_32
; %bb.31:
	v_add_nc_u32_e32 v12, v5, v15
	ds_load_u8 v12, v12 offset:1
.LBB106_32:
	s_or_saveexec_b32 s10, s10
	v_mov_b32_e32 v13, v11
	s_xor_b32 exec_lo, exec_lo, s10
	s_cbranch_execz .LBB106_34
; %bb.33:
	s_waitcnt lgkmcnt(0)
	v_add_nc_u32_e32 v12, v5, v14
	ds_load_u8 v13, v12 offset:1
	v_mov_b32_e32 v12, v10
.LBB106_34:
	s_or_b32 exec_lo, exec_lo, s10
	v_add_nc_u32_e32 v16, 1, v15
	v_add_nc_u32_e32 v18, 1, v14
	s_waitcnt lgkmcnt(0)
	v_and_b32_e32 v19, 0xff, v12
	s_delay_alu instid0(VALU_DEP_3) | instskip(SKIP_2) | instid1(VALU_DEP_3)
	v_cndmask_b32_e64 v17, v16, v15, s9
	v_and_b32_e32 v15, 0xff, v13
	v_cndmask_b32_e64 v16, v14, v18, s9
                                        ; implicit-def: $vgpr14
	v_cmp_ge_i32_e64 s10, v17, v7
	s_delay_alu instid0(VALU_DEP_3) | instskip(NEXT) | instid1(VALU_DEP_3)
	v_cmp_lt_u16_e64 s11, v15, v19
	v_cmp_lt_i32_e64 s12, v16, v6
	s_delay_alu instid0(VALU_DEP_2)
	s_or_b32 s10, s10, s11
	s_delay_alu instid0(VALU_DEP_1) | instid1(SALU_CYCLE_1)
	s_and_b32 s10, s12, s10
	s_delay_alu instid0(SALU_CYCLE_1) | instskip(NEXT) | instid1(SALU_CYCLE_1)
	s_xor_b32 s11, s10, -1
	s_and_saveexec_b32 s12, s11
	s_delay_alu instid0(SALU_CYCLE_1)
	s_xor_b32 s11, exec_lo, s12
	s_cbranch_execz .LBB106_36
; %bb.35:
	v_add_nc_u32_e32 v14, v5, v17
	ds_load_u8 v14, v14 offset:1
.LBB106_36:
	s_or_saveexec_b32 s11, s11
	v_mov_b32_e32 v15, v13
	s_xor_b32 exec_lo, exec_lo, s11
	s_cbranch_execz .LBB106_38
; %bb.37:
	s_waitcnt lgkmcnt(0)
	v_add_nc_u32_e32 v14, v5, v16
	ds_load_u8 v15, v14 offset:1
	v_mov_b32_e32 v14, v12
.LBB106_38:
	s_or_b32 exec_lo, exec_lo, s11
	v_add_nc_u32_e32 v18, 1, v17
	v_add_nc_u32_e32 v20, 1, v16
	s_waitcnt lgkmcnt(0)
	v_and_b32_e32 v21, 0xff, v14
	s_delay_alu instid0(VALU_DEP_3) | instskip(SKIP_2) | instid1(VALU_DEP_3)
	v_cndmask_b32_e64 v19, v18, v17, s10
	v_and_b32_e32 v17, 0xff, v15
	v_cndmask_b32_e64 v18, v16, v20, s10
                                        ; implicit-def: $vgpr16
	v_cmp_ge_i32_e64 s11, v19, v7
	s_delay_alu instid0(VALU_DEP_3) | instskip(NEXT) | instid1(VALU_DEP_3)
	v_cmp_lt_u16_e64 s12, v17, v21
	v_cmp_lt_i32_e64 s13, v18, v6
	s_delay_alu instid0(VALU_DEP_2)
	s_or_b32 s11, s11, s12
	s_delay_alu instid0(VALU_DEP_1) | instid1(SALU_CYCLE_1)
	s_and_b32 s11, s13, s11
	s_delay_alu instid0(SALU_CYCLE_1) | instskip(NEXT) | instid1(SALU_CYCLE_1)
	s_xor_b32 s12, s11, -1
	s_and_saveexec_b32 s13, s12
	s_delay_alu instid0(SALU_CYCLE_1)
	s_xor_b32 s12, exec_lo, s13
	s_cbranch_execz .LBB106_40
; %bb.39:
	v_add_nc_u32_e32 v16, v5, v19
	ds_load_u8 v16, v16 offset:1
.LBB106_40:
	s_or_saveexec_b32 s12, s12
	v_mov_b32_e32 v17, v15
	s_xor_b32 exec_lo, exec_lo, s12
	s_cbranch_execz .LBB106_42
; %bb.41:
	s_waitcnt lgkmcnt(0)
	v_add_nc_u32_e32 v16, v5, v18
	ds_load_u8 v17, v16 offset:1
	v_mov_b32_e32 v16, v14
.LBB106_42:
	s_or_b32 exec_lo, exec_lo, s12
	v_add_nc_u32_e32 v20, 1, v19
	v_add_nc_u32_e32 v21, 1, v18
	s_waitcnt lgkmcnt(0)
	v_and_b32_e32 v22, 0xff, v16
	s_delay_alu instid0(VALU_DEP_3) | instskip(SKIP_2) | instid1(VALU_DEP_3)
	v_cndmask_b32_e64 v20, v20, v19, s11
	v_and_b32_e32 v19, 0xff, v17
	v_cndmask_b32_e64 v18, v18, v21, s11
	v_cmp_ge_i32_e64 s12, v20, v7
	s_delay_alu instid0(VALU_DEP_3) | instskip(NEXT) | instid1(VALU_DEP_3)
	v_cmp_lt_u16_e64 s13, v19, v22
	v_cmp_lt_i32_e64 s14, v18, v6
                                        ; implicit-def: $vgpr19
	s_delay_alu instid0(VALU_DEP_2)
	s_or_b32 s12, s12, s13
	s_delay_alu instid0(VALU_DEP_1) | instid1(SALU_CYCLE_1)
	s_and_b32 s12, s14, s12
	s_delay_alu instid0(SALU_CYCLE_1) | instskip(NEXT) | instid1(SALU_CYCLE_1)
	s_xor_b32 s13, s12, -1
	s_and_saveexec_b32 s14, s13
	s_delay_alu instid0(SALU_CYCLE_1)
	s_xor_b32 s13, exec_lo, s14
	s_cbranch_execz .LBB106_44
; %bb.43:
	v_add_nc_u32_e32 v19, v5, v20
	ds_load_u8 v19, v19 offset:1
.LBB106_44:
	s_or_saveexec_b32 s13, s13
	v_mov_b32_e32 v21, v17
	s_xor_b32 exec_lo, exec_lo, s13
	s_cbranch_execz .LBB106_46
; %bb.45:
	s_waitcnt lgkmcnt(0)
	v_add_nc_u32_e32 v19, v5, v18
	ds_load_u8 v21, v19 offset:1
	v_mov_b32_e32 v19, v16
.LBB106_46:
	s_or_b32 exec_lo, exec_lo, s13
	v_add_nc_u32_e32 v22, 1, v20
	v_add_nc_u32_e32 v24, 1, v18
	s_waitcnt lgkmcnt(0)
	v_and_b32_e32 v25, 0xff, v19
	s_delay_alu instid0(VALU_DEP_3) | instskip(SKIP_2) | instid1(VALU_DEP_3)
	v_cndmask_b32_e64 v23, v22, v20, s12
	v_and_b32_e32 v20, 0xff, v21
	v_cndmask_b32_e64 v22, v18, v24, s12
                                        ; implicit-def: $vgpr18
	v_cmp_ge_i32_e64 s13, v23, v7
	s_delay_alu instid0(VALU_DEP_3) | instskip(NEXT) | instid1(VALU_DEP_3)
	v_cmp_lt_u16_e64 s14, v20, v25
	v_cmp_lt_i32_e64 s15, v22, v6
	s_delay_alu instid0(VALU_DEP_2)
	s_or_b32 s13, s13, s14
	s_delay_alu instid0(VALU_DEP_1) | instid1(SALU_CYCLE_1)
	s_and_b32 s13, s15, s13
	s_delay_alu instid0(SALU_CYCLE_1) | instskip(NEXT) | instid1(SALU_CYCLE_1)
	s_xor_b32 s14, s13, -1
	s_and_saveexec_b32 s15, s14
	s_delay_alu instid0(SALU_CYCLE_1)
	s_xor_b32 s14, exec_lo, s15
	s_cbranch_execz .LBB106_48
; %bb.47:
	v_add_nc_u32_e32 v18, v5, v23
	ds_load_u8 v18, v18 offset:1
.LBB106_48:
	s_or_saveexec_b32 s14, s14
	v_mov_b32_e32 v20, v21
	s_xor_b32 exec_lo, exec_lo, s14
	s_cbranch_execz .LBB106_50
; %bb.49:
	s_waitcnt lgkmcnt(0)
	v_add_nc_u32_e32 v18, v5, v22
	ds_load_u8 v20, v18 offset:1
	v_mov_b32_e32 v18, v19
.LBB106_50:
	s_or_b32 exec_lo, exec_lo, s14
	v_add_nc_u32_e32 v24, 1, v23
	v_cndmask_b32_e64 v19, v19, v21, s13
	v_add_nc_u32_e32 v21, 1, v22
	v_cndmask_b32_e64 v14, v14, v15, s11
	v_cndmask_b32_e64 v13, v12, v13, s10
	;; [unrolled: 1-line block ×3, first 2 shown]
	v_min_i32_e32 v12, 0, v4
	v_cndmask_b32_e64 v15, v22, v21, s13
	v_cndmask_b32_e64 v16, v16, v17, s12
	s_waitcnt lgkmcnt(0)
	v_and_b32_e32 v17, 0xff, v18
	v_and_b32_e32 v24, 0xff, v20
	v_cmp_ge_i32_e64 s10, v23, v7
	v_cndmask_b32_e64 v7, v10, v11, s9
	v_cmp_lt_i32_e64 s9, v15, v6
	v_cndmask_b32_e64 v6, v9, v8, s8
	v_add_nc_u32_e32 v8, 16, v12
	v_cmp_lt_u16_e64 s11, v24, v17
	v_cndmask_b32_e64 v0, v0, v1, s7
	v_and_b32_e32 v7, 0xff, v7
	v_lshlrev_b16 v9, 8, v6
	v_min_i32_e32 v6, v4, v8
	s_or_b32 s8, s10, s11
	v_and_b32_e32 v0, 0xff, v0
	s_and_b32 s7, s9, s8
	v_lshlrev_b16 v8, 8, v13
	v_cndmask_b32_e64 v1, v18, v20, s7
	v_add_nc_u32_e32 v11, 16, v6
	v_or_b32_e32 v9, v0, v9
	v_lshlrev_b16 v0, 8, v16
	v_and_b32_e32 v13, 0xff, v14
	v_or_b32_e32 v8, v7, v8
	v_min_i32_e32 v7, v4, v11
	v_and_b32_e32 v11, 0xff, v19
	v_lshlrev_b16 v1, 8, v1
	v_or_b32_e32 v13, v13, v0
	v_min_i32_e32 v0, v4, v2
	v_sub_nc_u32_e32 v4, v7, v6
	v_and_b32_e32 v9, 0xffff, v9
	v_or_b32_e32 v1, v11, v1
	v_lshlrev_b32_e32 v8, 16, v8
	v_and_b32_e32 v11, 0xffff, v13
	v_sub_nc_u32_e32 v13, v0, v4
	v_sub_nc_u32_e32 v14, v6, v12
	v_lshlrev_b32_e32 v15, 16, v1
	v_cmp_ge_i32_e64 s7, v0, v4
	v_add_nc_u32_e32 v10, v5, v2
	v_or_b32_e32 v8, v9, v8
	v_min_i32_e32 v4, v0, v14
	v_or_b32_e32 v9, v11, v15
	v_cndmask_b32_e64 v1, 0, v13, s7
	s_mov_b32 s9, 0
	s_mov_b32 s8, exec_lo
	; wave barrier
	ds_store_b64 v10, v[8:9]
	; wave barrier
	v_cmpx_lt_i32_e64 v1, v4
	s_cbranch_execz .LBB106_54
; %bb.51:
	v_add_nc_u32_e32 v8, v5, v12
	v_add3_u32 v9, v5, v6, v0
	.p2align	6
.LBB106_52:                             ; =>This Inner Loop Header: Depth=1
	v_sub_nc_u32_e32 v10, v4, v1
	s_delay_alu instid0(VALU_DEP_1) | instskip(NEXT) | instid1(VALU_DEP_1)
	v_lshrrev_b32_e32 v11, 31, v10
	v_add_nc_u32_e32 v10, v10, v11
	s_delay_alu instid0(VALU_DEP_1) | instskip(NEXT) | instid1(VALU_DEP_1)
	v_ashrrev_i32_e32 v10, 1, v10
	v_add_nc_u32_e32 v10, v10, v1
	s_delay_alu instid0(VALU_DEP_1)
	v_add_nc_u32_e32 v11, v8, v10
	v_xad_u32 v13, v10, -1, v9
	v_add_nc_u32_e32 v14, 1, v10
	ds_load_u8 v11, v11
	ds_load_u8 v13, v13
	s_waitcnt lgkmcnt(0)
	v_cmp_lt_u16_e64 s7, v13, v11
	s_delay_alu instid0(VALU_DEP_1) | instskip(SKIP_1) | instid1(VALU_DEP_1)
	v_cndmask_b32_e64 v4, v4, v10, s7
	v_cndmask_b32_e64 v1, v14, v1, s7
	v_cmp_ge_i32_e64 s7, v1, v4
	s_delay_alu instid0(VALU_DEP_1) | instskip(NEXT) | instid1(SALU_CYCLE_1)
	s_or_b32 s9, s7, s9
	s_and_not1_b32 exec_lo, exec_lo, s9
	s_cbranch_execnz .LBB106_52
; %bb.53:
	s_or_b32 exec_lo, exec_lo, s9
.LBB106_54:
	s_delay_alu instid0(SALU_CYCLE_1) | instskip(SKIP_2) | instid1(VALU_DEP_2)
	s_or_b32 exec_lo, exec_lo, s8
	v_add_nc_u32_e32 v0, v6, v0
	v_add_nc_u32_e32 v11, v1, v12
	v_sub_nc_u32_e32 v0, v0, v1
	s_delay_alu instid0(VALU_DEP_2) | instskip(SKIP_1) | instid1(VALU_DEP_3)
	v_add_nc_u32_e32 v12, v5, v11
	v_cmp_le_i32_e64 s7, v6, v11
	v_add_nc_u32_e32 v1, v5, v0
	v_cmp_gt_i32_e64 s9, v7, v0
	ds_load_u8 v4, v12
	ds_load_u8 v8, v1
	s_waitcnt lgkmcnt(1)
	v_and_b32_e32 v9, 0xff, v4
	s_waitcnt lgkmcnt(0)
	v_and_b32_e32 v10, 0xff, v8
	s_delay_alu instid0(VALU_DEP_1) | instskip(NEXT) | instid1(VALU_DEP_1)
	v_cmp_lt_u16_e64 s8, v10, v9
                                        ; implicit-def: $vgpr9
                                        ; implicit-def: $vgpr10
	s_or_b32 s7, s7, s8
	s_delay_alu instid0(SALU_CYCLE_1) | instskip(NEXT) | instid1(SALU_CYCLE_1)
	s_and_b32 s7, s9, s7
	s_xor_b32 s8, s7, -1
	s_delay_alu instid0(SALU_CYCLE_1) | instskip(NEXT) | instid1(SALU_CYCLE_1)
	s_and_saveexec_b32 s9, s8
	s_xor_b32 s8, exec_lo, s9
	s_cbranch_execz .LBB106_56
; %bb.55:
	ds_load_u8 v10, v12 offset:1
	v_mov_b32_e32 v9, v8
                                        ; implicit-def: $vgpr1
.LBB106_56:
	s_and_not1_saveexec_b32 s8, s8
	s_cbranch_execz .LBB106_58
; %bb.57:
	ds_load_u8 v9, v1 offset:1
	s_waitcnt lgkmcnt(1)
	v_mov_b32_e32 v10, v4
.LBB106_58:
	s_or_b32 exec_lo, exec_lo, s8
	v_add_nc_u32_e32 v1, 1, v11
	v_add_nc_u32_e32 v12, 1, v0
	s_waitcnt lgkmcnt(0)
	v_and_b32_e32 v13, 0xff, v10
	s_delay_alu instid0(VALU_DEP_3) | instskip(SKIP_2) | instid1(VALU_DEP_3)
	v_cndmask_b32_e64 v1, v1, v11, s7
	v_and_b32_e32 v11, 0xff, v9
	v_cndmask_b32_e64 v0, v0, v12, s7
	v_cmp_ge_i32_e64 s8, v1, v6
	s_delay_alu instid0(VALU_DEP_3) | instskip(NEXT) | instid1(VALU_DEP_3)
	v_cmp_lt_u16_e64 s9, v11, v13
	v_cmp_lt_i32_e64 s10, v0, v7
                                        ; implicit-def: $vgpr11
	s_delay_alu instid0(VALU_DEP_2)
	s_or_b32 s8, s8, s9
	s_delay_alu instid0(VALU_DEP_1) | instid1(SALU_CYCLE_1)
	s_and_b32 s8, s10, s8
	s_delay_alu instid0(SALU_CYCLE_1) | instskip(NEXT) | instid1(SALU_CYCLE_1)
	s_xor_b32 s9, s8, -1
	s_and_saveexec_b32 s10, s9
	s_delay_alu instid0(SALU_CYCLE_1)
	s_xor_b32 s9, exec_lo, s10
	s_cbranch_execz .LBB106_60
; %bb.59:
	v_add_nc_u32_e32 v11, v5, v1
	ds_load_u8 v11, v11 offset:1
.LBB106_60:
	s_or_saveexec_b32 s9, s9
	v_mov_b32_e32 v12, v9
	s_xor_b32 exec_lo, exec_lo, s9
	s_cbranch_execz .LBB106_62
; %bb.61:
	s_waitcnt lgkmcnt(0)
	v_add_nc_u32_e32 v11, v5, v0
	ds_load_u8 v12, v11 offset:1
	v_mov_b32_e32 v11, v10
.LBB106_62:
	s_or_b32 exec_lo, exec_lo, s9
	v_add_nc_u32_e32 v13, 1, v1
	v_add_nc_u32_e32 v14, 1, v0
	s_waitcnt lgkmcnt(0)
	v_and_b32_e32 v15, 0xff, v11
	s_delay_alu instid0(VALU_DEP_3) | instskip(SKIP_2) | instid1(VALU_DEP_3)
	v_cndmask_b32_e64 v1, v13, v1, s8
	v_and_b32_e32 v13, 0xff, v12
	v_cndmask_b32_e64 v0, v0, v14, s8
	v_cmp_ge_i32_e64 s9, v1, v6
	s_delay_alu instid0(VALU_DEP_3) | instskip(NEXT) | instid1(VALU_DEP_3)
	v_cmp_lt_u16_e64 s10, v13, v15
	v_cmp_lt_i32_e64 s11, v0, v7
                                        ; implicit-def: $vgpr13
	s_delay_alu instid0(VALU_DEP_2)
	s_or_b32 s9, s9, s10
	s_delay_alu instid0(VALU_DEP_1) | instid1(SALU_CYCLE_1)
	s_and_b32 s9, s11, s9
	s_delay_alu instid0(SALU_CYCLE_1) | instskip(NEXT) | instid1(SALU_CYCLE_1)
	s_xor_b32 s10, s9, -1
	s_and_saveexec_b32 s11, s10
	s_delay_alu instid0(SALU_CYCLE_1)
	s_xor_b32 s10, exec_lo, s11
	s_cbranch_execz .LBB106_64
; %bb.63:
	v_add_nc_u32_e32 v13, v5, v1
	ds_load_u8 v13, v13 offset:1
.LBB106_64:
	s_or_saveexec_b32 s10, s10
	v_mov_b32_e32 v14, v12
	s_xor_b32 exec_lo, exec_lo, s10
	s_cbranch_execz .LBB106_66
; %bb.65:
	s_waitcnt lgkmcnt(0)
	v_add_nc_u32_e32 v13, v5, v0
	ds_load_u8 v14, v13 offset:1
	v_mov_b32_e32 v13, v11
.LBB106_66:
	s_or_b32 exec_lo, exec_lo, s10
	v_add_nc_u32_e32 v15, 1, v1
	v_add_nc_u32_e32 v16, 1, v0
	s_waitcnt lgkmcnt(0)
	v_and_b32_e32 v17, 0xff, v13
	s_delay_alu instid0(VALU_DEP_3) | instskip(SKIP_2) | instid1(VALU_DEP_3)
	v_cndmask_b32_e64 v1, v15, v1, s9
	v_and_b32_e32 v15, 0xff, v14
	v_cndmask_b32_e64 v0, v0, v16, s9
	v_cmp_ge_i32_e64 s10, v1, v6
	s_delay_alu instid0(VALU_DEP_3) | instskip(NEXT) | instid1(VALU_DEP_3)
	v_cmp_lt_u16_e64 s11, v15, v17
	v_cmp_lt_i32_e64 s12, v0, v7
                                        ; implicit-def: $vgpr15
	s_delay_alu instid0(VALU_DEP_2)
	s_or_b32 s10, s10, s11
	s_delay_alu instid0(VALU_DEP_1) | instid1(SALU_CYCLE_1)
	s_and_b32 s10, s12, s10
	s_delay_alu instid0(SALU_CYCLE_1) | instskip(NEXT) | instid1(SALU_CYCLE_1)
	s_xor_b32 s11, s10, -1
	s_and_saveexec_b32 s12, s11
	s_delay_alu instid0(SALU_CYCLE_1)
	s_xor_b32 s11, exec_lo, s12
	s_cbranch_execz .LBB106_68
; %bb.67:
	v_add_nc_u32_e32 v15, v5, v1
	ds_load_u8 v15, v15 offset:1
.LBB106_68:
	s_or_saveexec_b32 s11, s11
	v_mov_b32_e32 v16, v14
	s_xor_b32 exec_lo, exec_lo, s11
	s_cbranch_execz .LBB106_70
; %bb.69:
	s_waitcnt lgkmcnt(0)
	v_add_nc_u32_e32 v15, v5, v0
	ds_load_u8 v16, v15 offset:1
	v_mov_b32_e32 v15, v13
.LBB106_70:
	s_or_b32 exec_lo, exec_lo, s11
	v_add_nc_u32_e32 v17, 1, v1
	v_add_nc_u32_e32 v18, 1, v0
	s_waitcnt lgkmcnt(0)
	v_and_b32_e32 v19, 0xff, v15
	s_delay_alu instid0(VALU_DEP_3) | instskip(SKIP_2) | instid1(VALU_DEP_3)
	v_cndmask_b32_e64 v1, v17, v1, s10
	v_and_b32_e32 v17, 0xff, v16
	v_cndmask_b32_e64 v0, v0, v18, s10
	v_cmp_ge_i32_e64 s11, v1, v6
	s_delay_alu instid0(VALU_DEP_3) | instskip(NEXT) | instid1(VALU_DEP_3)
	v_cmp_lt_u16_e64 s12, v17, v19
	v_cmp_lt_i32_e64 s13, v0, v7
                                        ; implicit-def: $vgpr17
	s_delay_alu instid0(VALU_DEP_2)
	s_or_b32 s11, s11, s12
	s_delay_alu instid0(VALU_DEP_1) | instid1(SALU_CYCLE_1)
	s_and_b32 s11, s13, s11
	s_delay_alu instid0(SALU_CYCLE_1) | instskip(NEXT) | instid1(SALU_CYCLE_1)
	s_xor_b32 s12, s11, -1
	s_and_saveexec_b32 s13, s12
	s_delay_alu instid0(SALU_CYCLE_1)
	s_xor_b32 s12, exec_lo, s13
	s_cbranch_execz .LBB106_72
; %bb.71:
	v_add_nc_u32_e32 v17, v5, v1
	ds_load_u8 v17, v17 offset:1
.LBB106_72:
	s_or_saveexec_b32 s12, s12
	v_mov_b32_e32 v18, v16
	s_xor_b32 exec_lo, exec_lo, s12
	s_cbranch_execz .LBB106_74
; %bb.73:
	s_waitcnt lgkmcnt(0)
	v_add_nc_u32_e32 v17, v5, v0
	ds_load_u8 v18, v17 offset:1
	v_mov_b32_e32 v17, v15
.LBB106_74:
	s_or_b32 exec_lo, exec_lo, s12
	v_add_nc_u32_e32 v19, 1, v1
	v_add_nc_u32_e32 v20, 1, v0
	s_waitcnt lgkmcnt(0)
	v_and_b32_e32 v21, 0xff, v17
	s_delay_alu instid0(VALU_DEP_3) | instskip(SKIP_2) | instid1(VALU_DEP_3)
	v_cndmask_b32_e64 v1, v19, v1, s11
	v_and_b32_e32 v19, 0xff, v18
	v_cndmask_b32_e64 v0, v0, v20, s11
	v_cmp_ge_i32_e64 s12, v1, v6
	s_delay_alu instid0(VALU_DEP_3) | instskip(NEXT) | instid1(VALU_DEP_3)
	v_cmp_lt_u16_e64 s13, v19, v21
	v_cmp_lt_i32_e64 s14, v0, v7
                                        ; implicit-def: $vgpr19
	s_delay_alu instid0(VALU_DEP_2)
	s_or_b32 s12, s12, s13
	s_delay_alu instid0(VALU_DEP_1) | instid1(SALU_CYCLE_1)
	s_and_b32 s12, s14, s12
	s_delay_alu instid0(SALU_CYCLE_1) | instskip(NEXT) | instid1(SALU_CYCLE_1)
	s_xor_b32 s13, s12, -1
	s_and_saveexec_b32 s14, s13
	s_delay_alu instid0(SALU_CYCLE_1)
	s_xor_b32 s13, exec_lo, s14
	s_cbranch_execz .LBB106_76
; %bb.75:
	v_add_nc_u32_e32 v19, v5, v1
	ds_load_u8 v19, v19 offset:1
.LBB106_76:
	s_or_saveexec_b32 s13, s13
	v_mov_b32_e32 v20, v18
	s_xor_b32 exec_lo, exec_lo, s13
	s_cbranch_execz .LBB106_78
; %bb.77:
	s_waitcnt lgkmcnt(0)
	v_add_nc_u32_e32 v19, v5, v0
	ds_load_u8 v20, v19 offset:1
	v_mov_b32_e32 v19, v17
.LBB106_78:
	s_or_b32 exec_lo, exec_lo, s13
	v_add_nc_u32_e32 v21, 1, v1
	v_add_nc_u32_e32 v22, 1, v0
	s_waitcnt lgkmcnt(0)
	v_and_b32_e32 v23, 0xff, v19
	v_and_b32_e32 v24, 0xff, v20
	v_cndmask_b32_e64 v1, v21, v1, s12
	v_cndmask_b32_e64 v21, v0, v22, s12
                                        ; implicit-def: $vgpr22
	s_delay_alu instid0(VALU_DEP_3) | instskip(NEXT) | instid1(VALU_DEP_3)
	v_cmp_lt_u16_e64 s14, v24, v23
                                        ; implicit-def: $vgpr23
	v_cmp_ge_i32_e64 s13, v1, v6
	s_delay_alu instid0(VALU_DEP_3) | instskip(NEXT) | instid1(VALU_DEP_2)
	v_cmp_lt_i32_e64 s15, v21, v7
	s_or_b32 s13, s13, s14
	s_delay_alu instid0(VALU_DEP_1) | instid1(SALU_CYCLE_1)
	s_and_b32 s13, s15, s13
	s_delay_alu instid0(SALU_CYCLE_1) | instskip(NEXT) | instid1(SALU_CYCLE_1)
	s_xor_b32 s14, s13, -1
	s_and_saveexec_b32 s15, s14
	s_delay_alu instid0(SALU_CYCLE_1)
	s_xor_b32 s14, exec_lo, s15
	s_cbranch_execz .LBB106_80
; %bb.79:
	v_add_nc_u32_e32 v0, v5, v1
	v_add_nc_u32_e32 v23, 1, v1
                                        ; implicit-def: $vgpr1
                                        ; implicit-def: $vgpr5
	ds_load_u8 v22, v0 offset:1
.LBB106_80:
	s_or_saveexec_b32 s14, s14
	v_mov_b32_e32 v24, v20
	s_xor_b32 exec_lo, exec_lo, s14
	s_cbranch_execz .LBB106_82
; %bb.81:
	v_add_nc_u32_e32 v0, v5, v21
	s_waitcnt lgkmcnt(0)
	v_dual_mov_b32 v22, v19 :: v_dual_add_nc_u32 v21, 1, v21
	v_mov_b32_e32 v23, v1
	ds_load_u8 v24, v0 offset:1
.LBB106_82:
	s_or_b32 exec_lo, exec_lo, s14
	v_add_co_u32 v0, s14, s18, v3
	s_delay_alu instid0(VALU_DEP_1) | instskip(NEXT) | instid1(VALU_DEP_2)
	v_add_co_ci_u32_e64 v1, null, s19, 0, s14
	v_add_co_u32 v0, s14, v0, v2
	s_delay_alu instid0(VALU_DEP_1)
	v_add_co_ci_u32_e64 v1, s14, 0, v1, s14
	s_and_saveexec_b32 s14, vcc_lo
	s_cbranch_execnz .LBB106_91
; %bb.83:
	s_or_b32 exec_lo, exec_lo, s14
	s_and_saveexec_b32 s7, s0
	s_cbranch_execnz .LBB106_92
.LBB106_84:
	s_or_b32 exec_lo, exec_lo, s7
	s_and_saveexec_b32 s0, s1
	s_cbranch_execnz .LBB106_93
.LBB106_85:
	s_or_b32 exec_lo, exec_lo, s0
	s_and_saveexec_b32 s0, s2
	s_cbranch_execnz .LBB106_94
.LBB106_86:
	s_or_b32 exec_lo, exec_lo, s0
	s_and_saveexec_b32 s0, s3
	s_cbranch_execnz .LBB106_95
.LBB106_87:
	s_or_b32 exec_lo, exec_lo, s0
	s_and_saveexec_b32 s0, s4
	s_cbranch_execnz .LBB106_96
.LBB106_88:
	s_or_b32 exec_lo, exec_lo, s0
	s_and_saveexec_b32 s0, s5
	s_cbranch_execnz .LBB106_97
.LBB106_89:
	s_or_b32 exec_lo, exec_lo, s0
	s_and_saveexec_b32 s0, s6
	s_cbranch_execnz .LBB106_98
.LBB106_90:
	s_nop 0
	s_sendmsg sendmsg(MSG_DEALLOC_VGPRS)
	s_endpgm
.LBB106_91:
	v_cndmask_b32_e64 v2, v4, v8, s7
	global_store_b8 v[0:1], v2, off
	s_or_b32 exec_lo, exec_lo, s14
	s_and_saveexec_b32 s7, s0
	s_cbranch_execz .LBB106_84
.LBB106_92:
	v_cndmask_b32_e64 v2, v10, v9, s8
	global_store_b8 v[0:1], v2, off offset:1
	s_or_b32 exec_lo, exec_lo, s7
	s_and_saveexec_b32 s0, s1
	s_cbranch_execz .LBB106_85
.LBB106_93:
	v_cndmask_b32_e64 v2, v11, v12, s9
	global_store_b8 v[0:1], v2, off offset:2
	s_or_b32 exec_lo, exec_lo, s0
	s_and_saveexec_b32 s0, s2
	s_cbranch_execz .LBB106_86
.LBB106_94:
	v_cndmask_b32_e64 v2, v13, v14, s10
	global_store_b8 v[0:1], v2, off offset:3
	s_or_b32 exec_lo, exec_lo, s0
	s_and_saveexec_b32 s0, s3
	s_cbranch_execz .LBB106_87
.LBB106_95:
	v_cndmask_b32_e64 v2, v15, v16, s11
	global_store_b8 v[0:1], v2, off offset:4
	s_or_b32 exec_lo, exec_lo, s0
	s_and_saveexec_b32 s0, s4
	s_cbranch_execz .LBB106_88
.LBB106_96:
	v_cndmask_b32_e64 v2, v17, v18, s12
	global_store_b8 v[0:1], v2, off offset:5
	s_or_b32 exec_lo, exec_lo, s0
	s_and_saveexec_b32 s0, s5
	s_cbranch_execz .LBB106_89
.LBB106_97:
	v_cndmask_b32_e64 v2, v19, v20, s13
	global_store_b8 v[0:1], v2, off offset:6
	s_or_b32 exec_lo, exec_lo, s0
	s_and_saveexec_b32 s0, s6
	s_cbranch_execz .LBB106_90
.LBB106_98:
	s_waitcnt lgkmcnt(0)
	v_and_b32_e32 v2, 0xff, v22
	v_and_b32_e32 v3, 0xff, v24
	v_cmp_ge_i32_e32 vcc_lo, v23, v6
	v_cmp_lt_i32_e64 s1, v21, v7
	s_delay_alu instid0(VALU_DEP_3) | instskip(NEXT) | instid1(VALU_DEP_1)
	v_cmp_lt_u16_e64 s0, v3, v2
	s_or_b32 s0, vcc_lo, s0
	s_delay_alu instid0(VALU_DEP_2) | instid1(SALU_CYCLE_1)
	s_and_b32 vcc_lo, s1, s0
	v_cndmask_b32_e32 v2, v22, v24, vcc_lo
	global_store_b8 v[0:1], v2, off offset:7
	s_nop 0
	s_sendmsg sendmsg(MSG_DEALLOC_VGPRS)
	s_endpgm
	.section	.rodata,"a",@progbits
	.p2align	6, 0x0
	.amdhsa_kernel _Z19sort_keys_segmentedILj256ELj4ELj8EhN10test_utils4lessEEvPKT2_PS2_PKjT3_
		.amdhsa_group_segment_fixed_size 2112
		.amdhsa_private_segment_fixed_size 0
		.amdhsa_kernarg_size 28
		.amdhsa_user_sgpr_count 15
		.amdhsa_user_sgpr_dispatch_ptr 0
		.amdhsa_user_sgpr_queue_ptr 0
		.amdhsa_user_sgpr_kernarg_segment_ptr 1
		.amdhsa_user_sgpr_dispatch_id 0
		.amdhsa_user_sgpr_private_segment_size 0
		.amdhsa_wavefront_size32 1
		.amdhsa_uses_dynamic_stack 0
		.amdhsa_enable_private_segment 0
		.amdhsa_system_sgpr_workgroup_id_x 1
		.amdhsa_system_sgpr_workgroup_id_y 0
		.amdhsa_system_sgpr_workgroup_id_z 0
		.amdhsa_system_sgpr_workgroup_info 0
		.amdhsa_system_vgpr_workitem_id 0
		.amdhsa_next_free_vgpr 26
		.amdhsa_next_free_sgpr 20
		.amdhsa_reserve_vcc 1
		.amdhsa_float_round_mode_32 0
		.amdhsa_float_round_mode_16_64 0
		.amdhsa_float_denorm_mode_32 3
		.amdhsa_float_denorm_mode_16_64 3
		.amdhsa_dx10_clamp 1
		.amdhsa_ieee_mode 1
		.amdhsa_fp16_overflow 0
		.amdhsa_workgroup_processor_mode 1
		.amdhsa_memory_ordered 1
		.amdhsa_forward_progress 0
		.amdhsa_shared_vgpr_count 0
		.amdhsa_exception_fp_ieee_invalid_op 0
		.amdhsa_exception_fp_denorm_src 0
		.amdhsa_exception_fp_ieee_div_zero 0
		.amdhsa_exception_fp_ieee_overflow 0
		.amdhsa_exception_fp_ieee_underflow 0
		.amdhsa_exception_fp_ieee_inexact 0
		.amdhsa_exception_int_div_zero 0
	.end_amdhsa_kernel
	.section	.text._Z19sort_keys_segmentedILj256ELj4ELj8EhN10test_utils4lessEEvPKT2_PS2_PKjT3_,"axG",@progbits,_Z19sort_keys_segmentedILj256ELj4ELj8EhN10test_utils4lessEEvPKT2_PS2_PKjT3_,comdat
.Lfunc_end106:
	.size	_Z19sort_keys_segmentedILj256ELj4ELj8EhN10test_utils4lessEEvPKT2_PS2_PKjT3_, .Lfunc_end106-_Z19sort_keys_segmentedILj256ELj4ELj8EhN10test_utils4lessEEvPKT2_PS2_PKjT3_
                                        ; -- End function
	.section	.AMDGPU.csdata,"",@progbits
; Kernel info:
; codeLenInByte = 6748
; NumSgprs: 22
; NumVgprs: 26
; ScratchSize: 0
; MemoryBound: 0
; FloatMode: 240
; IeeeMode: 1
; LDSByteSize: 2112 bytes/workgroup (compile time only)
; SGPRBlocks: 2
; VGPRBlocks: 3
; NumSGPRsForWavesPerEU: 22
; NumVGPRsForWavesPerEU: 26
; Occupancy: 16
; WaveLimiterHint : 0
; COMPUTE_PGM_RSRC2:SCRATCH_EN: 0
; COMPUTE_PGM_RSRC2:USER_SGPR: 15
; COMPUTE_PGM_RSRC2:TRAP_HANDLER: 0
; COMPUTE_PGM_RSRC2:TGID_X_EN: 1
; COMPUTE_PGM_RSRC2:TGID_Y_EN: 0
; COMPUTE_PGM_RSRC2:TGID_Z_EN: 0
; COMPUTE_PGM_RSRC2:TIDIG_COMP_CNT: 0
	.section	.text._Z20sort_pairs_segmentedILj256ELj4ELj8EhN10test_utils4lessEEvPKT2_PS2_PKjT3_,"axG",@progbits,_Z20sort_pairs_segmentedILj256ELj4ELj8EhN10test_utils4lessEEvPKT2_PS2_PKjT3_,comdat
	.protected	_Z20sort_pairs_segmentedILj256ELj4ELj8EhN10test_utils4lessEEvPKT2_PS2_PKjT3_ ; -- Begin function _Z20sort_pairs_segmentedILj256ELj4ELj8EhN10test_utils4lessEEvPKT2_PS2_PKjT3_
	.globl	_Z20sort_pairs_segmentedILj256ELj4ELj8EhN10test_utils4lessEEvPKT2_PS2_PKjT3_
	.p2align	8
	.type	_Z20sort_pairs_segmentedILj256ELj4ELj8EhN10test_utils4lessEEvPKT2_PS2_PKjT3_,@function
_Z20sort_pairs_segmentedILj256ELj4ELj8EhN10test_utils4lessEEvPKT2_PS2_PKjT3_: ; @_Z20sort_pairs_segmentedILj256ELj4ELj8EhN10test_utils4lessEEvPKT2_PS2_PKjT3_
; %bb.0:
	s_clause 0x1
	s_load_b64 s[2:3], s[0:1], 0x10
	s_load_b128 s[16:19], s[0:1], 0x0
	v_lshrrev_b32_e32 v7, 2, v0
	v_mov_b32_e32 v1, 0
	s_delay_alu instid0(VALU_DEP_2) | instskip(NEXT) | instid1(VALU_DEP_1)
	v_lshl_or_b32 v0, s15, 6, v7
	v_lshlrev_b64 v[1:2], 2, v[0:1]
	v_lshlrev_b32_e32 v5, 5, v0
	s_waitcnt lgkmcnt(0)
	s_delay_alu instid0(VALU_DEP_2) | instskip(NEXT) | instid1(VALU_DEP_3)
	v_add_co_u32 v1, vcc_lo, s2, v1
	v_add_co_ci_u32_e32 v2, vcc_lo, s3, v2, vcc_lo
	s_delay_alu instid0(VALU_DEP_3) | instskip(SKIP_2) | instid1(VALU_DEP_1)
	v_add_co_u32 v0, s0, s16, v5
	global_load_b32 v6, v[1:2], off
	v_mbcnt_lo_u32_b32 v1, -1, 0
                                        ; implicit-def: $vgpr2
	v_lshlrev_b32_e32 v8, 3, v1
	v_add_co_ci_u32_e64 v1, null, s17, 0, s0
	s_delay_alu instid0(VALU_DEP_2) | instskip(NEXT) | instid1(VALU_DEP_1)
	v_and_b32_e32 v4, 24, v8
	v_add_co_u32 v0, vcc_lo, v0, v4
	s_delay_alu instid0(VALU_DEP_3)
	v_add_co_ci_u32_e32 v1, vcc_lo, 0, v1, vcc_lo
	s_waitcnt vmcnt(0)
	v_cmp_lt_u32_e32 vcc_lo, v4, v6
	s_and_saveexec_b32 s0, vcc_lo
	s_cbranch_execz .LBB107_2
; %bb.1:
	global_load_u8 v2, v[0:1], off
.LBB107_2:
	s_or_b32 exec_lo, exec_lo, s0
	v_or_b32_e32 v11, 1, v4
                                        ; implicit-def: $vgpr15
	s_delay_alu instid0(VALU_DEP_1) | instskip(NEXT) | instid1(VALU_DEP_1)
	v_cmp_lt_u32_e64 s0, v11, v6
	s_and_saveexec_b32 s1, s0
	s_cbranch_execz .LBB107_4
; %bb.3:
	global_load_u8 v15, v[0:1], off offset:1
.LBB107_4:
	s_or_b32 exec_lo, exec_lo, s1
	v_or_b32_e32 v9, 2, v4
                                        ; implicit-def: $vgpr3
	s_delay_alu instid0(VALU_DEP_1) | instskip(NEXT) | instid1(VALU_DEP_1)
	v_cmp_lt_u32_e64 s1, v9, v6
	s_and_saveexec_b32 s2, s1
	s_cbranch_execz .LBB107_6
; %bb.5:
	global_load_u8 v3, v[0:1], off offset:2
.LBB107_6:
	s_or_b32 exec_lo, exec_lo, s2
	v_or_b32_e32 v10, 3, v4
                                        ; implicit-def: $vgpr19
	s_delay_alu instid0(VALU_DEP_1) | instskip(NEXT) | instid1(VALU_DEP_1)
	v_cmp_lt_u32_e64 s2, v10, v6
	s_and_saveexec_b32 s3, s2
	s_cbranch_execz .LBB107_8
; %bb.7:
	global_load_u8 v19, v[0:1], off offset:3
.LBB107_8:
	s_or_b32 exec_lo, exec_lo, s3
	v_or_b32_e32 v12, 4, v4
                                        ; implicit-def: $vgpr16
	s_delay_alu instid0(VALU_DEP_1) | instskip(NEXT) | instid1(VALU_DEP_1)
	v_cmp_lt_u32_e64 s3, v12, v6
	s_and_saveexec_b32 s4, s3
	s_cbranch_execz .LBB107_10
; %bb.9:
	global_load_u8 v16, v[0:1], off offset:4
.LBB107_10:
	s_or_b32 exec_lo, exec_lo, s4
	v_or_b32_e32 v13, 5, v4
                                        ; implicit-def: $vgpr20
	s_delay_alu instid0(VALU_DEP_1) | instskip(NEXT) | instid1(VALU_DEP_1)
	v_cmp_lt_u32_e64 s4, v13, v6
	s_and_saveexec_b32 s5, s4
	s_cbranch_execz .LBB107_12
; %bb.11:
	global_load_u8 v20, v[0:1], off offset:5
.LBB107_12:
	s_or_b32 exec_lo, exec_lo, s5
	v_or_b32_e32 v14, 6, v4
                                        ; implicit-def: $vgpr18
	s_delay_alu instid0(VALU_DEP_1) | instskip(NEXT) | instid1(VALU_DEP_1)
	v_cmp_lt_u32_e64 s5, v14, v6
	s_and_saveexec_b32 s6, s5
	s_cbranch_execz .LBB107_14
; %bb.13:
	global_load_u8 v18, v[0:1], off offset:6
.LBB107_14:
	s_or_b32 exec_lo, exec_lo, s6
	v_or_b32_e32 v17, 7, v4
                                        ; implicit-def: $vgpr21
	s_delay_alu instid0(VALU_DEP_1) | instskip(NEXT) | instid1(VALU_DEP_1)
	v_cmp_lt_u32_e64 s6, v17, v6
	s_and_saveexec_b32 s7, s6
	s_cbranch_execz .LBB107_16
; %bb.15:
	global_load_u8 v21, v[0:1], off offset:7
.LBB107_16:
	s_or_b32 exec_lo, exec_lo, s7
	s_waitcnt vmcnt(0)
	v_and_b32_e32 v0, 0xff, v2
	v_lshlrev_b16 v1, 8, v15
	v_and_b32_e32 v15, 0xff, v3
	v_lshlrev_b16 v19, 8, v19
	v_cmp_lt_i32_e64 s7, v11, v6
	v_lshlrev_b16 v20, 8, v20
	v_or_b32_e32 v22, v0, v1
	v_or_b32_e32 v0, 0xffffff00, v0
	;; [unrolled: 1-line block ×3, first 2 shown]
	v_and_b32_e32 v23, 0xff, v18
	v_lshlrev_b16 v21, 8, v21
	v_and_b32_e32 v22, 0xffff, v22
	v_and_b32_e32 v0, 0xffff, v0
	v_lshlrev_b32_e32 v15, 16, v15
	v_add_nc_u16 v2, v2, 1
	v_or_b32_e32 v23, v23, v21
	v_cmp_lt_i32_e64 s8, v10, v6
	v_add_nc_u16 v3, v3, 1
	v_or_b32_e32 v22, v22, v15
	v_or_b32_e32 v0, v0, v15
	v_and_b32_e32 v15, 0xff, v16
	v_add_nc_u16 v16, v16, 1
	v_lshlrev_b32_e32 v23, 16, v23
	v_and_b32_e32 v2, 0xff, v2
	v_cndmask_b32_e64 v0, v0, v22, s7
	v_or_b32_e32 v15, v15, v20
	v_cmp_lt_i32_e64 s7, v9, v6
	v_perm_b32 v9, v16, 0, 0x3020104
	v_or_b32_e32 v1, v1, v2
	v_lshrrev_b32_e32 v11, 16, v0
	v_and_b32_e32 v3, 0xff, v3
	v_and_b32_e32 v2, 0xffff, v2
	v_cndmask_b32_e64 v9, 0, v9, s3
	v_add_nc_u16 v1, v1, 0x100
	v_or_b32_e32 v11, 0xff, v11
	v_lshlrev_b32_e32 v3, 16, v3
	s_mov_b32 s9, exec_lo
	s_delay_alu instid0(VALU_DEP_3) | instskip(NEXT) | instid1(VALU_DEP_3)
	v_and_b32_e32 v1, 0xffff, v1
	v_lshlrev_b32_e32 v11, 16, v11
	s_delay_alu instid0(VALU_DEP_2) | instskip(NEXT) | instid1(VALU_DEP_2)
	v_cndmask_b32_e64 v1, v2, v1, s0
	v_and_or_b32 v0, 0xffff, v0, v11
	v_and_b32_e32 v11, 0xffff, v15
	v_or_b32_e32 v15, 0xff, v15
	s_delay_alu instid0(VALU_DEP_4) | instskip(NEXT) | instid1(VALU_DEP_4)
	v_or_b32_e32 v3, v1, v3
	v_cndmask_b32_e64 v0, v0, v22, s7
	s_delay_alu instid0(VALU_DEP_4) | instskip(NEXT) | instid1(VALU_DEP_4)
	v_or_b32_e32 v11, v11, v23
	v_and_b32_e32 v15, 0xffff, v15
	v_cmp_lt_i32_e64 s7, v12, v6
	v_and_b32_e32 v23, 0xff, v9
	v_lshrrev_b32_e32 v16, 16, v0
	v_cndmask_b32_e64 v1, v1, v3, s1
	v_and_or_b32 v15, 0xffff0000, v11, v15
	s_delay_alu instid0(VALU_DEP_3) | instskip(NEXT) | instid1(VALU_DEP_2)
	v_or_b32_e32 v16, 0xffffff00, v16
	v_cndmask_b32_e64 v12, v15, v11, s7
	s_delay_alu instid0(VALU_DEP_2) | instskip(SKIP_1) | instid1(VALU_DEP_3)
	v_lshlrev_b32_e32 v15, 16, v16
	v_or_b32_e32 v16, v20, v23
	v_or_b32_e32 v20, 0xffffff00, v12
	s_delay_alu instid0(VALU_DEP_3) | instskip(NEXT) | instid1(VALU_DEP_3)
	v_and_or_b32 v0, 0xffff, v0, v15
	v_add_nc_u16 v15, v16, 0x100
	s_delay_alu instid0(VALU_DEP_3) | instskip(NEXT) | instid1(VALU_DEP_3)
	v_and_b32_e32 v16, 0xffff, v20
	v_cndmask_b32_e64 v0, v0, v22, s8
	s_delay_alu instid0(VALU_DEP_3) | instskip(NEXT) | instid1(VALU_DEP_3)
	v_and_b32_e32 v10, 0xffff, v15
	v_and_or_b32 v12, 0xffff0000, v12, v16
	s_delay_alu instid0(VALU_DEP_3) | instskip(SKIP_1) | instid1(VALU_DEP_4)
	v_cndmask_b32_e64 v0, v0, v22, s7
	v_cmp_lt_i32_e64 s7, v13, v6
	v_and_or_b32 v10, 0xffff0000, v9, v10
	v_add_nc_u16 v13, v18, 1
	s_delay_alu instid0(VALU_DEP_3) | instskip(NEXT) | instid1(VALU_DEP_3)
	v_cndmask_b32_e64 v12, v12, v11, s7
	v_cndmask_b32_e64 v2, v9, v10, s4
	;; [unrolled: 1-line block ×3, first 2 shown]
	v_cmp_lt_i32_e64 s7, v14, v6
	s_delay_alu instid0(VALU_DEP_4) | instskip(NEXT) | instid1(VALU_DEP_4)
	v_lshrrev_b32_e32 v9, 16, v12
	v_perm_b32 v10, v2, v13, 0x7000504
	s_delay_alu instid0(VALU_DEP_2) | instskip(NEXT) | instid1(VALU_DEP_2)
	v_or_b32_e32 v9, 0xff, v9
	v_cndmask_b32_e64 v2, v2, v10, s5
	s_delay_alu instid0(VALU_DEP_2) | instskip(SKIP_1) | instid1(VALU_DEP_3)
	v_lshlrev_b32_e32 v3, 16, v9
	v_lshrrev_b32_e32 v9, 16, v1
	v_lshrrev_b32_e32 v10, 16, v2
	s_delay_alu instid0(VALU_DEP_3) | instskip(NEXT) | instid1(VALU_DEP_3)
	v_and_or_b32 v3, 0xffff, v12, v3
	v_and_b32_e32 v9, 0xff, v9
	s_delay_alu instid0(VALU_DEP_3) | instskip(SKIP_1) | instid1(VALU_DEP_4)
	v_and_b32_e32 v10, 0xff, v10
	v_cndmask_b32_e64 v12, v0, v22, s7
	v_cndmask_b32_e64 v0, v3, v11, s7
	s_delay_alu instid0(VALU_DEP_4) | instskip(NEXT) | instid1(VALU_DEP_4)
	v_or_b32_e32 v3, v19, v9
	v_or_b32_e32 v9, v21, v10
	v_cmp_lt_i32_e64 s7, v17, v6
	s_delay_alu instid0(VALU_DEP_4) | instskip(NEXT) | instid1(VALU_DEP_4)
	v_lshrrev_b32_e32 v10, 16, v0
	v_add_nc_u16 v3, v3, 0x100
	s_delay_alu instid0(VALU_DEP_4) | instskip(NEXT) | instid1(VALU_DEP_3)
	v_add_nc_u16 v9, v9, 0x100
	v_or_b32_e32 v10, 0xffffff00, v10
	s_delay_alu instid0(VALU_DEP_3) | instskip(NEXT) | instid1(VALU_DEP_3)
	v_lshlrev_b32_e32 v3, 16, v3
	v_lshlrev_b32_e32 v9, 16, v9
	s_delay_alu instid0(VALU_DEP_3) | instskip(NEXT) | instid1(VALU_DEP_3)
	v_lshlrev_b32_e32 v10, 16, v10
	v_and_or_b32 v3, 0xffff, v1, v3
	s_delay_alu instid0(VALU_DEP_3) | instskip(NEXT) | instid1(VALU_DEP_3)
	v_and_or_b32 v9, 0xffff, v2, v9
	v_and_or_b32 v10, 0xffff, v0, v10
	s_delay_alu instid0(VALU_DEP_3) | instskip(NEXT) | instid1(VALU_DEP_3)
	v_cndmask_b32_e64 v0, v1, v3, s2
	v_cndmask_b32_e64 v1, v2, v9, s6
	;; [unrolled: 1-line block ×3, first 2 shown]
	s_delay_alu instid0(VALU_DEP_4)
	v_cndmask_b32_e64 v3, v10, v11, s7
	v_cmpx_lt_i32_e64 v4, v6
	s_cbranch_execz .LBB107_18
; %bb.17:
	s_delay_alu instid0(VALU_DEP_3)
	v_lshrrev_b32_e32 v9, 8, v2
	v_perm_b32 v11, 0, v2, 0xc0c0001
	v_and_b32_e32 v12, 0xff, v2
	v_perm_b32 v10, 0, v0, 0xc0c0001
	v_and_b32_e32 v14, 0xff, v3
	v_and_b32_e32 v9, 0xff, v9
	v_and_or_b32 v11, 0xffff0000, v2, v11
	s_delay_alu instid0(VALU_DEP_4) | instskip(NEXT) | instid1(VALU_DEP_3)
	v_and_or_b32 v10, 0xffff0000, v0, v10
	v_cmp_lt_u16_e64 s7, v9, v12
	v_lshrrev_b32_e32 v12, 8, v3
	s_delay_alu instid0(VALU_DEP_2) | instskip(NEXT) | instid1(VALU_DEP_4)
	v_cndmask_b32_e64 v2, v2, v11, s7
	v_cndmask_b32_e64 v0, v0, v10, s7
	s_delay_alu instid0(VALU_DEP_3) | instskip(NEXT) | instid1(VALU_DEP_3)
	v_and_b32_e32 v12, 0xff, v12
	v_lshrrev_b32_e32 v10, 16, v2
	s_delay_alu instid0(VALU_DEP_3) | instskip(SKIP_1) | instid1(VALU_DEP_4)
	v_lshrrev_b32_e32 v9, 16, v0
	v_lshrrev_b32_e32 v13, 24, v2
	v_cmp_lt_u16_e64 s8, v12, v14
	s_delay_alu instid0(VALU_DEP_4) | instskip(NEXT) | instid1(VALU_DEP_4)
	v_perm_b32 v11, 0, v10, 0xc0c0001
	v_perm_b32 v9, 0, v9, 0xc0c0001
	v_and_b32_e32 v10, 0xff, v10
	s_delay_alu instid0(VALU_DEP_3) | instskip(NEXT) | instid1(VALU_DEP_3)
	v_lshlrev_b32_e32 v11, 16, v11
	v_lshlrev_b32_e32 v9, 16, v9
	s_delay_alu instid0(VALU_DEP_3) | instskip(SKIP_4) | instid1(VALU_DEP_4)
	v_cmp_lt_u16_e64 s7, v13, v10
	v_perm_b32 v10, v1, v1, 0x7060405
	v_perm_b32 v13, v3, v3, 0x7060405
	v_and_or_b32 v11, 0xffff, v2, v11
	v_and_or_b32 v9, 0xffff, v0, v9
	v_cndmask_b32_e64 v1, v1, v10, s8
	s_delay_alu instid0(VALU_DEP_4) | instskip(NEXT) | instid1(VALU_DEP_4)
	v_cndmask_b32_e64 v3, v3, v13, s8
	v_cndmask_b32_e64 v2, v2, v11, s7
	s_delay_alu instid0(VALU_DEP_4) | instskip(NEXT) | instid1(VALU_DEP_3)
	v_cndmask_b32_e64 v0, v0, v9, s7
	v_lshrrev_b32_e32 v11, 16, v3
	s_delay_alu instid0(VALU_DEP_3)
	v_lshrrev_b32_e32 v9, 16, v2
	v_lshrrev_b32_e32 v10, 8, v2
	;; [unrolled: 1-line block ×3, first 2 shown]
	v_perm_b32 v13, v0, v0, 0x7050604
	v_and_b32_e32 v11, 0xff, v11
	v_and_b32_e32 v9, 0xff, v9
	;; [unrolled: 1-line block ×3, first 2 shown]
	v_perm_b32 v14, v2, v2, 0x7050604
	s_delay_alu instid0(VALU_DEP_4) | instskip(NEXT) | instid1(VALU_DEP_3)
	v_cmp_lt_u16_e64 s8, v12, v11
	v_cmp_lt_u16_e64 s7, v9, v10
	v_perm_b32 v9, v1, v1, 0x6070504
	v_perm_b32 v10, v3, v3, 0x6070504
	s_delay_alu instid0(VALU_DEP_3) | instskip(SKIP_1) | instid1(VALU_DEP_4)
	v_cndmask_b32_e64 v0, v0, v13, s7
	v_cndmask_b32_e64 v2, v2, v14, s7
	v_cndmask_b32_e64 v1, v1, v9, s8
	s_delay_alu instid0(VALU_DEP_4) | instskip(NEXT) | instid1(VALU_DEP_4)
	v_cndmask_b32_e64 v3, v3, v10, s8
	v_lshrrev_b32_e32 v9, 16, v0
	s_delay_alu instid0(VALU_DEP_4) | instskip(NEXT) | instid1(VALU_DEP_4)
	v_lshrrev_b32_e32 v10, 16, v2
	v_lshlrev_b16 v11, 8, v1
	s_delay_alu instid0(VALU_DEP_4) | instskip(NEXT) | instid1(VALU_DEP_4)
	v_lshlrev_b16 v12, 8, v3
	v_and_b32_e32 v9, 0xff, v9
	s_delay_alu instid0(VALU_DEP_4) | instskip(NEXT) | instid1(VALU_DEP_2)
	v_and_b32_e32 v10, 0xff, v10
	v_or_b32_e32 v9, v9, v11
	s_delay_alu instid0(VALU_DEP_2) | instskip(SKIP_2) | instid1(VALU_DEP_4)
	v_or_b32_e32 v10, v10, v12
	v_and_b32_e32 v11, 0xff, v3
	v_lshrrev_b32_e32 v12, 24, v2
	v_lshlrev_b32_e32 v9, 16, v9
	s_delay_alu instid0(VALU_DEP_4) | instskip(NEXT) | instid1(VALU_DEP_3)
	v_lshlrev_b32_e32 v10, 16, v10
	v_cmp_lt_u16_e64 s7, v11, v12
	v_perm_b32 v11, v0, v1, 0x3020107
	s_delay_alu instid0(VALU_DEP_4) | instskip(NEXT) | instid1(VALU_DEP_4)
	v_and_or_b32 v9, 0xffff, v0, v9
	v_and_or_b32 v10, 0xffff, v2, v10
	s_delay_alu instid0(VALU_DEP_3) | instskip(NEXT) | instid1(VALU_DEP_3)
	v_cndmask_b32_e64 v1, v1, v11, s7
	v_cndmask_b32_e64 v0, v0, v9, s7
	s_delay_alu instid0(VALU_DEP_3) | instskip(SKIP_1) | instid1(VALU_DEP_2)
	v_cndmask_b32_e64 v9, v2, v10, s7
	v_perm_b32 v2, v2, v3, 0x3020107
	v_lshrrev_b32_e32 v10, 8, v9
	s_delay_alu instid0(VALU_DEP_2)
	v_cndmask_b32_e64 v2, v3, v2, s7
	v_perm_b32 v3, 0, v0, 0xc0c0001
	v_perm_b32 v11, 0, v9, 0xc0c0001
	v_and_b32_e32 v12, 0xff, v9
	v_and_b32_e32 v10, 0xff, v10
	v_lshrrev_b32_e32 v13, 16, v2
	v_lshrrev_b32_e32 v14, 8, v2
	v_and_or_b32 v3, 0xffff0000, v0, v3
	v_and_or_b32 v11, 0xffff0000, v9, v11
	v_cmp_lt_u16_e64 s7, v10, v12
	v_and_b32_e32 v10, 0xff, v13
	v_and_b32_e32 v12, 0xff, v14
	v_perm_b32 v13, v2, v2, 0x7050604
	s_delay_alu instid0(VALU_DEP_4) | instskip(SKIP_3) | instid1(VALU_DEP_4)
	v_cndmask_b32_e64 v0, v0, v3, s7
	v_cndmask_b32_e64 v3, v9, v11, s7
	v_perm_b32 v9, v1, v1, 0x7050604
	v_cmp_lt_u16_e64 s7, v10, v12
	v_lshrrev_b32_e32 v10, 16, v0
	s_delay_alu instid0(VALU_DEP_4) | instskip(NEXT) | instid1(VALU_DEP_3)
	v_lshrrev_b32_e32 v11, 16, v3
	v_cndmask_b32_e64 v1, v1, v9, s7
	v_cndmask_b32_e64 v2, v2, v13, s7
	s_delay_alu instid0(VALU_DEP_4) | instskip(NEXT) | instid1(VALU_DEP_4)
	v_perm_b32 v9, 0, v10, 0xc0c0001
	v_perm_b32 v10, 0, v11, 0xc0c0001
	v_lshrrev_b32_e32 v13, 24, v3
	v_and_b32_e32 v11, 0xff, v11
	v_lshrrev_b32_e32 v12, 8, v2
	v_lshlrev_b32_e32 v9, 16, v9
	v_lshlrev_b32_e32 v10, 16, v10
	v_and_b32_e32 v14, 0xff, v2
	v_cmp_lt_u16_e64 s7, v13, v11
	v_and_b32_e32 v12, 0xff, v12
	v_and_or_b32 v9, 0xffff, v0, v9
	v_and_or_b32 v10, 0xffff, v3, v10
	v_perm_b32 v13, v2, v2, 0x7060405
	v_perm_b32 v11, v1, v1, 0x7060405
	v_cmp_lt_u16_e64 s8, v12, v14
	v_cndmask_b32_e64 v0, v0, v9, s7
	v_cndmask_b32_e64 v3, v3, v10, s7
	s_delay_alu instid0(VALU_DEP_3) | instskip(SKIP_1) | instid1(VALU_DEP_3)
	v_cndmask_b32_e64 v2, v2, v13, s8
	v_cndmask_b32_e64 v1, v1, v11, s8
	v_lshrrev_b32_e32 v9, 16, v3
	v_lshrrev_b32_e32 v10, 8, v3
	v_perm_b32 v13, v0, v0, 0x7050604
	v_lshrrev_b32_e32 v11, 16, v2
	v_lshrrev_b32_e32 v12, 24, v2
	v_and_b32_e32 v9, 0xff, v9
	v_and_b32_e32 v10, 0xff, v10
	v_perm_b32 v14, v3, v3, 0x7050604
	v_and_b32_e32 v11, 0xff, v11
	s_delay_alu instid0(VALU_DEP_3) | instskip(SKIP_2) | instid1(VALU_DEP_4)
	v_cmp_lt_u16_e64 s7, v9, v10
	v_perm_b32 v9, v1, v1, 0x6070504
	v_perm_b32 v10, v2, v2, 0x6070504
	v_cmp_lt_u16_e64 s8, v12, v11
	s_delay_alu instid0(VALU_DEP_4) | instskip(SKIP_1) | instid1(VALU_DEP_3)
	v_cndmask_b32_e64 v0, v0, v13, s7
	v_cndmask_b32_e64 v3, v3, v14, s7
	;; [unrolled: 1-line block ×4, first 2 shown]
	s_delay_alu instid0(VALU_DEP_4) | instskip(NEXT) | instid1(VALU_DEP_4)
	v_lshrrev_b32_e32 v9, 16, v0
	v_lshrrev_b32_e32 v10, 16, v3
	s_delay_alu instid0(VALU_DEP_4) | instskip(NEXT) | instid1(VALU_DEP_4)
	v_lshlrev_b16 v11, 8, v1
	v_lshlrev_b16 v12, 8, v2
	s_delay_alu instid0(VALU_DEP_4) | instskip(NEXT) | instid1(VALU_DEP_4)
	v_and_b32_e32 v9, 0xff, v9
	v_and_b32_e32 v10, 0xff, v10
	s_delay_alu instid0(VALU_DEP_2) | instskip(NEXT) | instid1(VALU_DEP_2)
	v_or_b32_e32 v9, v9, v11
	v_or_b32_e32 v10, v10, v12
	v_and_b32_e32 v11, 0xff, v2
	v_lshrrev_b32_e32 v12, 24, v3
	s_delay_alu instid0(VALU_DEP_4) | instskip(NEXT) | instid1(VALU_DEP_4)
	v_lshlrev_b32_e32 v9, 16, v9
	v_lshlrev_b32_e32 v10, 16, v10
	s_delay_alu instid0(VALU_DEP_3) | instskip(SKIP_1) | instid1(VALU_DEP_4)
	v_cmp_lt_u16_e64 s7, v11, v12
	v_perm_b32 v11, v0, v1, 0x3020107
	v_and_or_b32 v9, 0xffff, v0, v9
	s_delay_alu instid0(VALU_DEP_4) | instskip(NEXT) | instid1(VALU_DEP_3)
	v_and_or_b32 v10, 0xffff, v3, v10
	v_cndmask_b32_e64 v1, v1, v11, s7
	s_delay_alu instid0(VALU_DEP_3) | instskip(NEXT) | instid1(VALU_DEP_3)
	v_cndmask_b32_e64 v0, v0, v9, s7
	v_cndmask_b32_e64 v9, v3, v10, s7
	v_perm_b32 v3, v3, v2, 0x3020107
	s_delay_alu instid0(VALU_DEP_2) | instskip(NEXT) | instid1(VALU_DEP_2)
	v_lshrrev_b32_e32 v10, 8, v9
	v_cndmask_b32_e64 v2, v2, v3, s7
	v_perm_b32 v3, 0, v0, 0xc0c0001
	v_perm_b32 v11, 0, v9, 0xc0c0001
	v_and_b32_e32 v12, 0xff, v9
	v_and_b32_e32 v10, 0xff, v10
	v_lshrrev_b32_e32 v13, 16, v2
	v_lshrrev_b32_e32 v14, 8, v2
	v_and_or_b32 v3, 0xffff0000, v0, v3
	v_and_or_b32 v11, 0xffff0000, v9, v11
	v_cmp_lt_u16_e64 s7, v10, v12
	v_and_b32_e32 v10, 0xff, v13
	v_and_b32_e32 v12, 0xff, v14
	v_perm_b32 v13, v2, v2, 0x7050604
	s_delay_alu instid0(VALU_DEP_4) | instskip(SKIP_3) | instid1(VALU_DEP_4)
	v_cndmask_b32_e64 v0, v0, v3, s7
	v_cndmask_b32_e64 v3, v9, v11, s7
	v_perm_b32 v9, v1, v1, 0x7050604
	v_cmp_lt_u16_e64 s7, v10, v12
	v_lshrrev_b32_e32 v10, 16, v0
	s_delay_alu instid0(VALU_DEP_4) | instskip(NEXT) | instid1(VALU_DEP_3)
	v_lshrrev_b32_e32 v11, 16, v3
	v_cndmask_b32_e64 v1, v1, v9, s7
	v_cndmask_b32_e64 v2, v2, v13, s7
	s_delay_alu instid0(VALU_DEP_4) | instskip(NEXT) | instid1(VALU_DEP_4)
	v_perm_b32 v9, 0, v10, 0xc0c0001
	v_perm_b32 v10, 0, v11, 0xc0c0001
	v_lshrrev_b32_e32 v13, 24, v3
	v_and_b32_e32 v11, 0xff, v11
	v_lshrrev_b32_e32 v12, 8, v2
	v_lshlrev_b32_e32 v9, 16, v9
	v_lshlrev_b32_e32 v10, 16, v10
	v_and_b32_e32 v14, 0xff, v2
	v_cmp_lt_u16_e64 s7, v13, v11
	v_and_b32_e32 v12, 0xff, v12
	v_and_or_b32 v9, 0xffff, v0, v9
	v_and_or_b32 v10, 0xffff, v3, v10
	v_perm_b32 v13, v2, v2, 0x7060405
	v_perm_b32 v11, v1, v1, 0x7060405
	v_cmp_lt_u16_e64 s8, v12, v14
	v_cndmask_b32_e64 v0, v0, v9, s7
	v_cndmask_b32_e64 v3, v3, v10, s7
	s_delay_alu instid0(VALU_DEP_3) | instskip(SKIP_1) | instid1(VALU_DEP_3)
	v_cndmask_b32_e64 v2, v2, v13, s8
	v_cndmask_b32_e64 v1, v1, v11, s8
	v_lshrrev_b32_e32 v9, 16, v3
	v_lshrrev_b32_e32 v10, 8, v3
	v_perm_b32 v13, v0, v0, 0x7050604
	v_lshrrev_b32_e32 v11, 16, v2
	v_lshrrev_b32_e32 v12, 24, v2
	v_and_b32_e32 v9, 0xff, v9
	v_and_b32_e32 v10, 0xff, v10
	v_perm_b32 v14, v3, v3, 0x7050604
	v_and_b32_e32 v11, 0xff, v11
	s_delay_alu instid0(VALU_DEP_3) | instskip(SKIP_2) | instid1(VALU_DEP_4)
	v_cmp_lt_u16_e64 s7, v9, v10
	v_perm_b32 v9, v1, v1, 0x6070504
	v_perm_b32 v10, v2, v2, 0x6070504
	v_cmp_lt_u16_e64 s8, v12, v11
	s_delay_alu instid0(VALU_DEP_4) | instskip(SKIP_1) | instid1(VALU_DEP_3)
	v_cndmask_b32_e64 v0, v0, v13, s7
	v_cndmask_b32_e64 v3, v3, v14, s7
	;; [unrolled: 1-line block ×4, first 2 shown]
	s_delay_alu instid0(VALU_DEP_4) | instskip(NEXT) | instid1(VALU_DEP_4)
	v_lshrrev_b32_e32 v9, 16, v0
	v_lshrrev_b32_e32 v10, 16, v3
	s_delay_alu instid0(VALU_DEP_4) | instskip(NEXT) | instid1(VALU_DEP_4)
	v_lshlrev_b16 v11, 8, v1
	v_lshlrev_b16 v12, 8, v2
	s_delay_alu instid0(VALU_DEP_4) | instskip(NEXT) | instid1(VALU_DEP_4)
	v_and_b32_e32 v9, 0xff, v9
	v_and_b32_e32 v10, 0xff, v10
	s_delay_alu instid0(VALU_DEP_2) | instskip(NEXT) | instid1(VALU_DEP_2)
	v_or_b32_e32 v9, v9, v11
	v_or_b32_e32 v10, v10, v12
	v_and_b32_e32 v11, 0xff, v2
	v_lshrrev_b32_e32 v12, 24, v3
	s_delay_alu instid0(VALU_DEP_4) | instskip(NEXT) | instid1(VALU_DEP_4)
	v_lshlrev_b32_e32 v9, 16, v9
	v_lshlrev_b32_e32 v10, 16, v10
	s_delay_alu instid0(VALU_DEP_3) | instskip(SKIP_1) | instid1(VALU_DEP_4)
	v_cmp_lt_u16_e64 s7, v11, v12
	v_perm_b32 v11, v0, v1, 0x3020107
	v_and_or_b32 v9, 0xffff, v0, v9
	s_delay_alu instid0(VALU_DEP_4) | instskip(NEXT) | instid1(VALU_DEP_3)
	v_and_or_b32 v10, 0xffff, v3, v10
	v_cndmask_b32_e64 v1, v1, v11, s7
	s_delay_alu instid0(VALU_DEP_3) | instskip(NEXT) | instid1(VALU_DEP_3)
	v_cndmask_b32_e64 v0, v0, v9, s7
	v_cndmask_b32_e64 v9, v3, v10, s7
	v_perm_b32 v3, v3, v2, 0x3020107
	s_delay_alu instid0(VALU_DEP_2) | instskip(NEXT) | instid1(VALU_DEP_2)
	v_lshrrev_b32_e32 v10, 8, v9
	v_cndmask_b32_e64 v2, v2, v3, s7
	v_perm_b32 v3, 0, v0, 0xc0c0001
	v_perm_b32 v11, 0, v9, 0xc0c0001
	v_and_b32_e32 v12, 0xff, v9
	v_and_b32_e32 v10, 0xff, v10
	v_lshrrev_b32_e32 v13, 16, v2
	v_lshrrev_b32_e32 v14, 8, v2
	v_and_or_b32 v3, 0xffff0000, v0, v3
	v_and_or_b32 v11, 0xffff0000, v9, v11
	v_cmp_lt_u16_e64 s7, v10, v12
	v_and_b32_e32 v10, 0xff, v13
	v_and_b32_e32 v12, 0xff, v14
	v_perm_b32 v13, v2, v2, 0x7050604
	s_delay_alu instid0(VALU_DEP_4) | instskip(SKIP_3) | instid1(VALU_DEP_4)
	v_cndmask_b32_e64 v0, v0, v3, s7
	v_cndmask_b32_e64 v3, v9, v11, s7
	v_perm_b32 v9, v1, v1, 0x7050604
	v_cmp_lt_u16_e64 s7, v10, v12
	v_lshrrev_b32_e32 v10, 16, v0
	s_delay_alu instid0(VALU_DEP_4) | instskip(NEXT) | instid1(VALU_DEP_3)
	v_lshrrev_b32_e32 v11, 16, v3
	v_cndmask_b32_e64 v1, v1, v9, s7
	v_cndmask_b32_e64 v2, v2, v13, s7
	s_delay_alu instid0(VALU_DEP_4) | instskip(NEXT) | instid1(VALU_DEP_4)
	v_perm_b32 v9, 0, v10, 0xc0c0001
	v_perm_b32 v10, 0, v11, 0xc0c0001
	v_lshrrev_b32_e32 v13, 24, v3
	v_and_b32_e32 v11, 0xff, v11
	v_lshrrev_b32_e32 v12, 8, v2
	v_lshlrev_b32_e32 v9, 16, v9
	v_lshlrev_b32_e32 v10, 16, v10
	v_and_b32_e32 v14, 0xff, v2
	v_cmp_lt_u16_e64 s7, v13, v11
	v_and_b32_e32 v12, 0xff, v12
	v_and_or_b32 v9, 0xffff, v0, v9
	v_and_or_b32 v10, 0xffff, v3, v10
	v_perm_b32 v13, v2, v2, 0x7060405
	v_perm_b32 v11, v1, v1, 0x7060405
	v_cmp_lt_u16_e64 s8, v12, v14
	v_cndmask_b32_e64 v0, v0, v9, s7
	v_cndmask_b32_e64 v3, v3, v10, s7
	s_delay_alu instid0(VALU_DEP_3) | instskip(SKIP_1) | instid1(VALU_DEP_3)
	v_cndmask_b32_e64 v2, v2, v13, s8
	v_cndmask_b32_e64 v1, v1, v11, s8
	v_lshrrev_b32_e32 v9, 16, v3
	v_lshrrev_b32_e32 v10, 8, v3
	v_perm_b32 v12, v0, v0, 0x7050604
	v_lshrrev_b32_e32 v11, 16, v2
	v_lshrrev_b32_e32 v14, 24, v2
	v_and_b32_e32 v9, 0xff, v9
	v_and_b32_e32 v10, 0xff, v10
	v_perm_b32 v13, v1, v1, 0x6070504
	v_and_b32_e32 v11, 0xff, v11
	s_delay_alu instid0(VALU_DEP_3) | instskip(SKIP_1) | instid1(VALU_DEP_3)
	v_cmp_lt_u16_e64 s7, v9, v10
	v_perm_b32 v10, v2, v2, 0x6070504
	v_cmp_lt_u16_e64 s8, v14, v11
	s_delay_alu instid0(VALU_DEP_3) | instskip(SKIP_1) | instid1(VALU_DEP_3)
	v_cndmask_b32_e64 v9, v0, v12, s7
	v_perm_b32 v12, v3, v3, 0x7050604
	v_cndmask_b32_e64 v1, v1, v13, s8
	v_cndmask_b32_e64 v2, v2, v10, s8
	s_delay_alu instid0(VALU_DEP_4) | instskip(NEXT) | instid1(VALU_DEP_4)
	v_lshrrev_b32_e32 v0, 16, v9
	v_cndmask_b32_e64 v3, v3, v12, s7
	s_delay_alu instid0(VALU_DEP_4) | instskip(NEXT) | instid1(VALU_DEP_4)
	v_lshlrev_b16 v11, 8, v1
	v_and_b32_e32 v10, 0xff, v2
	s_delay_alu instid0(VALU_DEP_4) | instskip(NEXT) | instid1(VALU_DEP_4)
	v_and_b32_e32 v0, 0xff, v0
	v_perm_b32 v12, v3, v2, 0x3020107
	v_lshrrev_b32_e32 v13, 16, v3
	s_delay_alu instid0(VALU_DEP_3) | instskip(SKIP_1) | instid1(VALU_DEP_2)
	v_or_b32_e32 v0, v0, v11
	v_lshrrev_b32_e32 v11, 24, v3
	v_lshlrev_b32_e32 v0, 16, v0
	s_delay_alu instid0(VALU_DEP_2) | instskip(SKIP_2) | instid1(VALU_DEP_4)
	v_cmp_lt_u16_e64 s7, v10, v11
	v_lshlrev_b16 v10, 8, v2
	v_and_b32_e32 v11, 0xff, v13
	v_and_or_b32 v0, 0xffff, v9, v0
	s_delay_alu instid0(VALU_DEP_4) | instskip(NEXT) | instid1(VALU_DEP_3)
	v_cndmask_b32_e64 v12, v2, v12, s7
	v_or_b32_e32 v2, v11, v10
	s_delay_alu instid0(VALU_DEP_3) | instskip(SKIP_1) | instid1(VALU_DEP_4)
	v_cndmask_b32_e64 v0, v9, v0, s7
	v_perm_b32 v9, v9, v1, 0x3020107
	v_lshrrev_b32_e32 v10, 16, v12
	v_lshrrev_b32_e32 v11, 8, v12
	v_lshlrev_b32_e32 v2, 16, v2
	s_delay_alu instid0(VALU_DEP_4) | instskip(NEXT) | instid1(VALU_DEP_4)
	v_cndmask_b32_e64 v1, v1, v9, s7
	v_and_b32_e32 v9, 0xff, v10
	s_delay_alu instid0(VALU_DEP_4) | instskip(NEXT) | instid1(VALU_DEP_4)
	v_and_b32_e32 v10, 0xff, v11
	v_and_or_b32 v2, 0xffff, v3, v2
	v_perm_b32 v11, v12, v12, 0x7050604
	v_perm_b32 v13, v1, v1, 0x7050604
	s_delay_alu instid0(VALU_DEP_4) | instskip(NEXT) | instid1(VALU_DEP_4)
	v_cmp_lt_u16_e64 s8, v9, v10
	v_cndmask_b32_e64 v2, v3, v2, s7
	s_delay_alu instid0(VALU_DEP_2)
	v_cndmask_b32_e64 v1, v1, v13, s8
	v_cndmask_b32_e64 v3, v12, v11, s8
.LBB107_18:
	s_or_b32 exec_lo, exec_lo, s9
	v_and_b32_e32 v9, 16, v8
	v_and_b32_e32 v12, 8, v8
	s_mov_b32 s8, exec_lo
	; wave barrier
	s_delay_alu instid0(VALU_DEP_2) | instskip(NEXT) | instid1(VALU_DEP_1)
	v_min_i32_e32 v10, v6, v9
	v_add_nc_u32_e32 v9, 8, v10
	s_delay_alu instid0(VALU_DEP_1) | instskip(NEXT) | instid1(VALU_DEP_1)
	v_min_i32_e32 v9, v6, v9
	v_add_nc_u32_e32 v11, 8, v9
	v_sub_nc_u32_e32 v14, v9, v10
	s_delay_alu instid0(VALU_DEP_2) | instskip(SKIP_1) | instid1(VALU_DEP_2)
	v_min_i32_e32 v8, v6, v11
	v_min_i32_e32 v11, v6, v12
	v_sub_nc_u32_e32 v12, v8, v9
	s_delay_alu instid0(VALU_DEP_1) | instskip(SKIP_1) | instid1(VALU_DEP_1)
	v_sub_nc_u32_e32 v13, v11, v12
	v_cmp_ge_i32_e64 s7, v11, v12
	v_cndmask_b32_e64 v12, 0, v13, s7
	v_min_i32_e32 v13, v11, v14
	v_mad_u32_u24 v14, v7, 33, v4
	v_mul_u32_u24_e32 v7, 33, v7
	ds_store_b64 v14, v[2:3]
	; wave barrier
	v_cmpx_lt_i32_e64 v12, v13
	s_cbranch_execz .LBB107_22
; %bb.19:
	v_add_nc_u32_e32 v2, v7, v10
	v_add3_u32 v3, v7, v9, v11
	s_mov_b32 s9, 0
	.p2align	6
.LBB107_20:                             ; =>This Inner Loop Header: Depth=1
	v_sub_nc_u32_e32 v14, v13, v12
	s_delay_alu instid0(VALU_DEP_1) | instskip(NEXT) | instid1(VALU_DEP_1)
	v_lshrrev_b32_e32 v15, 31, v14
	v_add_nc_u32_e32 v14, v14, v15
	s_delay_alu instid0(VALU_DEP_1) | instskip(NEXT) | instid1(VALU_DEP_1)
	v_ashrrev_i32_e32 v14, 1, v14
	v_add_nc_u32_e32 v14, v14, v12
	s_delay_alu instid0(VALU_DEP_1)
	v_add_nc_u32_e32 v15, v2, v14
	v_xad_u32 v16, v14, -1, v3
	v_add_nc_u32_e32 v17, 1, v14
	ds_load_u8 v15, v15
	ds_load_u8 v16, v16
	s_waitcnt lgkmcnt(0)
	v_cmp_lt_u16_e64 s7, v16, v15
	s_delay_alu instid0(VALU_DEP_1) | instskip(SKIP_1) | instid1(VALU_DEP_1)
	v_cndmask_b32_e64 v13, v13, v14, s7
	v_cndmask_b32_e64 v12, v17, v12, s7
	v_cmp_ge_i32_e64 s7, v12, v13
	s_delay_alu instid0(VALU_DEP_1) | instskip(NEXT) | instid1(SALU_CYCLE_1)
	s_or_b32 s9, s7, s9
	s_and_not1_b32 exec_lo, exec_lo, s9
	s_cbranch_execnz .LBB107_20
; %bb.21:
	s_or_b32 exec_lo, exec_lo, s9
.LBB107_22:
	s_delay_alu instid0(SALU_CYCLE_1) | instskip(SKIP_2) | instid1(VALU_DEP_2)
	s_or_b32 exec_lo, exec_lo, s8
	v_add_nc_u32_e32 v3, v9, v11
	v_add_nc_u32_e32 v2, v12, v10
	v_sub_nc_u32_e32 v3, v3, v12
	s_delay_alu instid0(VALU_DEP_2) | instskip(SKIP_1) | instid1(VALU_DEP_3)
	v_add_nc_u32_e32 v15, v7, v2
	v_cmp_le_i32_e64 s7, v9, v2
	v_add_nc_u32_e32 v14, v7, v3
	v_cmp_gt_i32_e64 s9, v8, v3
	ds_load_u8 v10, v15
	ds_load_u8 v11, v14
	s_waitcnt lgkmcnt(1)
	v_and_b32_e32 v12, 0xff, v10
	s_waitcnt lgkmcnt(0)
	v_and_b32_e32 v13, 0xff, v11
	s_delay_alu instid0(VALU_DEP_1) | instskip(NEXT) | instid1(VALU_DEP_1)
	v_cmp_lt_u16_e64 s8, v13, v12
                                        ; implicit-def: $vgpr12
                                        ; implicit-def: $vgpr13
	s_or_b32 s7, s7, s8
	s_delay_alu instid0(SALU_CYCLE_1) | instskip(NEXT) | instid1(SALU_CYCLE_1)
	s_and_b32 s7, s9, s7
	s_xor_b32 s8, s7, -1
	s_delay_alu instid0(SALU_CYCLE_1) | instskip(NEXT) | instid1(SALU_CYCLE_1)
	s_and_saveexec_b32 s9, s8
	s_xor_b32 s8, exec_lo, s9
	s_cbranch_execz .LBB107_24
; %bb.23:
	ds_load_u8 v13, v15 offset:1
	v_mov_b32_e32 v12, v11
                                        ; implicit-def: $vgpr14
.LBB107_24:
	s_and_not1_saveexec_b32 s8, s8
	s_cbranch_execz .LBB107_26
; %bb.25:
	ds_load_u8 v12, v14 offset:1
	s_waitcnt lgkmcnt(1)
	v_mov_b32_e32 v13, v10
.LBB107_26:
	s_or_b32 exec_lo, exec_lo, s8
	v_add_nc_u32_e32 v14, 1, v2
	v_add_nc_u32_e32 v15, 1, v3
	s_waitcnt lgkmcnt(0)
	v_and_b32_e32 v16, 0xff, v13
	v_and_b32_e32 v17, 0xff, v12
	v_cndmask_b32_e64 v14, v14, v2, s7
	v_cndmask_b32_e64 v15, v3, v15, s7
	s_delay_alu instid0(VALU_DEP_3) | instskip(NEXT) | instid1(VALU_DEP_3)
	v_cmp_lt_u16_e64 s9, v17, v16
                                        ; implicit-def: $vgpr16
	v_cmp_ge_i32_e64 s8, v14, v9
	s_delay_alu instid0(VALU_DEP_3) | instskip(NEXT) | instid1(VALU_DEP_2)
	v_cmp_lt_i32_e64 s10, v15, v8
	s_or_b32 s8, s8, s9
	s_delay_alu instid0(VALU_DEP_1) | instid1(SALU_CYCLE_1)
	s_and_b32 s8, s10, s8
	s_delay_alu instid0(SALU_CYCLE_1) | instskip(NEXT) | instid1(SALU_CYCLE_1)
	s_xor_b32 s9, s8, -1
	s_and_saveexec_b32 s10, s9
	s_delay_alu instid0(SALU_CYCLE_1)
	s_xor_b32 s9, exec_lo, s10
	s_cbranch_execz .LBB107_28
; %bb.27:
	v_add_nc_u32_e32 v16, v7, v14
	ds_load_u8 v16, v16 offset:1
.LBB107_28:
	s_or_saveexec_b32 s9, s9
	v_mov_b32_e32 v17, v12
	s_xor_b32 exec_lo, exec_lo, s9
	s_cbranch_execz .LBB107_30
; %bb.29:
	s_waitcnt lgkmcnt(0)
	v_add_nc_u32_e32 v16, v7, v15
	ds_load_u8 v17, v16 offset:1
	v_mov_b32_e32 v16, v13
.LBB107_30:
	s_or_b32 exec_lo, exec_lo, s9
	v_add_nc_u32_e32 v18, 1, v14
	v_add_nc_u32_e32 v19, 1, v15
	s_waitcnt lgkmcnt(0)
	v_and_b32_e32 v20, 0xff, v16
	v_and_b32_e32 v21, 0xff, v17
	v_cndmask_b32_e64 v18, v18, v14, s8
	v_cndmask_b32_e64 v19, v15, v19, s8
	s_delay_alu instid0(VALU_DEP_3) | instskip(NEXT) | instid1(VALU_DEP_3)
	v_cmp_lt_u16_e64 s10, v21, v20
                                        ; implicit-def: $vgpr20
	v_cmp_ge_i32_e64 s9, v18, v9
	s_delay_alu instid0(VALU_DEP_3) | instskip(NEXT) | instid1(VALU_DEP_2)
	v_cmp_lt_i32_e64 s11, v19, v8
	s_or_b32 s9, s9, s10
	s_delay_alu instid0(VALU_DEP_1) | instid1(SALU_CYCLE_1)
	s_and_b32 s9, s11, s9
	s_delay_alu instid0(SALU_CYCLE_1) | instskip(NEXT) | instid1(SALU_CYCLE_1)
	s_xor_b32 s10, s9, -1
	s_and_saveexec_b32 s11, s10
	s_delay_alu instid0(SALU_CYCLE_1)
	s_xor_b32 s10, exec_lo, s11
	s_cbranch_execz .LBB107_32
; %bb.31:
	v_add_nc_u32_e32 v20, v7, v18
	ds_load_u8 v20, v20 offset:1
.LBB107_32:
	s_or_saveexec_b32 s10, s10
	v_mov_b32_e32 v21, v17
	s_xor_b32 exec_lo, exec_lo, s10
	s_cbranch_execz .LBB107_34
; %bb.33:
	s_waitcnt lgkmcnt(0)
	v_add_nc_u32_e32 v20, v7, v19
	ds_load_u8 v21, v20 offset:1
	v_mov_b32_e32 v20, v16
.LBB107_34:
	s_or_b32 exec_lo, exec_lo, s10
	v_add_nc_u32_e32 v22, 1, v18
	v_add_nc_u32_e32 v23, 1, v19
	s_waitcnt lgkmcnt(0)
	v_and_b32_e32 v24, 0xff, v20
	v_and_b32_e32 v25, 0xff, v21
	v_cndmask_b32_e64 v22, v22, v18, s9
	v_cndmask_b32_e64 v23, v19, v23, s9
	s_delay_alu instid0(VALU_DEP_3) | instskip(NEXT) | instid1(VALU_DEP_3)
	v_cmp_lt_u16_e64 s11, v25, v24
                                        ; implicit-def: $vgpr24
	v_cmp_ge_i32_e64 s10, v22, v9
	s_delay_alu instid0(VALU_DEP_3) | instskip(NEXT) | instid1(VALU_DEP_2)
	v_cmp_lt_i32_e64 s12, v23, v8
	s_or_b32 s10, s10, s11
	s_delay_alu instid0(VALU_DEP_1) | instid1(SALU_CYCLE_1)
	s_and_b32 s10, s12, s10
	s_delay_alu instid0(SALU_CYCLE_1) | instskip(NEXT) | instid1(SALU_CYCLE_1)
	s_xor_b32 s11, s10, -1
	s_and_saveexec_b32 s12, s11
	s_delay_alu instid0(SALU_CYCLE_1)
	s_xor_b32 s11, exec_lo, s12
	s_cbranch_execz .LBB107_36
; %bb.35:
	v_add_nc_u32_e32 v24, v7, v22
	ds_load_u8 v24, v24 offset:1
.LBB107_36:
	s_or_saveexec_b32 s11, s11
	v_mov_b32_e32 v25, v21
	s_xor_b32 exec_lo, exec_lo, s11
	s_cbranch_execz .LBB107_38
; %bb.37:
	s_waitcnt lgkmcnt(0)
	v_add_nc_u32_e32 v24, v7, v23
	ds_load_u8 v25, v24 offset:1
	v_mov_b32_e32 v24, v20
.LBB107_38:
	s_or_b32 exec_lo, exec_lo, s11
	v_add_nc_u32_e32 v26, 1, v22
	v_add_nc_u32_e32 v27, 1, v23
	s_waitcnt lgkmcnt(0)
	v_and_b32_e32 v28, 0xff, v24
	v_and_b32_e32 v29, 0xff, v25
	v_cndmask_b32_e64 v26, v26, v22, s10
	v_cndmask_b32_e64 v27, v23, v27, s10
	s_delay_alu instid0(VALU_DEP_3) | instskip(NEXT) | instid1(VALU_DEP_3)
	v_cmp_lt_u16_e64 s12, v29, v28
                                        ; implicit-def: $vgpr28
	v_cmp_ge_i32_e64 s11, v26, v9
	s_delay_alu instid0(VALU_DEP_3) | instskip(NEXT) | instid1(VALU_DEP_2)
	v_cmp_lt_i32_e64 s13, v27, v8
	s_or_b32 s11, s11, s12
	s_delay_alu instid0(VALU_DEP_1) | instid1(SALU_CYCLE_1)
	s_and_b32 s11, s13, s11
	s_delay_alu instid0(SALU_CYCLE_1) | instskip(NEXT) | instid1(SALU_CYCLE_1)
	s_xor_b32 s12, s11, -1
	s_and_saveexec_b32 s13, s12
	s_delay_alu instid0(SALU_CYCLE_1)
	s_xor_b32 s12, exec_lo, s13
	s_cbranch_execz .LBB107_40
; %bb.39:
	v_add_nc_u32_e32 v28, v7, v26
	ds_load_u8 v28, v28 offset:1
.LBB107_40:
	s_or_saveexec_b32 s12, s12
	v_mov_b32_e32 v29, v25
	s_xor_b32 exec_lo, exec_lo, s12
	s_cbranch_execz .LBB107_42
; %bb.41:
	s_waitcnt lgkmcnt(0)
	v_add_nc_u32_e32 v28, v7, v27
	ds_load_u8 v29, v28 offset:1
	v_mov_b32_e32 v28, v24
.LBB107_42:
	s_or_b32 exec_lo, exec_lo, s12
	v_add_nc_u32_e32 v30, 1, v26
	v_add_nc_u32_e32 v31, 1, v27
	s_waitcnt lgkmcnt(0)
	v_and_b32_e32 v32, 0xff, v28
	v_and_b32_e32 v33, 0xff, v29
	v_cndmask_b32_e64 v30, v30, v26, s11
	v_cndmask_b32_e64 v31, v27, v31, s11
	s_delay_alu instid0(VALU_DEP_3) | instskip(NEXT) | instid1(VALU_DEP_3)
	v_cmp_lt_u16_e64 s13, v33, v32
                                        ; implicit-def: $vgpr32
	v_cmp_ge_i32_e64 s12, v30, v9
	s_delay_alu instid0(VALU_DEP_3) | instskip(NEXT) | instid1(VALU_DEP_2)
	v_cmp_lt_i32_e64 s14, v31, v8
	s_or_b32 s12, s12, s13
	s_delay_alu instid0(VALU_DEP_1) | instid1(SALU_CYCLE_1)
	s_and_b32 s12, s14, s12
	s_delay_alu instid0(SALU_CYCLE_1) | instskip(NEXT) | instid1(SALU_CYCLE_1)
	s_xor_b32 s13, s12, -1
	s_and_saveexec_b32 s14, s13
	s_delay_alu instid0(SALU_CYCLE_1)
	s_xor_b32 s13, exec_lo, s14
	s_cbranch_execz .LBB107_44
; %bb.43:
	v_add_nc_u32_e32 v32, v7, v30
	ds_load_u8 v32, v32 offset:1
.LBB107_44:
	s_or_saveexec_b32 s13, s13
	v_mov_b32_e32 v34, v29
	s_xor_b32 exec_lo, exec_lo, s13
	s_cbranch_execz .LBB107_46
; %bb.45:
	s_waitcnt lgkmcnt(0)
	v_add_nc_u32_e32 v32, v7, v31
	ds_load_u8 v34, v32 offset:1
	v_mov_b32_e32 v32, v28
.LBB107_46:
	s_or_b32 exec_lo, exec_lo, s13
	v_add_nc_u32_e32 v33, 1, v30
	v_add_nc_u32_e32 v35, 1, v31
	s_waitcnt lgkmcnt(0)
	v_and_b32_e32 v38, 0xff, v32
	s_delay_alu instid0(VALU_DEP_3) | instskip(SKIP_2) | instid1(VALU_DEP_3)
	v_cndmask_b32_e64 v36, v33, v30, s12
	v_and_b32_e32 v33, 0xff, v34
	v_cndmask_b32_e64 v37, v31, v35, s12
	v_cmp_ge_i32_e64 s13, v36, v9
	s_delay_alu instid0(VALU_DEP_3) | instskip(NEXT) | instid1(VALU_DEP_3)
	v_cmp_lt_u16_e64 s14, v33, v38
	v_cmp_lt_i32_e64 s15, v37, v8
                                        ; implicit-def: $vgpr33
	s_delay_alu instid0(VALU_DEP_2)
	s_or_b32 s13, s13, s14
	s_delay_alu instid0(VALU_DEP_1) | instid1(SALU_CYCLE_1)
	s_and_b32 s13, s15, s13
	s_delay_alu instid0(SALU_CYCLE_1) | instskip(NEXT) | instid1(SALU_CYCLE_1)
	s_xor_b32 s14, s13, -1
	s_and_saveexec_b32 s15, s14
	s_delay_alu instid0(SALU_CYCLE_1)
	s_xor_b32 s14, exec_lo, s15
	s_cbranch_execz .LBB107_48
; %bb.47:
	v_add_nc_u32_e32 v33, v7, v36
	ds_load_u8 v33, v33 offset:1
.LBB107_48:
	s_or_saveexec_b32 s14, s14
	v_mov_b32_e32 v35, v34
	s_xor_b32 exec_lo, exec_lo, s14
	s_cbranch_execz .LBB107_50
; %bb.49:
	s_waitcnt lgkmcnt(0)
	v_add_nc_u32_e32 v33, v7, v37
	ds_load_u8 v35, v33 offset:1
	v_mov_b32_e32 v33, v32
.LBB107_50:
	s_or_b32 exec_lo, exec_lo, s14
	v_add_nc_u32_e32 v39, 1, v36
	v_add_nc_u32_e32 v38, 1, v37
	v_cndmask_b32_e64 v32, v32, v34, s13
	v_cndmask_b32_e64 v34, v36, v37, s13
	;; [unrolled: 1-line block ×5, first 2 shown]
	s_waitcnt lgkmcnt(0)
	v_and_b32_e32 v22, 0xff, v33
	v_and_b32_e32 v23, 0xff, v35
	v_cndmask_b32_e64 v37, v37, v38, s13
	v_cndmask_b32_e64 v16, v16, v17, s9
	;; [unrolled: 1-line block ×3, first 2 shown]
	v_cmp_ge_i32_e64 s9, v36, v9
	v_cmp_lt_u16_e64 s10, v23, v22
	v_cndmask_b32_e64 v9, v14, v15, s8
	v_cndmask_b32_e64 v3, v2, v3, s7
	v_add_nc_u32_e32 v2, v7, v4
	v_min_i32_e32 v15, 0, v6
	v_cndmask_b32_e64 v12, v13, v12, s8
	v_cmp_lt_i32_e64 s8, v37, v8
	v_cndmask_b32_e64 v8, v10, v11, s7
	s_or_b32 s7, s9, s10
	; wave barrier
	ds_store_b64 v2, v[0:1]
	v_add_nc_u32_e32 v0, 16, v15
	s_and_b32 s7, s8, s7
	v_cndmask_b32_e64 v28, v28, v29, s12
	v_cndmask_b32_e64 v29, v30, v31, s12
	;; [unrolled: 1-line block ×5, first 2 shown]
	v_add_nc_u32_e32 v1, v7, v3
	v_add_nc_u32_e32 v3, v7, v9
	v_min_i32_e32 v0, v6, v0
	v_add_nc_u32_e32 v9, v7, v17
	v_add_nc_u32_e32 v11, v7, v21
	;; [unrolled: 1-line block ×4, first 2 shown]
	; wave barrier
	v_add_nc_u32_e32 v17, v7, v34
	v_add_nc_u32_e32 v19, v7, v10
	v_lshlrev_b16 v21, 8, v12
	v_and_b32_e32 v22, 0xff, v8
	ds_load_u8 v8, v1
	ds_load_u8 v10, v3
	;; [unrolled: 1-line block ×8, first 2 shown]
	v_cndmask_b32_e64 v18, v33, v35, s7
	v_lshlrev_b16 v3, 8, v20
	v_and_b32_e32 v16, 0xff, v16
	v_add_nc_u32_e32 v17, 16, v0
	v_or_b32_e32 v19, v22, v21
	v_lshlrev_b16 v20, 8, v28
	v_and_b32_e32 v21, 0xff, v24
	v_or_b32_e32 v16, v16, v3
	v_min_i32_e32 v3, v6, v17
	v_and_b32_e32 v17, 0xff, v32
	v_lshlrev_b16 v18, 8, v18
	v_or_b32_e32 v20, v21, v20
	v_min_i32_e32 v6, v6, v4
	v_sub_nc_u32_e32 v21, v3, v0
	v_and_b32_e32 v19, 0xffff, v19
	v_or_b32_e32 v17, v17, v18
	v_lshlrev_b32_e32 v16, 16, v16
	v_and_b32_e32 v20, 0xffff, v20
	v_sub_nc_u32_e32 v22, v6, v21
	v_sub_nc_u32_e32 v23, v0, v15
	v_lshlrev_b32_e32 v24, 16, v17
	v_cmp_ge_i32_e64 s7, v6, v21
	v_or_b32_e32 v18, v19, v16
	s_mov_b32 s9, 0
	v_min_i32_e32 v17, v6, v23
	v_or_b32_e32 v19, v20, v24
	v_cndmask_b32_e64 v16, 0, v22, s7
	s_mov_b32 s8, exec_lo
	; wave barrier
	ds_store_b64 v2, v[18:19]
	; wave barrier
	v_cmpx_lt_i32_e64 v16, v17
	s_cbranch_execz .LBB107_54
; %bb.51:
	v_add_nc_u32_e32 v18, v7, v15
	v_add3_u32 v19, v7, v0, v6
	.p2align	6
.LBB107_52:                             ; =>This Inner Loop Header: Depth=1
	v_sub_nc_u32_e32 v20, v17, v16
	s_delay_alu instid0(VALU_DEP_1) | instskip(NEXT) | instid1(VALU_DEP_1)
	v_lshrrev_b32_e32 v21, 31, v20
	v_add_nc_u32_e32 v20, v20, v21
	s_delay_alu instid0(VALU_DEP_1) | instskip(NEXT) | instid1(VALU_DEP_1)
	v_ashrrev_i32_e32 v20, 1, v20
	v_add_nc_u32_e32 v20, v20, v16
	s_delay_alu instid0(VALU_DEP_1)
	v_add_nc_u32_e32 v21, v18, v20
	v_xad_u32 v22, v20, -1, v19
	v_add_nc_u32_e32 v23, 1, v20
	ds_load_u8 v21, v21
	ds_load_u8 v22, v22
	s_waitcnt lgkmcnt(0)
	v_cmp_lt_u16_e64 s7, v22, v21
	s_delay_alu instid0(VALU_DEP_1) | instskip(SKIP_1) | instid1(VALU_DEP_1)
	v_cndmask_b32_e64 v17, v17, v20, s7
	v_cndmask_b32_e64 v16, v23, v16, s7
	v_cmp_ge_i32_e64 s7, v16, v17
	s_delay_alu instid0(VALU_DEP_1) | instskip(NEXT) | instid1(SALU_CYCLE_1)
	s_or_b32 s9, s7, s9
	s_and_not1_b32 exec_lo, exec_lo, s9
	s_cbranch_execnz .LBB107_52
; %bb.53:
	s_or_b32 exec_lo, exec_lo, s9
.LBB107_54:
	s_delay_alu instid0(SALU_CYCLE_1) | instskip(SKIP_2) | instid1(VALU_DEP_2)
	s_or_b32 exec_lo, exec_lo, s8
	v_add_nc_u32_e32 v17, v0, v6
	v_add_nc_u32_e32 v6, v16, v15
	v_sub_nc_u32_e32 v15, v17, v16
	s_delay_alu instid0(VALU_DEP_2) | instskip(SKIP_1) | instid1(VALU_DEP_3)
	v_add_nc_u32_e32 v20, v7, v6
	v_cmp_le_i32_e64 s7, v0, v6
	v_add_nc_u32_e32 v18, v7, v15
	v_cmp_gt_i32_e64 s9, v3, v15
	ds_load_u8 v16, v20
	ds_load_u8 v17, v18
	s_waitcnt lgkmcnt(1)
	v_and_b32_e32 v19, 0xff, v16
	s_waitcnt lgkmcnt(0)
	v_and_b32_e32 v21, 0xff, v17
	s_delay_alu instid0(VALU_DEP_1) | instskip(NEXT) | instid1(VALU_DEP_1)
	v_cmp_lt_u16_e64 s8, v21, v19
                                        ; implicit-def: $vgpr19
                                        ; implicit-def: $vgpr21
	s_or_b32 s7, s7, s8
	s_delay_alu instid0(SALU_CYCLE_1) | instskip(NEXT) | instid1(SALU_CYCLE_1)
	s_and_b32 s7, s9, s7
	s_xor_b32 s8, s7, -1
	s_delay_alu instid0(SALU_CYCLE_1) | instskip(NEXT) | instid1(SALU_CYCLE_1)
	s_and_saveexec_b32 s9, s8
	s_xor_b32 s8, exec_lo, s9
	s_cbranch_execz .LBB107_56
; %bb.55:
	ds_load_u8 v21, v20 offset:1
	v_mov_b32_e32 v19, v17
                                        ; implicit-def: $vgpr18
.LBB107_56:
	s_and_not1_saveexec_b32 s8, s8
	s_cbranch_execz .LBB107_58
; %bb.57:
	ds_load_u8 v19, v18 offset:1
	s_waitcnt lgkmcnt(1)
	v_mov_b32_e32 v21, v16
.LBB107_58:
	s_or_b32 exec_lo, exec_lo, s8
	v_add_nc_u32_e32 v18, 1, v6
	v_add_nc_u32_e32 v20, 1, v15
	s_waitcnt lgkmcnt(0)
	v_and_b32_e32 v24, 0xff, v21
	s_delay_alu instid0(VALU_DEP_3) | instskip(SKIP_2) | instid1(VALU_DEP_3)
	v_cndmask_b32_e64 v22, v18, v6, s7
	v_and_b32_e32 v18, 0xff, v19
	v_cndmask_b32_e64 v23, v15, v20, s7
	v_cmp_ge_i32_e64 s8, v22, v0
	s_delay_alu instid0(VALU_DEP_3) | instskip(NEXT) | instid1(VALU_DEP_3)
	v_cmp_lt_u16_e64 s9, v18, v24
	v_cmp_lt_i32_e64 s10, v23, v3
                                        ; implicit-def: $vgpr24
	s_delay_alu instid0(VALU_DEP_2)
	s_or_b32 s8, s8, s9
	s_delay_alu instid0(VALU_DEP_1) | instid1(SALU_CYCLE_1)
	s_and_b32 s9, s10, s8
	s_delay_alu instid0(SALU_CYCLE_1) | instskip(NEXT) | instid1(SALU_CYCLE_1)
	s_xor_b32 s8, s9, -1
	s_and_saveexec_b32 s10, s8
	s_delay_alu instid0(SALU_CYCLE_1)
	s_xor_b32 s8, exec_lo, s10
	s_cbranch_execz .LBB107_60
; %bb.59:
	v_add_nc_u32_e32 v18, v7, v22
	ds_load_u8 v24, v18 offset:1
.LBB107_60:
	s_or_saveexec_b32 s8, s8
	v_mov_b32_e32 v25, v19
	s_xor_b32 exec_lo, exec_lo, s8
	s_cbranch_execz .LBB107_62
; %bb.61:
	v_add_nc_u32_e32 v18, v7, v23
	s_waitcnt lgkmcnt(0)
	v_mov_b32_e32 v24, v21
	ds_load_u8 v25, v18 offset:1
.LBB107_62:
	s_or_b32 exec_lo, exec_lo, s8
	v_add_nc_u32_e32 v18, 1, v22
	v_add_nc_u32_e32 v20, 1, v23
	s_waitcnt lgkmcnt(0)
	v_and_b32_e32 v26, 0xff, v24
	v_and_b32_e32 v27, 0xff, v25
	v_cndmask_b32_e64 v18, v18, v22, s9
	v_cndmask_b32_e64 v20, v23, v20, s9
	s_delay_alu instid0(VALU_DEP_3) | instskip(NEXT) | instid1(VALU_DEP_3)
	v_cmp_lt_u16_e64 s10, v27, v26
                                        ; implicit-def: $vgpr26
	v_cmp_ge_i32_e64 s8, v18, v0
	s_delay_alu instid0(VALU_DEP_3) | instskip(NEXT) | instid1(VALU_DEP_2)
	v_cmp_lt_i32_e64 s11, v20, v3
	s_or_b32 s8, s8, s10
	s_delay_alu instid0(VALU_DEP_1) | instid1(SALU_CYCLE_1)
	s_and_b32 s8, s11, s8
	s_delay_alu instid0(SALU_CYCLE_1) | instskip(NEXT) | instid1(SALU_CYCLE_1)
	s_xor_b32 s10, s8, -1
	s_and_saveexec_b32 s11, s10
	s_delay_alu instid0(SALU_CYCLE_1)
	s_xor_b32 s10, exec_lo, s11
	s_cbranch_execz .LBB107_64
; %bb.63:
	v_add_nc_u32_e32 v26, v7, v18
	ds_load_u8 v26, v26 offset:1
.LBB107_64:
	s_or_saveexec_b32 s10, s10
	v_mov_b32_e32 v27, v25
	s_xor_b32 exec_lo, exec_lo, s10
	s_cbranch_execz .LBB107_66
; %bb.65:
	s_waitcnt lgkmcnt(0)
	v_add_nc_u32_e32 v26, v7, v20
	ds_load_u8 v27, v26 offset:1
	v_mov_b32_e32 v26, v24
.LBB107_66:
	s_or_b32 exec_lo, exec_lo, s10
	v_add_nc_u32_e32 v28, 1, v18
	v_add_nc_u32_e32 v29, 1, v20
	s_waitcnt lgkmcnt(0)
	v_and_b32_e32 v30, 0xff, v26
	v_and_b32_e32 v31, 0xff, v27
	v_cndmask_b32_e64 v28, v28, v18, s8
	v_cndmask_b32_e64 v29, v20, v29, s8
	s_delay_alu instid0(VALU_DEP_3) | instskip(NEXT) | instid1(VALU_DEP_3)
	v_cmp_lt_u16_e64 s11, v31, v30
                                        ; implicit-def: $vgpr30
	v_cmp_ge_i32_e64 s10, v28, v0
	s_delay_alu instid0(VALU_DEP_3) | instskip(NEXT) | instid1(VALU_DEP_2)
	v_cmp_lt_i32_e64 s12, v29, v3
	s_or_b32 s10, s10, s11
	s_delay_alu instid0(VALU_DEP_1) | instid1(SALU_CYCLE_1)
	s_and_b32 s10, s12, s10
	s_delay_alu instid0(SALU_CYCLE_1) | instskip(NEXT) | instid1(SALU_CYCLE_1)
	s_xor_b32 s11, s10, -1
	s_and_saveexec_b32 s12, s11
	s_delay_alu instid0(SALU_CYCLE_1)
	s_xor_b32 s11, exec_lo, s12
	s_cbranch_execz .LBB107_68
; %bb.67:
	v_add_nc_u32_e32 v30, v7, v28
	ds_load_u8 v30, v30 offset:1
.LBB107_68:
	s_or_saveexec_b32 s11, s11
	v_mov_b32_e32 v31, v27
	s_xor_b32 exec_lo, exec_lo, s11
	s_cbranch_execz .LBB107_70
; %bb.69:
	s_waitcnt lgkmcnt(0)
	v_add_nc_u32_e32 v30, v7, v29
	ds_load_u8 v31, v30 offset:1
	v_mov_b32_e32 v30, v26
.LBB107_70:
	s_or_b32 exec_lo, exec_lo, s11
	v_add_nc_u32_e32 v32, 1, v28
	v_add_nc_u32_e32 v33, 1, v29
	s_waitcnt lgkmcnt(0)
	v_and_b32_e32 v34, 0xff, v30
	v_and_b32_e32 v35, 0xff, v31
	v_cndmask_b32_e64 v32, v32, v28, s10
	v_cndmask_b32_e64 v33, v29, v33, s10
	s_delay_alu instid0(VALU_DEP_3) | instskip(NEXT) | instid1(VALU_DEP_3)
	v_cmp_lt_u16_e64 s12, v35, v34
                                        ; implicit-def: $vgpr35
	v_cmp_ge_i32_e64 s11, v32, v0
	s_delay_alu instid0(VALU_DEP_3) | instskip(NEXT) | instid1(VALU_DEP_2)
	v_cmp_lt_i32_e64 s13, v33, v3
	s_or_b32 s11, s11, s12
	s_delay_alu instid0(VALU_DEP_1) | instid1(SALU_CYCLE_1)
	s_and_b32 s11, s13, s11
	s_delay_alu instid0(SALU_CYCLE_1) | instskip(NEXT) | instid1(SALU_CYCLE_1)
	s_xor_b32 s12, s11, -1
	s_and_saveexec_b32 s13, s12
	s_delay_alu instid0(SALU_CYCLE_1)
	s_xor_b32 s12, exec_lo, s13
	s_cbranch_execz .LBB107_72
; %bb.71:
	v_add_nc_u32_e32 v34, v7, v32
	ds_load_u8 v35, v34 offset:1
.LBB107_72:
	s_or_saveexec_b32 s12, s12
	v_mov_b32_e32 v36, v31
	s_xor_b32 exec_lo, exec_lo, s12
	s_cbranch_execz .LBB107_74
; %bb.73:
	s_waitcnt lgkmcnt(0)
	v_dual_mov_b32 v35, v30 :: v_dual_add_nc_u32 v34, v7, v33
	ds_load_u8 v36, v34 offset:1
.LBB107_74:
	s_or_b32 exec_lo, exec_lo, s12
	v_add_nc_u32_e32 v34, 1, v32
	v_add_nc_u32_e32 v37, 1, v33
	s_waitcnt lgkmcnt(0)
	v_and_b32_e32 v38, 0xff, v35
                                        ; implicit-def: $vgpr43
	s_delay_alu instid0(VALU_DEP_3) | instskip(SKIP_2) | instid1(VALU_DEP_3)
	v_cndmask_b32_e64 v40, v34, v32, s11
	v_and_b32_e32 v34, 0xff, v36
	v_cndmask_b32_e64 v41, v33, v37, s11
	v_cmp_ge_i32_e64 s12, v40, v0
	s_delay_alu instid0(VALU_DEP_3) | instskip(NEXT) | instid1(VALU_DEP_3)
	v_cmp_lt_u16_e64 s13, v34, v38
	v_cmp_lt_i32_e64 s14, v41, v3
	s_delay_alu instid0(VALU_DEP_2)
	s_or_b32 s12, s12, s13
	s_delay_alu instid0(VALU_DEP_1) | instid1(SALU_CYCLE_1)
	s_and_b32 s12, s14, s12
	s_delay_alu instid0(SALU_CYCLE_1) | instskip(NEXT) | instid1(SALU_CYCLE_1)
	s_xor_b32 s13, s12, -1
	s_and_saveexec_b32 s14, s13
	s_delay_alu instid0(SALU_CYCLE_1)
	s_xor_b32 s13, exec_lo, s14
	s_cbranch_execz .LBB107_76
; %bb.75:
	v_add_nc_u32_e32 v34, v7, v40
	ds_load_u8 v43, v34 offset:1
.LBB107_76:
	s_or_saveexec_b32 s13, s13
	v_mov_b32_e32 v44, v36
	s_xor_b32 exec_lo, exec_lo, s13
	s_cbranch_execz .LBB107_78
; %bb.77:
	v_add_nc_u32_e32 v34, v7, v41
	s_waitcnt lgkmcnt(0)
	v_mov_b32_e32 v43, v35
	ds_load_u8 v44, v34 offset:1
.LBB107_78:
	s_or_b32 exec_lo, exec_lo, s13
	v_add_nc_u32_e32 v34, 1, v40
	v_add_nc_u32_e32 v37, 1, v41
	s_waitcnt lgkmcnt(0)
	v_and_b32_e32 v38, 0xff, v43
	v_and_b32_e32 v39, 0xff, v44
	v_cndmask_b32_e64 v45, v34, v40, s12
	v_cndmask_b32_e64 v34, v41, v37, s12
                                        ; implicit-def: $vgpr37
	s_delay_alu instid0(VALU_DEP_3) | instskip(NEXT) | instid1(VALU_DEP_3)
	v_cmp_lt_u16_e64 s14, v39, v38
                                        ; implicit-def: $vgpr38
	v_cmp_ge_i32_e64 s13, v45, v0
	s_delay_alu instid0(VALU_DEP_3) | instskip(NEXT) | instid1(VALU_DEP_2)
	v_cmp_lt_i32_e64 s15, v34, v3
	s_or_b32 s13, s13, s14
	s_delay_alu instid0(VALU_DEP_1) | instid1(SALU_CYCLE_1)
	s_and_b32 s13, s15, s13
	s_delay_alu instid0(SALU_CYCLE_1) | instskip(NEXT) | instid1(SALU_CYCLE_1)
	s_xor_b32 s14, s13, -1
	s_and_saveexec_b32 s15, s14
	s_delay_alu instid0(SALU_CYCLE_1)
	s_xor_b32 s14, exec_lo, s15
	s_cbranch_execz .LBB107_80
; %bb.79:
	v_add_nc_u32_e32 v37, v7, v45
	ds_load_u8 v38, v37 offset:1
	v_add_nc_u32_e32 v37, 1, v45
.LBB107_80:
	s_or_saveexec_b32 s14, s14
	v_dual_mov_b32 v39, v45 :: v_dual_mov_b32 v42, v44
	s_xor_b32 exec_lo, exec_lo, s14
	s_cbranch_execz .LBB107_82
; %bb.81:
	s_waitcnt lgkmcnt(0)
	v_dual_mov_b32 v39, v34 :: v_dual_add_nc_u32 v38, 1, v34
	s_delay_alu instid0(VALU_DEP_1)
	v_dual_mov_b32 v34, v38 :: v_dual_add_nc_u32 v37, v7, v34
	v_mov_b32_e32 v38, v43
	ds_load_u8 v42, v37 offset:1
	v_mov_b32_e32 v37, v45
.LBB107_82:
	s_or_b32 exec_lo, exec_lo, s14
	v_lshlrev_b16 v14, 8, v14
	v_and_b32_e32 v12, 0xff, v12
	v_lshlrev_b16 v13, 8, v13
	v_and_b32_e32 v11, 0xff, v11
	;; [unrolled: 2-line block ×4, first 2 shown]
	v_or_b32_e32 v12, v12, v14
	v_or_b32_e32 v11, v11, v13
	;; [unrolled: 1-line block ×3, first 2 shown]
	v_cndmask_b32_e64 v6, v6, v15, s7
	v_or_b32_e32 v1, v1, v9
	v_and_b32_e32 v10, 0xffff, v12
	v_lshlrev_b32_e32 v11, 16, v11
	v_and_b32_e32 v8, 0xffff, v8
	v_cndmask_b32_e64 v16, v16, v17, s7
	v_lshlrev_b32_e32 v12, 16, v1
	v_cndmask_b32_e64 v17, v21, v19, s9
	v_cndmask_b32_e64 v22, v22, v23, s9
	v_cmp_lt_i32_e64 s7, v34, v3
	v_cmp_ge_i32_e64 s9, v37, v0
	v_or_b32_e32 v1, v10, v11
	v_or_b32_e32 v0, v8, v12
	v_add_nc_u32_e32 v3, v7, v6
	; wave barrier
	s_waitcnt lgkmcnt(0)
	v_and_b32_e32 v9, 0xff, v38
	ds_store_b64 v2, v[0:1]
	; wave barrier
	ds_load_u8 v0, v3
	v_and_b32_e32 v13, 0xff, v42
	v_cndmask_b32_e64 v21, v26, v27, s10
	v_cndmask_b32_e64 v28, v28, v29, s10
	;; [unrolled: 1-line block ×4, first 2 shown]
	v_cmp_lt_u16_e64 s10, v13, v9
	v_cndmask_b32_e64 v24, v30, v31, s11
	v_cndmask_b32_e64 v30, v32, v33, s11
	;; [unrolled: 1-line block ×3, first 2 shown]
	v_add_nc_u32_e32 v6, v7, v22
	s_or_b32 s9, s9, s10
	v_add_nc_u32_e32 v1, v7, v1
	s_and_b32 s7, s7, s9
	v_add_nc_u32_e32 v8, v7, v28
	v_cndmask_b32_e64 v3, v37, v34, s7
	v_add_nc_u32_e32 v9, v7, v30
	v_add_nc_u32_e32 v10, v7, v27
	;; [unrolled: 1-line block ×3, first 2 shown]
	v_and_b32_e32 v12, 0xff, v16
	s_waitcnt lgkmcnt(0)
	v_add_nc_u16 v0, v0, v16
	v_add_nc_u32_e32 v3, v7, v3
	ds_load_u8 v6, v6
	ds_load_u8 v1, v1
	;; [unrolled: 1-line block ×7, first 2 shown]
	v_lshlrev_b16 v11, 8, v17
	v_lshlrev_b16 v13, 8, v21
	v_and_b32_e32 v14, 0xff, v19
	v_and_b32_e32 v0, 0xff, v0
	v_cndmask_b32_e64 v25, v35, v36, s12
	v_cndmask_b32_e64 v26, v43, v44, s13
	;; [unrolled: 1-line block ×3, first 2 shown]
	v_or_b32_e32 v12, v12, v11
	v_or_b32_e32 v13, v14, v13
	;; [unrolled: 1-line block ×3, first 2 shown]
	v_lshlrev_b16 v15, 8, v25
	v_and_b32_e32 v16, 0xff, v24
	v_and_b32_e32 v11, 0xff, v26
	v_lshlrev_b16 v2, 8, v2
	v_and_b32_e32 v12, 0xffff, v12
	v_lshlrev_b32_e32 v13, 16, v13
	v_and_b32_e32 v0, 0xffff, v0
	v_or_b32_e32 v14, v16, v15
	v_or_b32_e32 v2, v11, v2
	v_add_co_u32 v5, s7, s18, v5
	v_or_b32_e32 v11, v12, v13
	v_or_b32_e32 v0, v0, v13
	v_and_b32_e32 v12, 0xffff, v14
	v_lshlrev_b32_e32 v2, 16, v2
	s_waitcnt lgkmcnt(3)
	v_add_nc_u16 v8, v14, v8
	v_cndmask_b32_e32 v0, v11, v0, vcc_lo
	s_delay_alu instid0(VALU_DEP_3) | instskip(NEXT) | instid1(VALU_DEP_2)
	v_or_b32_e32 v2, v12, v2
	v_lshrrev_b32_e32 v11, 8, v0
	s_delay_alu instid0(VALU_DEP_2) | instskip(NEXT) | instid1(VALU_DEP_2)
	v_perm_b32 v8, v8, v2, 0x3020104
	v_add_nc_u16 v6, v11, v6
	s_delay_alu instid0(VALU_DEP_2) | instskip(SKIP_1) | instid1(VALU_DEP_3)
	v_cndmask_b32_e64 v2, v2, v8, s3
	v_and_b32_e32 v8, 0xff, v0
	v_lshlrev_b16 v6, 8, v6
	s_delay_alu instid0(VALU_DEP_3) | instskip(NEXT) | instid1(VALU_DEP_2)
	v_lshrrev_b32_e32 v11, 8, v2
	v_or_b32_e32 v6, v8, v6
	s_waitcnt lgkmcnt(2)
	s_delay_alu instid0(VALU_DEP_2) | instskip(SKIP_1) | instid1(VALU_DEP_3)
	v_add_nc_u16 v8, v11, v9
	v_and_b32_e32 v9, 0xff, v2
	v_and_b32_e32 v6, 0xffff, v6
	s_delay_alu instid0(VALU_DEP_3) | instskip(NEXT) | instid1(VALU_DEP_2)
	v_lshlrev_b16 v8, 8, v8
	v_and_or_b32 v6, 0xffff0000, v0, v6
	s_delay_alu instid0(VALU_DEP_2) | instskip(NEXT) | instid1(VALU_DEP_2)
	v_or_b32_e32 v8, v9, v8
	v_cndmask_b32_e64 v0, v0, v6, s0
	s_delay_alu instid0(VALU_DEP_2) | instskip(NEXT) | instid1(VALU_DEP_2)
	v_and_b32_e32 v6, 0xffff, v8
	v_lshrrev_b32_e32 v8, 16, v0
	s_delay_alu instid0(VALU_DEP_2) | instskip(NEXT) | instid1(VALU_DEP_2)
	v_and_or_b32 v6, 0xffff0000, v2, v6
	v_add_nc_u16 v1, v8, v1
	s_delay_alu instid0(VALU_DEP_2) | instskip(SKIP_1) | instid1(VALU_DEP_3)
	v_cndmask_b32_e64 v2, v2, v6, s4
	v_and_b32_e32 v6, 0xffffff00, v8
	v_and_b32_e32 v1, 0xff, v1
	s_delay_alu instid0(VALU_DEP_3) | instskip(NEXT) | instid1(VALU_DEP_2)
	v_lshrrev_b32_e32 v8, 16, v2
	v_or_b32_e32 v1, v1, v6
	s_waitcnt lgkmcnt(1)
	s_delay_alu instid0(VALU_DEP_2) | instskip(NEXT) | instid1(VALU_DEP_2)
	v_add_nc_u16 v6, v8, v10
	v_lshlrev_b32_e32 v1, 16, v1
	s_delay_alu instid0(VALU_DEP_2) | instskip(NEXT) | instid1(VALU_DEP_2)
	v_perm_b32 v6, v2, v6, 0x7000504
	v_and_or_b32 v1, 0xffff, v0, v1
	s_delay_alu instid0(VALU_DEP_2) | instskip(NEXT) | instid1(VALU_DEP_2)
	v_cndmask_b32_e64 v2, v2, v6, s5
	v_cndmask_b32_e64 v0, v0, v1, s1
	s_delay_alu instid0(VALU_DEP_2) | instskip(SKIP_1) | instid1(VALU_DEP_3)
	v_lshrrev_b32_e32 v1, 24, v2
	v_lshrrev_b32_e32 v8, 16, v2
	;; [unrolled: 1-line block ×3, first 2 shown]
	s_waitcnt lgkmcnt(0)
	s_delay_alu instid0(VALU_DEP_3) | instskip(SKIP_1) | instid1(VALU_DEP_3)
	v_add_nc_u16 v1, v1, v3
	v_lshrrev_b32_e32 v3, 16, v0
	v_add_nc_u16 v6, v6, v7
	v_and_b32_e32 v7, 0xff, v8
	s_delay_alu instid0(VALU_DEP_4) | instskip(NEXT) | instid1(VALU_DEP_4)
	v_lshlrev_b16 v1, 8, v1
	v_and_b32_e32 v3, 0xff, v3
	s_delay_alu instid0(VALU_DEP_4) | instskip(NEXT) | instid1(VALU_DEP_3)
	v_lshlrev_b16 v6, 8, v6
	v_or_b32_e32 v1, v7, v1
	s_delay_alu instid0(VALU_DEP_2) | instskip(SKIP_1) | instid1(VALU_DEP_3)
	v_or_b32_e32 v3, v3, v6
	v_add_co_ci_u32_e64 v6, null, s19, 0, s7
	v_lshlrev_b32_e32 v1, 16, v1
	s_delay_alu instid0(VALU_DEP_3) | instskip(NEXT) | instid1(VALU_DEP_2)
	v_lshlrev_b32_e32 v3, 16, v3
	v_and_or_b32 v1, 0xffff, v2, v1
	s_delay_alu instid0(VALU_DEP_2) | instskip(NEXT) | instid1(VALU_DEP_2)
	v_and_or_b32 v3, 0xffff, v0, v3
	v_cndmask_b32_e64 v2, v2, v1, s6
	s_delay_alu instid0(VALU_DEP_2) | instskip(SKIP_1) | instid1(VALU_DEP_1)
	v_cndmask_b32_e64 v3, v0, v3, s2
	v_add_co_u32 v0, s7, v5, v4
	v_add_co_ci_u32_e64 v1, s7, 0, v6, s7
	s_and_saveexec_b32 s7, vcc_lo
	s_cbranch_execnz .LBB107_91
; %bb.83:
	s_or_b32 exec_lo, exec_lo, s7
	s_and_saveexec_b32 s7, s0
	s_cbranch_execnz .LBB107_92
.LBB107_84:
	s_or_b32 exec_lo, exec_lo, s7
	s_and_saveexec_b32 s0, s1
	s_cbranch_execnz .LBB107_93
.LBB107_85:
	s_or_b32 exec_lo, exec_lo, s0
	s_and_saveexec_b32 s0, s2
	s_cbranch_execnz .LBB107_94
.LBB107_86:
	s_or_b32 exec_lo, exec_lo, s0
	s_and_saveexec_b32 s0, s3
	s_cbranch_execnz .LBB107_95
.LBB107_87:
	s_or_b32 exec_lo, exec_lo, s0
	s_and_saveexec_b32 s0, s4
	s_cbranch_execnz .LBB107_96
.LBB107_88:
	s_or_b32 exec_lo, exec_lo, s0
	s_and_saveexec_b32 s0, s5
	s_cbranch_execnz .LBB107_97
.LBB107_89:
	s_or_b32 exec_lo, exec_lo, s0
	s_and_saveexec_b32 s0, s6
	s_cbranch_execnz .LBB107_98
.LBB107_90:
	s_nop 0
	s_sendmsg sendmsg(MSG_DEALLOC_VGPRS)
	s_endpgm
.LBB107_91:
	global_store_b8 v[0:1], v3, off
	s_or_b32 exec_lo, exec_lo, s7
	s_and_saveexec_b32 s7, s0
	s_cbranch_execz .LBB107_84
.LBB107_92:
	v_lshrrev_b32_e32 v4, 8, v3
	global_store_b8 v[0:1], v4, off offset:1
	s_or_b32 exec_lo, exec_lo, s7
	s_and_saveexec_b32 s0, s1
	s_cbranch_execz .LBB107_85
.LBB107_93:
	global_store_d16_hi_b8 v[0:1], v3, off offset:2
	s_or_b32 exec_lo, exec_lo, s0
	s_and_saveexec_b32 s0, s2
	s_cbranch_execz .LBB107_86
.LBB107_94:
	v_lshrrev_b32_e32 v3, 24, v3
	global_store_b8 v[0:1], v3, off offset:3
	s_or_b32 exec_lo, exec_lo, s0
	s_and_saveexec_b32 s0, s3
	s_cbranch_execz .LBB107_87
.LBB107_95:
	global_store_b8 v[0:1], v2, off offset:4
	s_or_b32 exec_lo, exec_lo, s0
	s_and_saveexec_b32 s0, s4
	s_cbranch_execz .LBB107_88
.LBB107_96:
	v_lshrrev_b32_e32 v3, 8, v2
	global_store_b8 v[0:1], v3, off offset:5
	s_or_b32 exec_lo, exec_lo, s0
	s_and_saveexec_b32 s0, s5
	s_cbranch_execz .LBB107_89
.LBB107_97:
	global_store_d16_hi_b8 v[0:1], v2, off offset:6
	s_or_b32 exec_lo, exec_lo, s0
	s_and_saveexec_b32 s0, s6
	s_cbranch_execz .LBB107_90
.LBB107_98:
	v_lshrrev_b32_e32 v2, 24, v2
	global_store_b8 v[0:1], v2, off offset:7
	s_nop 0
	s_sendmsg sendmsg(MSG_DEALLOC_VGPRS)
	s_endpgm
	.section	.rodata,"a",@progbits
	.p2align	6, 0x0
	.amdhsa_kernel _Z20sort_pairs_segmentedILj256ELj4ELj8EhN10test_utils4lessEEvPKT2_PS2_PKjT3_
		.amdhsa_group_segment_fixed_size 2112
		.amdhsa_private_segment_fixed_size 0
		.amdhsa_kernarg_size 28
		.amdhsa_user_sgpr_count 15
		.amdhsa_user_sgpr_dispatch_ptr 0
		.amdhsa_user_sgpr_queue_ptr 0
		.amdhsa_user_sgpr_kernarg_segment_ptr 1
		.amdhsa_user_sgpr_dispatch_id 0
		.amdhsa_user_sgpr_private_segment_size 0
		.amdhsa_wavefront_size32 1
		.amdhsa_uses_dynamic_stack 0
		.amdhsa_enable_private_segment 0
		.amdhsa_system_sgpr_workgroup_id_x 1
		.amdhsa_system_sgpr_workgroup_id_y 0
		.amdhsa_system_sgpr_workgroup_id_z 0
		.amdhsa_system_sgpr_workgroup_info 0
		.amdhsa_system_vgpr_workitem_id 0
		.amdhsa_next_free_vgpr 46
		.amdhsa_next_free_sgpr 20
		.amdhsa_reserve_vcc 1
		.amdhsa_float_round_mode_32 0
		.amdhsa_float_round_mode_16_64 0
		.amdhsa_float_denorm_mode_32 3
		.amdhsa_float_denorm_mode_16_64 3
		.amdhsa_dx10_clamp 1
		.amdhsa_ieee_mode 1
		.amdhsa_fp16_overflow 0
		.amdhsa_workgroup_processor_mode 1
		.amdhsa_memory_ordered 1
		.amdhsa_forward_progress 0
		.amdhsa_shared_vgpr_count 0
		.amdhsa_exception_fp_ieee_invalid_op 0
		.amdhsa_exception_fp_denorm_src 0
		.amdhsa_exception_fp_ieee_div_zero 0
		.amdhsa_exception_fp_ieee_overflow 0
		.amdhsa_exception_fp_ieee_underflow 0
		.amdhsa_exception_fp_ieee_inexact 0
		.amdhsa_exception_int_div_zero 0
	.end_amdhsa_kernel
	.section	.text._Z20sort_pairs_segmentedILj256ELj4ELj8EhN10test_utils4lessEEvPKT2_PS2_PKjT3_,"axG",@progbits,_Z20sort_pairs_segmentedILj256ELj4ELj8EhN10test_utils4lessEEvPKT2_PS2_PKjT3_,comdat
.Lfunc_end107:
	.size	_Z20sort_pairs_segmentedILj256ELj4ELj8EhN10test_utils4lessEEvPKT2_PS2_PKjT3_, .Lfunc_end107-_Z20sort_pairs_segmentedILj256ELj4ELj8EhN10test_utils4lessEEvPKT2_PS2_PKjT3_
                                        ; -- End function
	.section	.AMDGPU.csdata,"",@progbits
; Kernel info:
; codeLenInByte = 8620
; NumSgprs: 22
; NumVgprs: 46
; ScratchSize: 0
; MemoryBound: 0
; FloatMode: 240
; IeeeMode: 1
; LDSByteSize: 2112 bytes/workgroup (compile time only)
; SGPRBlocks: 2
; VGPRBlocks: 5
; NumSGPRsForWavesPerEU: 22
; NumVGPRsForWavesPerEU: 46
; Occupancy: 16
; WaveLimiterHint : 0
; COMPUTE_PGM_RSRC2:SCRATCH_EN: 0
; COMPUTE_PGM_RSRC2:USER_SGPR: 15
; COMPUTE_PGM_RSRC2:TRAP_HANDLER: 0
; COMPUTE_PGM_RSRC2:TGID_X_EN: 1
; COMPUTE_PGM_RSRC2:TGID_Y_EN: 0
; COMPUTE_PGM_RSRC2:TGID_Z_EN: 0
; COMPUTE_PGM_RSRC2:TIDIG_COMP_CNT: 0
	.section	.text._Z9sort_keysILj256ELj16ELj1EhN10test_utils4lessEEvPKT2_PS2_T3_,"axG",@progbits,_Z9sort_keysILj256ELj16ELj1EhN10test_utils4lessEEvPKT2_PS2_T3_,comdat
	.protected	_Z9sort_keysILj256ELj16ELj1EhN10test_utils4lessEEvPKT2_PS2_T3_ ; -- Begin function _Z9sort_keysILj256ELj16ELj1EhN10test_utils4lessEEvPKT2_PS2_T3_
	.globl	_Z9sort_keysILj256ELj16ELj1EhN10test_utils4lessEEvPKT2_PS2_T3_
	.p2align	8
	.type	_Z9sort_keysILj256ELj16ELj1EhN10test_utils4lessEEvPKT2_PS2_T3_,@function
_Z9sort_keysILj256ELj16ELj1EhN10test_utils4lessEEvPKT2_PS2_T3_: ; @_Z9sort_keysILj256ELj16ELj1EhN10test_utils4lessEEvPKT2_PS2_T3_
; %bb.0:
	s_load_b128 s[0:3], s[0:1], 0x0
	s_lshl_b32 s4, s15, 8
	v_mbcnt_lo_u32_b32 v4, -1, 0
	v_lshrrev_b32_e32 v11, 4, v0
	s_delay_alu instid0(VALU_DEP_2) | instskip(SKIP_1) | instid1(VALU_DEP_2)
	v_and_b32_e32 v7, 14, v4
	v_and_b32_e32 v5, 1, v4
	v_or_b32_e32 v6, 1, v7
	s_delay_alu instid0(VALU_DEP_1)
	v_sub_nc_u32_e32 v1, v7, v6
	v_sub_nc_u32_e32 v3, v6, v7
	s_waitcnt lgkmcnt(0)
	s_add_u32 s0, s0, s4
	s_addc_u32 s1, s1, 0
	v_add_nc_u32_e32 v2, 2, v1
	global_load_u8 v10, v0, s[0:1]
	v_and_b32_e32 v1, 15, v4
	v_min_i32_e32 v8, v5, v3
	s_mov_b32 s0, 0
	v_sub_nc_u32_e32 v9, v5, v2
	v_cmp_ge_i32_e32 vcc_lo, v5, v2
	v_mad_u32_u24 v3, v11, 17, v1
	v_mul_u32_u24_e32 v2, 17, v11
	s_mov_b32 s1, exec_lo
	v_cndmask_b32_e32 v9, 0, v9, vcc_lo
	; wave barrier
	s_waitcnt vmcnt(0)
	ds_store_b8 v3, v10
	; wave barrier
	v_cmpx_lt_i32_e64 v9, v8
	s_cbranch_execz .LBB108_4
; %bb.1:
	v_add_nc_u32_e32 v10, v2, v7
	s_delay_alu instid0(VALU_DEP_1)
	v_add3_u32 v11, v10, v5, 1
	.p2align	6
.LBB108_2:                              ; =>This Inner Loop Header: Depth=1
	v_sub_nc_u32_e32 v12, v8, v9
	s_delay_alu instid0(VALU_DEP_1) | instskip(NEXT) | instid1(VALU_DEP_1)
	v_lshrrev_b32_e32 v13, 31, v12
	v_add_nc_u32_e32 v12, v12, v13
	s_delay_alu instid0(VALU_DEP_1) | instskip(NEXT) | instid1(VALU_DEP_1)
	v_ashrrev_i32_e32 v12, 1, v12
	v_add_nc_u32_e32 v12, v12, v9
	s_delay_alu instid0(VALU_DEP_1)
	v_add_nc_u32_e32 v13, v10, v12
	v_xad_u32 v14, v12, -1, v11
	v_add_nc_u32_e32 v15, 1, v12
	ds_load_u8 v13, v13
	ds_load_u8 v14, v14
	s_waitcnt lgkmcnt(0)
	v_cmp_lt_u16_e32 vcc_lo, v14, v13
	v_dual_cndmask_b32 v8, v8, v12 :: v_dual_cndmask_b32 v9, v15, v9
	s_delay_alu instid0(VALU_DEP_1) | instskip(SKIP_1) | instid1(SALU_CYCLE_1)
	v_cmp_ge_i32_e32 vcc_lo, v9, v8
	s_or_b32 s0, vcc_lo, s0
	s_and_not1_b32 exec_lo, exec_lo, s0
	s_cbranch_execnz .LBB108_2
; %bb.3:
	s_or_b32 exec_lo, exec_lo, s0
.LBB108_4:
	s_delay_alu instid0(SALU_CYCLE_1)
	s_or_b32 exec_lo, exec_lo, s1
	v_add_nc_u32_e32 v8, v7, v5
	v_add3_u32 v7, v2, v9, v7
	v_and_b32_e32 v10, 12, v4
	v_add_nc_u32_e32 v13, v6, v5
	v_cmp_lt_i32_e32 vcc_lo, 0, v9
	v_sub_nc_u32_e32 v8, v8, v9
	s_delay_alu instid0(VALU_DEP_4) | instskip(NEXT) | instid1(VALU_DEP_4)
	v_add_nc_u32_e32 v5, 4, v10
	v_sub_nc_u32_e32 v9, v13, v9
	s_delay_alu instid0(VALU_DEP_3)
	v_add_nc_u32_e32 v8, v2, v8
	ds_load_u8 v11, v7
	ds_load_u8 v12, v8 offset:1
	v_or_b32_e32 v7, 2, v10
	v_and_b32_e32 v8, 3, v4
	v_cmp_ge_i32_e64 s1, v6, v9
	; wave barrier
	s_delay_alu instid0(VALU_DEP_3) | instskip(SKIP_1) | instid1(VALU_DEP_1)
	v_sub_nc_u32_e32 v16, v5, v7
	v_sub_nc_u32_e32 v13, v7, v10
	v_min_i32_e32 v6, v8, v13
	s_waitcnt lgkmcnt(1)
	v_and_b32_e32 v14, 0xff, v11
	s_waitcnt lgkmcnt(0)
	v_and_b32_e32 v15, 0xff, v12
	s_delay_alu instid0(VALU_DEP_1) | instskip(SKIP_1) | instid1(VALU_DEP_2)
	v_cmp_lt_u16_e64 s0, v15, v14
	v_sub_nc_u32_e32 v14, v8, v16
	s_or_b32 s0, vcc_lo, s0
	v_cmp_ge_i32_e32 vcc_lo, v8, v16
	s_delay_alu instid0(VALU_DEP_2)
	v_cndmask_b32_e32 v9, 0, v14, vcc_lo
	s_and_b32 vcc_lo, s1, s0
	s_mov_b32 s0, 0
	v_cndmask_b32_e32 v11, v11, v12, vcc_lo
	s_mov_b32 s1, exec_lo
	ds_store_b8 v3, v11
	; wave barrier
	v_cmpx_lt_i32_e64 v9, v6
	s_cbranch_execz .LBB108_8
; %bb.5:
	v_add_nc_u32_e32 v11, v2, v10
	s_delay_alu instid0(VALU_DEP_1)
	v_add3_u32 v12, v11, v8, 2
	.p2align	6
.LBB108_6:                              ; =>This Inner Loop Header: Depth=1
	v_sub_nc_u32_e32 v13, v6, v9
	s_delay_alu instid0(VALU_DEP_1) | instskip(NEXT) | instid1(VALU_DEP_1)
	v_lshrrev_b32_e32 v14, 31, v13
	v_add_nc_u32_e32 v13, v13, v14
	s_delay_alu instid0(VALU_DEP_1) | instskip(NEXT) | instid1(VALU_DEP_1)
	v_ashrrev_i32_e32 v13, 1, v13
	v_add_nc_u32_e32 v13, v13, v9
	s_delay_alu instid0(VALU_DEP_1)
	v_add_nc_u32_e32 v14, v11, v13
	v_xad_u32 v15, v13, -1, v12
	v_add_nc_u32_e32 v16, 1, v13
	ds_load_u8 v14, v14
	ds_load_u8 v15, v15
	s_waitcnt lgkmcnt(0)
	v_cmp_lt_u16_e32 vcc_lo, v15, v14
	v_cndmask_b32_e32 v6, v6, v13, vcc_lo
	v_cndmask_b32_e32 v9, v16, v9, vcc_lo
	s_delay_alu instid0(VALU_DEP_1) | instskip(SKIP_1) | instid1(SALU_CYCLE_1)
	v_cmp_ge_i32_e32 vcc_lo, v9, v6
	s_or_b32 s0, vcc_lo, s0
	s_and_not1_b32 exec_lo, exec_lo, s0
	s_cbranch_execnz .LBB108_6
; %bb.7:
	s_or_b32 exec_lo, exec_lo, s0
.LBB108_8:
	s_delay_alu instid0(SALU_CYCLE_1) | instskip(SKIP_4) | instid1(VALU_DEP_4)
	s_or_b32 exec_lo, exec_lo, s1
	v_add_nc_u32_e32 v6, v10, v8
	v_add3_u32 v10, v2, v9, v10
	v_add_nc_u32_e32 v8, v7, v8
	v_cmp_lt_i32_e32 vcc_lo, 1, v9
	v_sub_nc_u32_e32 v6, v6, v9
	s_delay_alu instid0(VALU_DEP_3) | instskip(NEXT) | instid1(VALU_DEP_2)
	v_sub_nc_u32_e32 v8, v8, v9
	v_add_nc_u32_e32 v6, v2, v6
	ds_load_u8 v11, v10
	ds_load_u8 v12, v6 offset:2
	v_and_b32_e32 v10, 8, v4
	v_and_b32_e32 v4, 7, v4
	v_cmp_gt_i32_e64 s1, v5, v8
	; wave barrier
	s_delay_alu instid0(VALU_DEP_3) | instskip(SKIP_1) | instid1(VALU_DEP_2)
	v_or_b32_e32 v7, 4, v10
	v_add_nc_u32_e32 v6, 8, v10
	v_sub_nc_u32_e32 v9, v7, v10
	s_delay_alu instid0(VALU_DEP_2) | instskip(NEXT) | instid1(VALU_DEP_2)
	v_sub_nc_u32_e32 v15, v6, v7
	v_min_i32_e32 v8, v4, v9
	s_waitcnt lgkmcnt(1)
	v_and_b32_e32 v13, 0xff, v11
	s_waitcnt lgkmcnt(0)
	v_and_b32_e32 v14, 0xff, v12
	s_delay_alu instid0(VALU_DEP_1) | instskip(SKIP_1) | instid1(VALU_DEP_2)
	v_cmp_lt_u16_e64 s0, v14, v13
	v_sub_nc_u32_e32 v13, v4, v15
	s_or_b32 s0, vcc_lo, s0
	v_cmp_ge_i32_e32 vcc_lo, v4, v15
	s_delay_alu instid0(VALU_DEP_2)
	v_cndmask_b32_e32 v5, 0, v13, vcc_lo
	s_and_b32 vcc_lo, s1, s0
	s_mov_b32 s0, 0
	v_cndmask_b32_e32 v9, v11, v12, vcc_lo
	s_mov_b32 s1, exec_lo
	ds_store_b8 v3, v9
	; wave barrier
	v_cmpx_lt_i32_e64 v5, v8
	s_cbranch_execz .LBB108_12
; %bb.9:
	v_add_nc_u32_e32 v9, v2, v10
	s_delay_alu instid0(VALU_DEP_1)
	v_add3_u32 v11, v9, v4, 4
	.p2align	6
.LBB108_10:                             ; =>This Inner Loop Header: Depth=1
	v_sub_nc_u32_e32 v12, v8, v5
	s_delay_alu instid0(VALU_DEP_1) | instskip(NEXT) | instid1(VALU_DEP_1)
	v_lshrrev_b32_e32 v13, 31, v12
	v_add_nc_u32_e32 v12, v12, v13
	s_delay_alu instid0(VALU_DEP_1) | instskip(NEXT) | instid1(VALU_DEP_1)
	v_ashrrev_i32_e32 v12, 1, v12
	v_add_nc_u32_e32 v12, v12, v5
	s_delay_alu instid0(VALU_DEP_1)
	v_add_nc_u32_e32 v13, v9, v12
	v_xad_u32 v14, v12, -1, v11
	v_add_nc_u32_e32 v15, 1, v12
	ds_load_u8 v13, v13
	ds_load_u8 v14, v14
	s_waitcnt lgkmcnt(0)
	v_cmp_lt_u16_e32 vcc_lo, v14, v13
	v_dual_cndmask_b32 v8, v8, v12 :: v_dual_cndmask_b32 v5, v15, v5
	s_delay_alu instid0(VALU_DEP_1) | instskip(SKIP_1) | instid1(SALU_CYCLE_1)
	v_cmp_ge_i32_e32 vcc_lo, v5, v8
	s_or_b32 s0, vcc_lo, s0
	s_and_not1_b32 exec_lo, exec_lo, s0
	s_cbranch_execnz .LBB108_10
; %bb.11:
	s_or_b32 exec_lo, exec_lo, s0
.LBB108_12:
	s_delay_alu instid0(SALU_CYCLE_1) | instskip(SKIP_4) | instid1(VALU_DEP_4)
	s_or_b32 exec_lo, exec_lo, s1
	v_add_nc_u32_e32 v8, v10, v4
	v_add3_u32 v9, v2, v5, v10
	v_add_nc_u32_e32 v4, v7, v4
	v_cmp_lt_i32_e32 vcc_lo, 3, v5
	v_sub_nc_u32_e32 v8, v8, v5
	s_delay_alu instid0(VALU_DEP_3) | instskip(SKIP_1) | instid1(VALU_DEP_3)
	v_sub_nc_u32_e32 v4, v4, v5
	v_min_i32_e32 v5, 8, v1
	v_add_nc_u32_e32 v8, v2, v8
	ds_load_u8 v9, v9
	ds_load_u8 v8, v8 offset:4
	v_cmp_gt_i32_e64 s1, v6, v4
	v_sub_nc_u32_e64 v4, v1, 8 clamp
	; wave barrier
	s_waitcnt lgkmcnt(1)
	v_and_b32_e32 v7, 0xff, v9
	s_waitcnt lgkmcnt(0)
	v_and_b32_e32 v10, 0xff, v8
	s_delay_alu instid0(VALU_DEP_1) | instskip(NEXT) | instid1(VALU_DEP_1)
	v_cmp_lt_u16_e64 s0, v10, v7
	s_or_b32 s0, vcc_lo, s0
	s_delay_alu instid0(SALU_CYCLE_1)
	s_and_b32 vcc_lo, s1, s0
	v_dual_cndmask_b32 v7, v9, v8 :: v_dual_add_nc_u32 v6, v2, v1
	s_mov_b32 s0, exec_lo
	ds_store_b8 v6, v7
	; wave barrier
	v_cmpx_lt_u32_e64 v4, v5
	s_cbranch_execz .LBB108_16
; %bb.13:
	s_mov_b32 s1, 0
	.p2align	6
.LBB108_14:                             ; =>This Inner Loop Header: Depth=1
	v_sub_nc_u32_e32 v6, v5, v4
	s_delay_alu instid0(VALU_DEP_1) | instskip(NEXT) | instid1(VALU_DEP_1)
	v_lshrrev_b32_e32 v7, 31, v6
	v_add_nc_u32_e32 v6, v6, v7
	s_delay_alu instid0(VALU_DEP_1) | instskip(NEXT) | instid1(VALU_DEP_1)
	v_ashrrev_i32_e32 v6, 1, v6
	v_add_nc_u32_e32 v6, v6, v4
	s_delay_alu instid0(VALU_DEP_1)
	v_add_nc_u32_e32 v9, 1, v6
	v_add_nc_u32_e32 v7, v2, v6
	v_xad_u32 v8, v6, -1, v3
	ds_load_u8 v7, v7
	ds_load_u8 v8, v8 offset:8
	s_waitcnt lgkmcnt(0)
	v_cmp_lt_u16_e32 vcc_lo, v8, v7
	v_cndmask_b32_e32 v4, v9, v4, vcc_lo
	v_cndmask_b32_e32 v5, v5, v6, vcc_lo
	s_delay_alu instid0(VALU_DEP_1) | instskip(SKIP_1) | instid1(SALU_CYCLE_1)
	v_cmp_ge_i32_e32 vcc_lo, v4, v5
	s_or_b32 s1, vcc_lo, s1
	s_and_not1_b32 exec_lo, exec_lo, s1
	s_cbranch_execnz .LBB108_14
; %bb.15:
	s_or_b32 exec_lo, exec_lo, s1
.LBB108_16:
	s_delay_alu instid0(SALU_CYCLE_1) | instskip(SKIP_3) | instid1(VALU_DEP_3)
	s_or_b32 exec_lo, exec_lo, s0
	v_sub_nc_u32_e32 v1, v1, v4
	v_add_nc_u32_e32 v3, v2, v4
	v_cmp_lt_i32_e32 vcc_lo, 7, v4
	v_add_nc_u32_e32 v2, v2, v1
	v_add_nc_u32_e32 v1, 8, v1
	ds_load_u8 v3, v3
	ds_load_u8 v2, v2 offset:8
	v_cmp_gt_i32_e64 s1, 16, v1
	s_waitcnt lgkmcnt(1)
	v_and_b32_e32 v5, 0xff, v3
	s_waitcnt lgkmcnt(0)
	v_and_b32_e32 v6, 0xff, v2
	s_delay_alu instid0(VALU_DEP_1) | instskip(NEXT) | instid1(VALU_DEP_1)
	v_cmp_lt_u16_e64 s0, v6, v5
	s_or_b32 s0, vcc_lo, s0
	s_delay_alu instid0(SALU_CYCLE_1) | instskip(SKIP_4) | instid1(VALU_DEP_1)
	s_and_b32 vcc_lo, s1, s0
	s_add_u32 s0, s2, s4
	v_cndmask_b32_e32 v2, v3, v2, vcc_lo
	s_addc_u32 s1, s3, 0
	v_add_co_u32 v0, s0, s0, v0
	v_add_co_ci_u32_e64 v1, null, s1, 0, s0
	global_store_b8 v[0:1], v2, off
	s_nop 0
	s_sendmsg sendmsg(MSG_DEALLOC_VGPRS)
	s_endpgm
	.section	.rodata,"a",@progbits
	.p2align	6, 0x0
	.amdhsa_kernel _Z9sort_keysILj256ELj16ELj1EhN10test_utils4lessEEvPKT2_PS2_T3_
		.amdhsa_group_segment_fixed_size 272
		.amdhsa_private_segment_fixed_size 0
		.amdhsa_kernarg_size 20
		.amdhsa_user_sgpr_count 15
		.amdhsa_user_sgpr_dispatch_ptr 0
		.amdhsa_user_sgpr_queue_ptr 0
		.amdhsa_user_sgpr_kernarg_segment_ptr 1
		.amdhsa_user_sgpr_dispatch_id 0
		.amdhsa_user_sgpr_private_segment_size 0
		.amdhsa_wavefront_size32 1
		.amdhsa_uses_dynamic_stack 0
		.amdhsa_enable_private_segment 0
		.amdhsa_system_sgpr_workgroup_id_x 1
		.amdhsa_system_sgpr_workgroup_id_y 0
		.amdhsa_system_sgpr_workgroup_id_z 0
		.amdhsa_system_sgpr_workgroup_info 0
		.amdhsa_system_vgpr_workitem_id 0
		.amdhsa_next_free_vgpr 17
		.amdhsa_next_free_sgpr 16
		.amdhsa_reserve_vcc 1
		.amdhsa_float_round_mode_32 0
		.amdhsa_float_round_mode_16_64 0
		.amdhsa_float_denorm_mode_32 3
		.amdhsa_float_denorm_mode_16_64 3
		.amdhsa_dx10_clamp 1
		.amdhsa_ieee_mode 1
		.amdhsa_fp16_overflow 0
		.amdhsa_workgroup_processor_mode 1
		.amdhsa_memory_ordered 1
		.amdhsa_forward_progress 0
		.amdhsa_shared_vgpr_count 0
		.amdhsa_exception_fp_ieee_invalid_op 0
		.amdhsa_exception_fp_denorm_src 0
		.amdhsa_exception_fp_ieee_div_zero 0
		.amdhsa_exception_fp_ieee_overflow 0
		.amdhsa_exception_fp_ieee_underflow 0
		.amdhsa_exception_fp_ieee_inexact 0
		.amdhsa_exception_int_div_zero 0
	.end_amdhsa_kernel
	.section	.text._Z9sort_keysILj256ELj16ELj1EhN10test_utils4lessEEvPKT2_PS2_T3_,"axG",@progbits,_Z9sort_keysILj256ELj16ELj1EhN10test_utils4lessEEvPKT2_PS2_T3_,comdat
.Lfunc_end108:
	.size	_Z9sort_keysILj256ELj16ELj1EhN10test_utils4lessEEvPKT2_PS2_T3_, .Lfunc_end108-_Z9sort_keysILj256ELj16ELj1EhN10test_utils4lessEEvPKT2_PS2_T3_
                                        ; -- End function
	.section	.AMDGPU.csdata,"",@progbits
; Kernel info:
; codeLenInByte = 1308
; NumSgprs: 18
; NumVgprs: 17
; ScratchSize: 0
; MemoryBound: 0
; FloatMode: 240
; IeeeMode: 1
; LDSByteSize: 272 bytes/workgroup (compile time only)
; SGPRBlocks: 2
; VGPRBlocks: 2
; NumSGPRsForWavesPerEU: 18
; NumVGPRsForWavesPerEU: 17
; Occupancy: 16
; WaveLimiterHint : 0
; COMPUTE_PGM_RSRC2:SCRATCH_EN: 0
; COMPUTE_PGM_RSRC2:USER_SGPR: 15
; COMPUTE_PGM_RSRC2:TRAP_HANDLER: 0
; COMPUTE_PGM_RSRC2:TGID_X_EN: 1
; COMPUTE_PGM_RSRC2:TGID_Y_EN: 0
; COMPUTE_PGM_RSRC2:TGID_Z_EN: 0
; COMPUTE_PGM_RSRC2:TIDIG_COMP_CNT: 0
	.section	.text._Z10sort_pairsILj256ELj16ELj1EhN10test_utils4lessEEvPKT2_PS2_T3_,"axG",@progbits,_Z10sort_pairsILj256ELj16ELj1EhN10test_utils4lessEEvPKT2_PS2_T3_,comdat
	.protected	_Z10sort_pairsILj256ELj16ELj1EhN10test_utils4lessEEvPKT2_PS2_T3_ ; -- Begin function _Z10sort_pairsILj256ELj16ELj1EhN10test_utils4lessEEvPKT2_PS2_T3_
	.globl	_Z10sort_pairsILj256ELj16ELj1EhN10test_utils4lessEEvPKT2_PS2_T3_
	.p2align	8
	.type	_Z10sort_pairsILj256ELj16ELj1EhN10test_utils4lessEEvPKT2_PS2_T3_,@function
_Z10sort_pairsILj256ELj16ELj1EhN10test_utils4lessEEvPKT2_PS2_T3_: ; @_Z10sort_pairsILj256ELj16ELj1EhN10test_utils4lessEEvPKT2_PS2_T3_
; %bb.0:
	s_load_b128 s[0:3], s[0:1], 0x0
	s_lshl_b32 s4, s15, 8
	v_mbcnt_lo_u32_b32 v4, -1, 0
	v_lshrrev_b32_e32 v11, 4, v0
	s_delay_alu instid0(VALU_DEP_2) | instskip(SKIP_2) | instid1(VALU_DEP_3)
	v_and_b32_e32 v8, 14, v4
	v_and_b32_e32 v7, 1, v4
	;; [unrolled: 1-line block ×3, first 2 shown]
	v_or_b32_e32 v6, 1, v8
	s_delay_alu instid0(VALU_DEP_1) | instskip(SKIP_3) | instid1(VALU_DEP_1)
	v_sub_nc_u32_e32 v1, v8, v6
	s_waitcnt lgkmcnt(0)
	s_add_u32 s0, s0, s4
	s_addc_u32 s1, s1, 0
	v_add_nc_u32_e32 v1, 2, v1
	global_load_u8 v5, v0, s[0:1]
	s_mov_b32 s0, 0
	s_mov_b32 s1, exec_lo
	v_sub_nc_u32_e32 v9, v7, v1
	v_cmp_ge_i32_e32 vcc_lo, v7, v1
	v_mul_u32_u24_e32 v1, 17, v11
	; wave barrier
	s_delay_alu instid0(VALU_DEP_3) | instskip(SKIP_1) | instid1(VALU_DEP_1)
	v_cndmask_b32_e32 v9, 0, v9, vcc_lo
	v_sub_nc_u32_e32 v3, v6, v8
	v_min_i32_e32 v10, v7, v3
	v_mad_u32_u24 v3, v11, 17, v2
	s_waitcnt vmcnt(0)
	ds_store_b8 v3, v5
	; wave barrier
	v_cmpx_lt_i32_e64 v9, v10
	s_cbranch_execz .LBB109_4
; %bb.1:
	v_add_nc_u32_e32 v11, v1, v8
	s_delay_alu instid0(VALU_DEP_1)
	v_add3_u32 v12, v11, v7, 1
	.p2align	6
.LBB109_2:                              ; =>This Inner Loop Header: Depth=1
	v_sub_nc_u32_e32 v13, v10, v9
	s_delay_alu instid0(VALU_DEP_1) | instskip(NEXT) | instid1(VALU_DEP_1)
	v_lshrrev_b32_e32 v14, 31, v13
	v_add_nc_u32_e32 v13, v13, v14
	s_delay_alu instid0(VALU_DEP_1) | instskip(NEXT) | instid1(VALU_DEP_1)
	v_ashrrev_i32_e32 v13, 1, v13
	v_add_nc_u32_e32 v13, v13, v9
	s_delay_alu instid0(VALU_DEP_1)
	v_add_nc_u32_e32 v14, v11, v13
	v_xad_u32 v15, v13, -1, v12
	v_add_nc_u32_e32 v16, 1, v13
	ds_load_u8 v14, v14
	ds_load_u8 v15, v15
	s_waitcnt lgkmcnt(0)
	v_cmp_lt_u16_e32 vcc_lo, v15, v14
	v_cndmask_b32_e32 v10, v10, v13, vcc_lo
	v_cndmask_b32_e32 v9, v16, v9, vcc_lo
	s_delay_alu instid0(VALU_DEP_1) | instskip(SKIP_1) | instid1(SALU_CYCLE_1)
	v_cmp_ge_i32_e32 vcc_lo, v9, v10
	s_or_b32 s0, vcc_lo, s0
	s_and_not1_b32 exec_lo, exec_lo, s0
	s_cbranch_execnz .LBB109_2
; %bb.3:
	s_or_b32 exec_lo, exec_lo, s0
.LBB109_4:
	s_delay_alu instid0(SALU_CYCLE_1) | instskip(SKIP_4) | instid1(VALU_DEP_4)
	s_or_b32 exec_lo, exec_lo, s1
	v_add_nc_u32_e32 v10, v8, v7
	v_add_nc_u32_e32 v8, v9, v8
	v_cmp_lt_i32_e32 vcc_lo, 0, v9
	v_add_nc_u16 v5, v5, 1
	v_sub_nc_u32_e32 v10, v10, v9
	s_delay_alu instid0(VALU_DEP_4) | instskip(NEXT) | instid1(VALU_DEP_2)
	v_add_nc_u32_e32 v11, v1, v8
	v_add_nc_u32_e32 v10, v1, v10
	ds_load_u8 v11, v11
	ds_load_u8 v10, v10 offset:1
	v_add_nc_u32_e32 v7, v6, v7
	; wave barrier
	ds_store_b8 v3, v5
	v_sub_nc_u32_e32 v14, v7, v9
	v_and_b32_e32 v7, 12, v4
	; wave barrier
	s_delay_alu instid0(VALU_DEP_2) | instskip(NEXT) | instid1(VALU_DEP_2)
	v_cmp_ge_i32_e64 s1, v6, v14
	v_add_nc_u32_e32 v6, 4, v7
	s_waitcnt lgkmcnt(2)
	v_and_b32_e32 v12, 0xff, v11
	s_waitcnt lgkmcnt(1)
	v_and_b32_e32 v13, 0xff, v10
	s_delay_alu instid0(VALU_DEP_1) | instskip(NEXT) | instid1(VALU_DEP_1)
	v_cmp_lt_u16_e64 s0, v13, v12
	s_or_b32 s0, vcc_lo, s0
	s_delay_alu instid0(SALU_CYCLE_1)
	s_and_b32 vcc_lo, s1, s0
	s_mov_b32 s0, 0
	v_cndmask_b32_e32 v9, v8, v14, vcc_lo
	v_or_b32_e32 v8, 2, v7
	v_cndmask_b32_e32 v12, v11, v10, vcc_lo
	s_mov_b32 s1, exec_lo
	s_delay_alu instid0(VALU_DEP_3)
	v_add_nc_u32_e32 v5, v1, v9
	v_and_b32_e32 v9, 3, v4
	v_sub_nc_u32_e32 v10, v6, v8
	v_sub_nc_u32_e32 v13, v8, v7
	ds_load_u8 v5, v5
	v_sub_nc_u32_e32 v11, v9, v10
	v_cmp_ge_i32_e32 vcc_lo, v9, v10
	; wave barrier
	ds_store_b8 v3, v12
	; wave barrier
	v_cndmask_b32_e32 v10, 0, v11, vcc_lo
	v_min_i32_e32 v11, v9, v13
	s_delay_alu instid0(VALU_DEP_1)
	v_cmpx_lt_i32_e64 v10, v11
	s_cbranch_execz .LBB109_8
; %bb.5:
	v_add_nc_u32_e32 v12, v1, v7
	s_delay_alu instid0(VALU_DEP_1)
	v_add3_u32 v13, v12, v9, 2
	.p2align	6
.LBB109_6:                              ; =>This Inner Loop Header: Depth=1
	v_sub_nc_u32_e32 v14, v11, v10
	s_delay_alu instid0(VALU_DEP_1) | instskip(NEXT) | instid1(VALU_DEP_1)
	v_lshrrev_b32_e32 v15, 31, v14
	v_add_nc_u32_e32 v14, v14, v15
	s_delay_alu instid0(VALU_DEP_1) | instskip(NEXT) | instid1(VALU_DEP_1)
	v_ashrrev_i32_e32 v14, 1, v14
	v_add_nc_u32_e32 v14, v14, v10
	s_delay_alu instid0(VALU_DEP_1)
	v_add_nc_u32_e32 v15, v12, v14
	v_xad_u32 v16, v14, -1, v13
	v_add_nc_u32_e32 v17, 1, v14
	ds_load_u8 v15, v15
	ds_load_u8 v16, v16
	s_waitcnt lgkmcnt(0)
	v_cmp_lt_u16_e32 vcc_lo, v16, v15
	v_cndmask_b32_e32 v11, v11, v14, vcc_lo
	v_cndmask_b32_e32 v10, v17, v10, vcc_lo
	s_delay_alu instid0(VALU_DEP_1) | instskip(SKIP_1) | instid1(SALU_CYCLE_1)
	v_cmp_ge_i32_e32 vcc_lo, v10, v11
	s_or_b32 s0, vcc_lo, s0
	s_and_not1_b32 exec_lo, exec_lo, s0
	s_cbranch_execnz .LBB109_6
; %bb.7:
	s_or_b32 exec_lo, exec_lo, s0
.LBB109_8:
	s_delay_alu instid0(SALU_CYCLE_1) | instskip(SKIP_3) | instid1(VALU_DEP_3)
	s_or_b32 exec_lo, exec_lo, s1
	v_add_nc_u32_e32 v11, v7, v9
	v_add_nc_u32_e32 v12, v10, v7
	v_cmp_lt_i32_e32 vcc_lo, 1, v10
	v_sub_nc_u32_e32 v7, v11, v10
	s_delay_alu instid0(VALU_DEP_3) | instskip(NEXT) | instid1(VALU_DEP_2)
	v_add_nc_u32_e32 v11, v1, v12
	v_add_nc_u32_e32 v7, v1, v7
	ds_load_u8 v11, v11
	ds_load_u8 v13, v7 offset:2
	v_add_nc_u32_e32 v7, v8, v9
	; wave barrier
	s_waitcnt lgkmcnt(3)
	ds_store_b8 v3, v5
	v_sub_nc_u32_e32 v14, v7, v10
	v_and_b32_e32 v7, 8, v4
	; wave barrier
	v_and_b32_e32 v4, 7, v4
	s_delay_alu instid0(VALU_DEP_3) | instskip(NEXT) | instid1(VALU_DEP_3)
	v_cmp_gt_i32_e64 s1, v6, v14
	v_add_nc_u32_e32 v6, 8, v7
	s_waitcnt lgkmcnt(2)
	v_and_b32_e32 v8, 0xff, v11
	s_waitcnt lgkmcnt(1)
	v_and_b32_e32 v9, 0xff, v13
	s_delay_alu instid0(VALU_DEP_1) | instskip(SKIP_1) | instid1(VALU_DEP_2)
	v_cmp_lt_u16_e64 s0, v9, v8
	v_or_b32_e32 v8, 4, v7
	s_or_b32 s0, vcc_lo, s0
	s_delay_alu instid0(SALU_CYCLE_1)
	s_and_b32 vcc_lo, s1, s0
	s_mov_b32 s1, 0
	v_cndmask_b32_e32 v11, v11, v13, vcc_lo
	v_cndmask_b32_e32 v9, v12, v14, vcc_lo
	v_sub_nc_u32_e32 v12, v8, v7
	s_mov_b32 s0, exec_lo
	s_delay_alu instid0(VALU_DEP_2)
	v_add_nc_u32_e32 v5, v1, v9
	v_sub_nc_u32_e32 v9, v6, v8
	ds_load_u8 v5, v5
	v_sub_nc_u32_e32 v10, v4, v9
	v_cmp_ge_i32_e32 vcc_lo, v4, v9
	; wave barrier
	ds_store_b8 v3, v11
	v_cndmask_b32_e32 v9, 0, v10, vcc_lo
	v_min_i32_e32 v10, v4, v12
	; wave barrier
	s_delay_alu instid0(VALU_DEP_1)
	v_cmpx_lt_i32_e64 v9, v10
	s_cbranch_execz .LBB109_12
; %bb.9:
	v_add_nc_u32_e32 v11, v1, v7
	s_delay_alu instid0(VALU_DEP_1)
	v_add3_u32 v12, v11, v4, 4
	.p2align	6
.LBB109_10:                             ; =>This Inner Loop Header: Depth=1
	v_sub_nc_u32_e32 v13, v10, v9
	s_delay_alu instid0(VALU_DEP_1) | instskip(NEXT) | instid1(VALU_DEP_1)
	v_lshrrev_b32_e32 v14, 31, v13
	v_add_nc_u32_e32 v13, v13, v14
	s_delay_alu instid0(VALU_DEP_1) | instskip(NEXT) | instid1(VALU_DEP_1)
	v_ashrrev_i32_e32 v13, 1, v13
	v_add_nc_u32_e32 v13, v13, v9
	s_delay_alu instid0(VALU_DEP_1)
	v_add_nc_u32_e32 v14, v11, v13
	v_xad_u32 v15, v13, -1, v12
	v_add_nc_u32_e32 v16, 1, v13
	ds_load_u8 v14, v14
	ds_load_u8 v15, v15
	s_waitcnt lgkmcnt(0)
	v_cmp_lt_u16_e32 vcc_lo, v15, v14
	v_cndmask_b32_e32 v10, v10, v13, vcc_lo
	v_cndmask_b32_e32 v9, v16, v9, vcc_lo
	s_delay_alu instid0(VALU_DEP_1) | instskip(SKIP_1) | instid1(SALU_CYCLE_1)
	v_cmp_ge_i32_e32 vcc_lo, v9, v10
	s_or_b32 s1, vcc_lo, s1
	s_and_not1_b32 exec_lo, exec_lo, s1
	s_cbranch_execnz .LBB109_10
; %bb.11:
	s_or_b32 exec_lo, exec_lo, s1
.LBB109_12:
	s_delay_alu instid0(SALU_CYCLE_1) | instskip(SKIP_4) | instid1(VALU_DEP_4)
	s_or_b32 exec_lo, exec_lo, s0
	v_add_nc_u32_e32 v10, v7, v4
	v_add_nc_u32_e32 v7, v9, v7
	;; [unrolled: 1-line block ×3, first 2 shown]
	v_cmp_lt_i32_e32 vcc_lo, 3, v9
	v_sub_nc_u32_e32 v10, v10, v9
	s_delay_alu instid0(VALU_DEP_3) | instskip(SKIP_1) | instid1(VALU_DEP_3)
	v_sub_nc_u32_e32 v4, v4, v9
	v_add_nc_u32_e32 v11, v1, v7
	v_add_nc_u32_e32 v10, v1, v10
	ds_load_u8 v11, v11
	ds_load_u8 v10, v10 offset:4
	v_cmp_gt_i32_e64 s1, v6, v4
	; wave barrier
	s_waitcnt lgkmcnt(1)
	v_and_b32_e32 v8, 0xff, v11
	s_waitcnt lgkmcnt(0)
	v_and_b32_e32 v12, 0xff, v10
	s_delay_alu instid0(VALU_DEP_1) | instskip(NEXT) | instid1(VALU_DEP_1)
	v_cmp_lt_u16_e64 s0, v12, v8
	s_or_b32 s0, vcc_lo, s0
	s_delay_alu instid0(SALU_CYCLE_1)
	s_and_b32 vcc_lo, s1, s0
	s_mov_b32 s0, exec_lo
	v_cndmask_b32_e32 v8, v11, v10, vcc_lo
	v_cndmask_b32_e32 v6, v7, v4, vcc_lo
	v_add_nc_u32_e32 v4, v1, v2
	v_min_i32_e32 v7, 8, v2
	s_delay_alu instid0(VALU_DEP_3)
	v_add_nc_u32_e32 v6, v1, v6
	ds_store_b8 v4, v5
	; wave barrier
	ds_load_u8 v5, v6
	v_sub_nc_u32_e64 v6, v2, 8 clamp
	; wave barrier
	ds_store_b8 v4, v8
	; wave barrier
	v_cmpx_lt_u32_e64 v6, v7
	s_cbranch_execz .LBB109_16
; %bb.13:
	s_mov_b32 s1, 0
	.p2align	6
.LBB109_14:                             ; =>This Inner Loop Header: Depth=1
	v_sub_nc_u32_e32 v8, v7, v6
	s_delay_alu instid0(VALU_DEP_1) | instskip(NEXT) | instid1(VALU_DEP_1)
	v_lshrrev_b32_e32 v9, 31, v8
	v_add_nc_u32_e32 v8, v8, v9
	s_delay_alu instid0(VALU_DEP_1) | instskip(NEXT) | instid1(VALU_DEP_1)
	v_ashrrev_i32_e32 v8, 1, v8
	v_add_nc_u32_e32 v8, v8, v6
	s_delay_alu instid0(VALU_DEP_1)
	v_add_nc_u32_e32 v11, 1, v8
	v_add_nc_u32_e32 v9, v1, v8
	v_xad_u32 v10, v8, -1, v3
	ds_load_u8 v9, v9
	ds_load_u8 v10, v10 offset:8
	s_waitcnt lgkmcnt(0)
	v_cmp_lt_u16_e32 vcc_lo, v10, v9
	v_cndmask_b32_e32 v6, v11, v6, vcc_lo
	v_cndmask_b32_e32 v7, v7, v8, vcc_lo
	s_delay_alu instid0(VALU_DEP_1) | instskip(SKIP_1) | instid1(SALU_CYCLE_1)
	v_cmp_ge_i32_e32 vcc_lo, v6, v7
	s_or_b32 s1, vcc_lo, s1
	s_and_not1_b32 exec_lo, exec_lo, s1
	s_cbranch_execnz .LBB109_14
; %bb.15:
	s_or_b32 exec_lo, exec_lo, s1
.LBB109_16:
	s_delay_alu instid0(SALU_CYCLE_1) | instskip(SKIP_3) | instid1(VALU_DEP_3)
	s_or_b32 exec_lo, exec_lo, s0
	v_sub_nc_u32_e32 v2, v2, v6
	v_add_nc_u32_e32 v3, v1, v6
	v_cmp_lt_i32_e32 vcc_lo, 7, v6
	v_add_nc_u32_e32 v7, v1, v2
	ds_load_u8 v3, v3
	ds_load_u8 v7, v7 offset:8
	v_add_nc_u32_e32 v2, 8, v2
	; wave barrier
	s_waitcnt lgkmcnt(3)
	ds_store_b8 v4, v5
	v_cmp_gt_i32_e64 s1, 16, v2
	; wave barrier
	s_waitcnt lgkmcnt(2)
	v_and_b32_e32 v8, 0xff, v3
	s_waitcnt lgkmcnt(1)
	v_and_b32_e32 v9, 0xff, v7
	s_delay_alu instid0(VALU_DEP_1) | instskip(NEXT) | instid1(VALU_DEP_1)
	v_cmp_lt_u16_e64 s0, v9, v8
	s_or_b32 s0, vcc_lo, s0
	s_delay_alu instid0(SALU_CYCLE_1) | instskip(SKIP_4) | instid1(VALU_DEP_2)
	s_and_b32 vcc_lo, s1, s0
	s_add_u32 s0, s2, s4
	v_dual_cndmask_b32 v3, v3, v7 :: v_dual_cndmask_b32 v2, v6, v2
	s_addc_u32 s1, s3, 0
	v_add_co_u32 v0, s0, s0, v0
	v_add_nc_u32_e32 v1, v1, v2
	ds_load_u8 v1, v1
	s_waitcnt lgkmcnt(0)
	v_add_nc_u16 v2, v1, v3
	v_add_co_ci_u32_e64 v1, null, s1, 0, s0
	global_store_b8 v[0:1], v2, off
	s_nop 0
	s_sendmsg sendmsg(MSG_DEALLOC_VGPRS)
	s_endpgm
	.section	.rodata,"a",@progbits
	.p2align	6, 0x0
	.amdhsa_kernel _Z10sort_pairsILj256ELj16ELj1EhN10test_utils4lessEEvPKT2_PS2_T3_
		.amdhsa_group_segment_fixed_size 272
		.amdhsa_private_segment_fixed_size 0
		.amdhsa_kernarg_size 20
		.amdhsa_user_sgpr_count 15
		.amdhsa_user_sgpr_dispatch_ptr 0
		.amdhsa_user_sgpr_queue_ptr 0
		.amdhsa_user_sgpr_kernarg_segment_ptr 1
		.amdhsa_user_sgpr_dispatch_id 0
		.amdhsa_user_sgpr_private_segment_size 0
		.amdhsa_wavefront_size32 1
		.amdhsa_uses_dynamic_stack 0
		.amdhsa_enable_private_segment 0
		.amdhsa_system_sgpr_workgroup_id_x 1
		.amdhsa_system_sgpr_workgroup_id_y 0
		.amdhsa_system_sgpr_workgroup_id_z 0
		.amdhsa_system_sgpr_workgroup_info 0
		.amdhsa_system_vgpr_workitem_id 0
		.amdhsa_next_free_vgpr 18
		.amdhsa_next_free_sgpr 16
		.amdhsa_reserve_vcc 1
		.amdhsa_float_round_mode_32 0
		.amdhsa_float_round_mode_16_64 0
		.amdhsa_float_denorm_mode_32 3
		.amdhsa_float_denorm_mode_16_64 3
		.amdhsa_dx10_clamp 1
		.amdhsa_ieee_mode 1
		.amdhsa_fp16_overflow 0
		.amdhsa_workgroup_processor_mode 1
		.amdhsa_memory_ordered 1
		.amdhsa_forward_progress 0
		.amdhsa_shared_vgpr_count 0
		.amdhsa_exception_fp_ieee_invalid_op 0
		.amdhsa_exception_fp_denorm_src 0
		.amdhsa_exception_fp_ieee_div_zero 0
		.amdhsa_exception_fp_ieee_overflow 0
		.amdhsa_exception_fp_ieee_underflow 0
		.amdhsa_exception_fp_ieee_inexact 0
		.amdhsa_exception_int_div_zero 0
	.end_amdhsa_kernel
	.section	.text._Z10sort_pairsILj256ELj16ELj1EhN10test_utils4lessEEvPKT2_PS2_T3_,"axG",@progbits,_Z10sort_pairsILj256ELj16ELj1EhN10test_utils4lessEEvPKT2_PS2_T3_,comdat
.Lfunc_end109:
	.size	_Z10sort_pairsILj256ELj16ELj1EhN10test_utils4lessEEvPKT2_PS2_T3_, .Lfunc_end109-_Z10sort_pairsILj256ELj16ELj1EhN10test_utils4lessEEvPKT2_PS2_T3_
                                        ; -- End function
	.section	.AMDGPU.csdata,"",@progbits
; Kernel info:
; codeLenInByte = 1448
; NumSgprs: 18
; NumVgprs: 18
; ScratchSize: 0
; MemoryBound: 0
; FloatMode: 240
; IeeeMode: 1
; LDSByteSize: 272 bytes/workgroup (compile time only)
; SGPRBlocks: 2
; VGPRBlocks: 2
; NumSGPRsForWavesPerEU: 18
; NumVGPRsForWavesPerEU: 18
; Occupancy: 16
; WaveLimiterHint : 0
; COMPUTE_PGM_RSRC2:SCRATCH_EN: 0
; COMPUTE_PGM_RSRC2:USER_SGPR: 15
; COMPUTE_PGM_RSRC2:TRAP_HANDLER: 0
; COMPUTE_PGM_RSRC2:TGID_X_EN: 1
; COMPUTE_PGM_RSRC2:TGID_Y_EN: 0
; COMPUTE_PGM_RSRC2:TGID_Z_EN: 0
; COMPUTE_PGM_RSRC2:TIDIG_COMP_CNT: 0
	.section	.text._Z19sort_keys_segmentedILj256ELj16ELj1EhN10test_utils4lessEEvPKT2_PS2_PKjT3_,"axG",@progbits,_Z19sort_keys_segmentedILj256ELj16ELj1EhN10test_utils4lessEEvPKT2_PS2_PKjT3_,comdat
	.protected	_Z19sort_keys_segmentedILj256ELj16ELj1EhN10test_utils4lessEEvPKT2_PS2_PKjT3_ ; -- Begin function _Z19sort_keys_segmentedILj256ELj16ELj1EhN10test_utils4lessEEvPKT2_PS2_PKjT3_
	.globl	_Z19sort_keys_segmentedILj256ELj16ELj1EhN10test_utils4lessEEvPKT2_PS2_PKjT3_
	.p2align	8
	.type	_Z19sort_keys_segmentedILj256ELj16ELj1EhN10test_utils4lessEEvPKT2_PS2_PKjT3_,@function
_Z19sort_keys_segmentedILj256ELj16ELj1EhN10test_utils4lessEEvPKT2_PS2_PKjT3_: ; @_Z19sort_keys_segmentedILj256ELj16ELj1EhN10test_utils4lessEEvPKT2_PS2_PKjT3_
; %bb.0:
	s_clause 0x1
	s_load_b64 s[2:3], s[0:1], 0x10
	s_load_b128 s[4:7], s[0:1], 0x0
	v_lshrrev_b32_e32 v7, 4, v0
	v_mbcnt_lo_u32_b32 v6, -1, 0
	v_mov_b32_e32 v2, 0
	s_delay_alu instid0(VALU_DEP_3) | instskip(NEXT) | instid1(VALU_DEP_1)
	v_lshl_or_b32 v1, s15, 4, v7
	v_lshlrev_b64 v[3:4], 2, v[1:2]
	s_waitcnt lgkmcnt(0)
	s_delay_alu instid0(VALU_DEP_1) | instskip(NEXT) | instid1(VALU_DEP_2)
	v_add_co_u32 v3, vcc_lo, s2, v3
	v_add_co_ci_u32_e32 v4, vcc_lo, s3, v4, vcc_lo
	global_load_b32 v5, v[3:4], off
	v_and_b32_e32 v3, 15, v6
	v_lshlrev_b32_e32 v4, 4, v1
	s_waitcnt vmcnt(0)
	s_delay_alu instid0(VALU_DEP_2) | instskip(SKIP_1) | instid1(VALU_DEP_1)
	v_cmp_lt_u32_e32 vcc_lo, v3, v5
	v_cmp_ge_u32_e64 s0, v3, v5
	s_and_saveexec_b32 s1, s0
	s_delay_alu instid0(SALU_CYCLE_1)
	s_xor_b32 s0, exec_lo, s1
                                        ; implicit-def: $vgpr0_vgpr1
; %bb.1:
	v_mov_b32_e32 v1, v2
; %bb.2:
	s_or_saveexec_b32 s1, s0
                                        ; implicit-def: $vgpr13
	s_delay_alu instid0(SALU_CYCLE_1)
	s_xor_b32 exec_lo, exec_lo, s1
	s_cbranch_execz .LBB110_4
; %bb.3:
	v_add_co_u32 v0, s0, s4, v4
	s_delay_alu instid0(VALU_DEP_1) | instskip(NEXT) | instid1(VALU_DEP_2)
	v_add_co_ci_u32_e64 v1, null, s5, 0, s0
	v_add_co_u32 v0, s0, v0, v3
	s_delay_alu instid0(VALU_DEP_1)
	v_add_co_ci_u32_e64 v1, s0, 0, v1, s0
	global_load_u8 v13, v[0:1], off
	v_mov_b32_e32 v1, 0
.LBB110_4:
	s_or_b32 exec_lo, exec_lo, s1
	v_and_b32_e32 v0, 14, v6
	v_and_b32_e32 v10, 1, v6
	v_mad_u32_u24 v14, v7, 17, v3
	s_mov_b32 s2, 0
	s_mov_b32 s1, exec_lo
	v_min_i32_e32 v8, v5, v0
	v_min_i32_e32 v10, v5, v10
	; wave barrier
	s_waitcnt vmcnt(0)
	ds_store_b8 v14, v13
	v_add_nc_u32_e32 v0, 1, v8
	; wave barrier
	s_delay_alu instid0(VALU_DEP_1) | instskip(NEXT) | instid1(VALU_DEP_1)
	v_min_i32_e32 v2, v5, v0
	v_add_nc_u32_e32 v0, 1, v2
	v_sub_nc_u32_e32 v12, v2, v8
	s_delay_alu instid0(VALU_DEP_2) | instskip(NEXT) | instid1(VALU_DEP_2)
	v_min_i32_e32 v9, v5, v0
	v_min_i32_e32 v12, v10, v12
	s_delay_alu instid0(VALU_DEP_2) | instskip(NEXT) | instid1(VALU_DEP_1)
	v_sub_nc_u32_e32 v0, v9, v2
	v_sub_nc_u32_e32 v11, v10, v0
	v_cmp_ge_i32_e64 s0, v10, v0
	v_mul_u32_u24_e32 v0, 17, v7
	s_delay_alu instid0(VALU_DEP_2) | instskip(NEXT) | instid1(VALU_DEP_1)
	v_cndmask_b32_e64 v11, 0, v11, s0
	v_cmpx_lt_i32_e64 v11, v12
	s_cbranch_execz .LBB110_8
; %bb.5:
	s_delay_alu instid0(VALU_DEP_3)
	v_add_nc_u32_e32 v7, v0, v8
	v_add3_u32 v13, v0, v2, v10
	.p2align	6
.LBB110_6:                              ; =>This Inner Loop Header: Depth=1
	v_sub_nc_u32_e32 v14, v12, v11
	s_delay_alu instid0(VALU_DEP_1) | instskip(NEXT) | instid1(VALU_DEP_1)
	v_lshrrev_b32_e32 v15, 31, v14
	v_add_nc_u32_e32 v14, v14, v15
	s_delay_alu instid0(VALU_DEP_1) | instskip(NEXT) | instid1(VALU_DEP_1)
	v_ashrrev_i32_e32 v14, 1, v14
	v_add_nc_u32_e32 v14, v14, v11
	s_delay_alu instid0(VALU_DEP_1)
	v_add_nc_u32_e32 v15, v7, v14
	v_xad_u32 v16, v14, -1, v13
	v_add_nc_u32_e32 v17, 1, v14
	ds_load_u8 v15, v15
	ds_load_u8 v16, v16
	s_waitcnt lgkmcnt(0)
	v_cmp_lt_u16_e64 s0, v16, v15
	s_delay_alu instid0(VALU_DEP_1) | instskip(SKIP_1) | instid1(VALU_DEP_1)
	v_cndmask_b32_e64 v12, v12, v14, s0
	v_cndmask_b32_e64 v11, v17, v11, s0
	v_cmp_ge_i32_e64 s0, v11, v12
	s_delay_alu instid0(VALU_DEP_1) | instskip(NEXT) | instid1(SALU_CYCLE_1)
	s_or_b32 s2, s0, s2
	s_and_not1_b32 exec_lo, exec_lo, s2
	s_cbranch_execnz .LBB110_6
; %bb.7:
	s_or_b32 exec_lo, exec_lo, s2
.LBB110_8:
	s_delay_alu instid0(SALU_CYCLE_1) | instskip(SKIP_2) | instid1(VALU_DEP_2)
	s_or_b32 exec_lo, exec_lo, s1
	v_add_nc_u32_e32 v7, v2, v10
	v_add_nc_u32_e32 v12, v11, v8
	v_sub_nc_u32_e32 v13, v7, v11
	v_and_b32_e32 v7, 12, v6
	s_delay_alu instid0(VALU_DEP_3)
	v_add_nc_u32_e32 v8, v0, v12
	v_cmp_le_i32_e64 s0, v2, v12
	v_add_nc_u32_e32 v2, v0, v3
	v_add_nc_u32_e32 v11, v0, v13
	v_min_i32_e32 v10, v5, v7
	v_cmp_gt_i32_e64 s2, v9, v13
	ds_load_u8 v14, v8
	ds_load_u8 v15, v11
	v_and_b32_e32 v11, 3, v6
	v_add_nc_u32_e32 v7, 2, v10
	; wave barrier
	s_delay_alu instid0(VALU_DEP_2) | instskip(NEXT) | instid1(VALU_DEP_2)
	v_min_i32_e32 v11, v5, v11
	v_min_i32_e32 v8, v5, v7
	s_delay_alu instid0(VALU_DEP_1) | instskip(SKIP_1) | instid1(VALU_DEP_2)
	v_add_nc_u32_e32 v7, 2, v8
	v_sub_nc_u32_e32 v12, v8, v10
	v_min_i32_e32 v7, v5, v7
	s_delay_alu instid0(VALU_DEP_2)
	v_min_i32_e32 v12, v11, v12
	s_waitcnt lgkmcnt(1)
	v_and_b32_e32 v16, 0xff, v14
	s_waitcnt lgkmcnt(0)
	v_and_b32_e32 v17, 0xff, v15
	v_sub_nc_u32_e32 v18, v7, v8
	s_delay_alu instid0(VALU_DEP_2) | instskip(NEXT) | instid1(VALU_DEP_2)
	v_cmp_lt_u16_e64 s1, v17, v16
	v_sub_nc_u32_e32 v16, v11, v18
	s_delay_alu instid0(VALU_DEP_2) | instskip(SKIP_1) | instid1(VALU_DEP_1)
	s_or_b32 s1, s0, s1
	v_cmp_ge_i32_e64 s0, v11, v18
	v_cndmask_b32_e64 v9, 0, v16, s0
	s_and_b32 s0, s2, s1
	s_mov_b32 s1, 0
	v_cndmask_b32_e64 v13, v14, v15, s0
	s_mov_b32 s2, exec_lo
	ds_store_b8 v2, v13
	; wave barrier
	v_cmpx_lt_i32_e64 v9, v12
	s_cbranch_execz .LBB110_12
; %bb.9:
	v_add_nc_u32_e32 v13, v0, v10
	v_add3_u32 v14, v0, v8, v11
	.p2align	6
.LBB110_10:                             ; =>This Inner Loop Header: Depth=1
	v_sub_nc_u32_e32 v15, v12, v9
	s_delay_alu instid0(VALU_DEP_1) | instskip(NEXT) | instid1(VALU_DEP_1)
	v_lshrrev_b32_e32 v16, 31, v15
	v_add_nc_u32_e32 v15, v15, v16
	s_delay_alu instid0(VALU_DEP_1) | instskip(NEXT) | instid1(VALU_DEP_1)
	v_ashrrev_i32_e32 v15, 1, v15
	v_add_nc_u32_e32 v15, v15, v9
	s_delay_alu instid0(VALU_DEP_1)
	v_add_nc_u32_e32 v16, v13, v15
	v_xad_u32 v17, v15, -1, v14
	v_add_nc_u32_e32 v18, 1, v15
	ds_load_u8 v16, v16
	ds_load_u8 v17, v17
	s_waitcnt lgkmcnt(0)
	v_cmp_lt_u16_e64 s0, v17, v16
	s_delay_alu instid0(VALU_DEP_1) | instskip(SKIP_1) | instid1(VALU_DEP_1)
	v_cndmask_b32_e64 v12, v12, v15, s0
	v_cndmask_b32_e64 v9, v18, v9, s0
	v_cmp_ge_i32_e64 s0, v9, v12
	s_delay_alu instid0(VALU_DEP_1) | instskip(NEXT) | instid1(SALU_CYCLE_1)
	s_or_b32 s1, s0, s1
	s_and_not1_b32 exec_lo, exec_lo, s1
	s_cbranch_execnz .LBB110_10
; %bb.11:
	s_or_b32 exec_lo, exec_lo, s1
.LBB110_12:
	s_delay_alu instid0(SALU_CYCLE_1) | instskip(SKIP_3) | instid1(VALU_DEP_3)
	s_or_b32 exec_lo, exec_lo, s2
	v_add_nc_u32_e32 v11, v8, v11
	v_add_nc_u32_e32 v12, v9, v10
	v_and_b32_e32 v16, 7, v6
	v_sub_nc_u32_e32 v13, v11, v9
	v_and_b32_e32 v9, 8, v6
	s_delay_alu instid0(VALU_DEP_4) | instskip(SKIP_1) | instid1(VALU_DEP_4)
	v_add_nc_u32_e32 v11, v0, v12
	v_cmp_le_i32_e64 s0, v8, v12
	v_add_nc_u32_e32 v14, v0, v13
	s_delay_alu instid0(VALU_DEP_4) | instskip(SKIP_4) | instid1(VALU_DEP_1)
	v_min_i32_e32 v10, v5, v9
	v_cmp_gt_i32_e64 s2, v7, v13
	ds_load_u8 v15, v11
	ds_load_u8 v14, v14
	v_add_nc_u32_e32 v9, 4, v10
	; wave barrier
	v_min_i32_e32 v9, v5, v9
	s_delay_alu instid0(VALU_DEP_1) | instskip(SKIP_1) | instid1(VALU_DEP_2)
	v_add_nc_u32_e32 v11, 4, v9
	v_sub_nc_u32_e32 v8, v9, v10
	v_min_i32_e32 v6, v5, v11
	v_min_i32_e32 v11, v5, v16
	s_waitcnt lgkmcnt(1)
	v_and_b32_e32 v17, 0xff, v15
	s_waitcnt lgkmcnt(0)
	v_and_b32_e32 v18, 0xff, v14
	v_sub_nc_u32_e32 v16, v6, v9
	v_min_i32_e32 v8, v11, v8
	s_delay_alu instid0(VALU_DEP_3) | instskip(NEXT) | instid1(VALU_DEP_3)
	v_cmp_lt_u16_e64 s1, v18, v17
	v_sub_nc_u32_e32 v12, v11, v16
	s_delay_alu instid0(VALU_DEP_2) | instskip(SKIP_1) | instid1(VALU_DEP_1)
	s_or_b32 s1, s0, s1
	v_cmp_ge_i32_e64 s0, v11, v16
	v_cndmask_b32_e64 v7, 0, v12, s0
	s_and_b32 s0, s2, s1
	s_mov_b32 s1, 0
	v_cndmask_b32_e64 v12, v15, v14, s0
	s_mov_b32 s2, exec_lo
	ds_store_b8 v2, v12
	; wave barrier
	v_cmpx_lt_i32_e64 v7, v8
	s_cbranch_execz .LBB110_16
; %bb.13:
	v_add_nc_u32_e32 v12, v0, v10
	v_add3_u32 v13, v0, v9, v11
	.p2align	6
.LBB110_14:                             ; =>This Inner Loop Header: Depth=1
	v_sub_nc_u32_e32 v14, v8, v7
	s_delay_alu instid0(VALU_DEP_1) | instskip(NEXT) | instid1(VALU_DEP_1)
	v_lshrrev_b32_e32 v15, 31, v14
	v_add_nc_u32_e32 v14, v14, v15
	s_delay_alu instid0(VALU_DEP_1) | instskip(NEXT) | instid1(VALU_DEP_1)
	v_ashrrev_i32_e32 v14, 1, v14
	v_add_nc_u32_e32 v14, v14, v7
	s_delay_alu instid0(VALU_DEP_1)
	v_add_nc_u32_e32 v15, v12, v14
	v_xad_u32 v16, v14, -1, v13
	v_add_nc_u32_e32 v17, 1, v14
	ds_load_u8 v15, v15
	ds_load_u8 v16, v16
	s_waitcnt lgkmcnt(0)
	v_cmp_lt_u16_e64 s0, v16, v15
	s_delay_alu instid0(VALU_DEP_1) | instskip(SKIP_1) | instid1(VALU_DEP_1)
	v_cndmask_b32_e64 v8, v8, v14, s0
	v_cndmask_b32_e64 v7, v17, v7, s0
	v_cmp_ge_i32_e64 s0, v7, v8
	s_delay_alu instid0(VALU_DEP_1) | instskip(NEXT) | instid1(SALU_CYCLE_1)
	s_or_b32 s1, s0, s1
	s_and_not1_b32 exec_lo, exec_lo, s1
	s_cbranch_execnz .LBB110_14
; %bb.15:
	s_or_b32 exec_lo, exec_lo, s1
.LBB110_16:
	s_delay_alu instid0(SALU_CYCLE_1) | instskip(SKIP_3) | instid1(VALU_DEP_3)
	s_or_b32 exec_lo, exec_lo, s2
	v_add_nc_u32_e32 v8, v9, v11
	v_add_nc_u32_e32 v11, v7, v10
	v_min_i32_e32 v10, 0, v5
	v_sub_nc_u32_e32 v12, v8, v7
	s_delay_alu instid0(VALU_DEP_3) | instskip(SKIP_1) | instid1(VALU_DEP_3)
	v_add_nc_u32_e32 v7, v0, v11
	v_cmp_le_i32_e64 s0, v9, v11
	v_add_nc_u32_e32 v8, v0, v12
	v_cmp_gt_i32_e64 s2, v6, v12
	ds_load_u8 v13, v7
	ds_load_u8 v14, v8
	v_add_nc_u32_e32 v7, 8, v10
	; wave barrier
	s_delay_alu instid0(VALU_DEP_1) | instskip(NEXT) | instid1(VALU_DEP_1)
	v_min_i32_e32 v8, v5, v7
	v_add_nc_u32_e32 v7, 8, v8
	v_sub_nc_u32_e32 v9, v8, v10
	s_delay_alu instid0(VALU_DEP_2)
	v_min_i32_e32 v7, v5, v7
	v_min_i32_e32 v5, v5, v3
	s_waitcnt lgkmcnt(1)
	v_and_b32_e32 v15, 0xff, v13
	s_waitcnt lgkmcnt(0)
	v_and_b32_e32 v16, 0xff, v14
	v_sub_nc_u32_e32 v17, v7, v8
	v_min_i32_e32 v9, v5, v9
	s_delay_alu instid0(VALU_DEP_3) | instskip(NEXT) | instid1(VALU_DEP_3)
	v_cmp_lt_u16_e64 s1, v16, v15
	v_sub_nc_u32_e32 v11, v5, v17
	s_delay_alu instid0(VALU_DEP_2) | instskip(SKIP_1) | instid1(VALU_DEP_1)
	s_or_b32 s1, s0, s1
	v_cmp_ge_i32_e64 s0, v5, v17
	v_cndmask_b32_e64 v6, 0, v11, s0
	s_and_b32 s0, s2, s1
	s_mov_b32 s1, 0
	v_cndmask_b32_e64 v11, v13, v14, s0
	s_mov_b32 s2, exec_lo
	ds_store_b8 v2, v11
	; wave barrier
	v_cmpx_lt_i32_e64 v6, v9
	s_cbranch_execnz .LBB110_19
; %bb.17:
	s_or_b32 exec_lo, exec_lo, s2
	s_and_saveexec_b32 s0, vcc_lo
	s_cbranch_execnz .LBB110_22
.LBB110_18:
	s_endpgm
.LBB110_19:
	v_add_nc_u32_e32 v2, v0, v10
	v_add3_u32 v11, v0, v8, v5
	.p2align	6
.LBB110_20:                             ; =>This Inner Loop Header: Depth=1
	v_sub_nc_u32_e32 v12, v9, v6
	s_delay_alu instid0(VALU_DEP_1) | instskip(NEXT) | instid1(VALU_DEP_1)
	v_lshrrev_b32_e32 v13, 31, v12
	v_add_nc_u32_e32 v12, v12, v13
	s_delay_alu instid0(VALU_DEP_1) | instskip(NEXT) | instid1(VALU_DEP_1)
	v_ashrrev_i32_e32 v12, 1, v12
	v_add_nc_u32_e32 v12, v12, v6
	s_delay_alu instid0(VALU_DEP_1)
	v_add_nc_u32_e32 v13, v2, v12
	v_xad_u32 v14, v12, -1, v11
	v_add_nc_u32_e32 v15, 1, v12
	ds_load_u8 v13, v13
	ds_load_u8 v14, v14
	s_waitcnt lgkmcnt(0)
	v_cmp_lt_u16_e64 s0, v14, v13
	s_delay_alu instid0(VALU_DEP_1) | instskip(SKIP_1) | instid1(VALU_DEP_1)
	v_cndmask_b32_e64 v9, v9, v12, s0
	v_cndmask_b32_e64 v6, v15, v6, s0
	v_cmp_ge_i32_e64 s0, v6, v9
	s_delay_alu instid0(VALU_DEP_1) | instskip(NEXT) | instid1(SALU_CYCLE_1)
	s_or_b32 s1, s0, s1
	s_and_not1_b32 exec_lo, exec_lo, s1
	s_cbranch_execnz .LBB110_20
; %bb.21:
	s_or_b32 exec_lo, exec_lo, s1
	s_delay_alu instid0(SALU_CYCLE_1)
	s_or_b32 exec_lo, exec_lo, s2
	s_and_saveexec_b32 s0, vcc_lo
	s_cbranch_execz .LBB110_18
.LBB110_22:
	v_add_nc_u32_e32 v2, v8, v5
	v_add_nc_u32_e32 v5, v6, v10
	s_delay_alu instid0(VALU_DEP_2) | instskip(NEXT) | instid1(VALU_DEP_2)
	v_sub_nc_u32_e32 v2, v2, v6
	v_cmp_le_i32_e32 vcc_lo, v8, v5
	s_delay_alu instid0(VALU_DEP_2)
	v_add_nc_u32_e32 v6, v0, v2
	v_add_nc_u32_e32 v0, v0, v5
	ds_load_u8 v6, v6
	ds_load_u8 v9, v0
	s_waitcnt lgkmcnt(1)
	v_and_b32_e32 v0, 0xff, v6
	s_waitcnt lgkmcnt(0)
	v_and_b32_e32 v10, 0xff, v9
	s_delay_alu instid0(VALU_DEP_1) | instskip(SKIP_1) | instid1(VALU_DEP_1)
	v_cmp_lt_u16_e64 s0, v0, v10
	v_add_co_u32 v0, s1, s6, v4
	v_add_co_ci_u32_e64 v4, null, s7, 0, s1
	v_cmp_gt_i32_e64 s1, v7, v2
	s_delay_alu instid0(VALU_DEP_4) | instskip(NEXT) | instid1(VALU_DEP_3)
	s_or_b32 s0, vcc_lo, s0
	v_add_co_u32 v0, vcc_lo, v0, v3
	s_delay_alu instid0(VALU_DEP_3) | instskip(NEXT) | instid1(VALU_DEP_3)
	v_add_co_ci_u32_e32 v1, vcc_lo, v4, v1, vcc_lo
	s_and_b32 vcc_lo, s1, s0
	v_cndmask_b32_e32 v2, v9, v6, vcc_lo
	global_store_b8 v[0:1], v2, off
	s_nop 0
	s_sendmsg sendmsg(MSG_DEALLOC_VGPRS)
	s_endpgm
	.section	.rodata,"a",@progbits
	.p2align	6, 0x0
	.amdhsa_kernel _Z19sort_keys_segmentedILj256ELj16ELj1EhN10test_utils4lessEEvPKT2_PS2_PKjT3_
		.amdhsa_group_segment_fixed_size 272
		.amdhsa_private_segment_fixed_size 0
		.amdhsa_kernarg_size 28
		.amdhsa_user_sgpr_count 15
		.amdhsa_user_sgpr_dispatch_ptr 0
		.amdhsa_user_sgpr_queue_ptr 0
		.amdhsa_user_sgpr_kernarg_segment_ptr 1
		.amdhsa_user_sgpr_dispatch_id 0
		.amdhsa_user_sgpr_private_segment_size 0
		.amdhsa_wavefront_size32 1
		.amdhsa_uses_dynamic_stack 0
		.amdhsa_enable_private_segment 0
		.amdhsa_system_sgpr_workgroup_id_x 1
		.amdhsa_system_sgpr_workgroup_id_y 0
		.amdhsa_system_sgpr_workgroup_id_z 0
		.amdhsa_system_sgpr_workgroup_info 0
		.amdhsa_system_vgpr_workitem_id 0
		.amdhsa_next_free_vgpr 19
		.amdhsa_next_free_sgpr 16
		.amdhsa_reserve_vcc 1
		.amdhsa_float_round_mode_32 0
		.amdhsa_float_round_mode_16_64 0
		.amdhsa_float_denorm_mode_32 3
		.amdhsa_float_denorm_mode_16_64 3
		.amdhsa_dx10_clamp 1
		.amdhsa_ieee_mode 1
		.amdhsa_fp16_overflow 0
		.amdhsa_workgroup_processor_mode 1
		.amdhsa_memory_ordered 1
		.amdhsa_forward_progress 0
		.amdhsa_shared_vgpr_count 0
		.amdhsa_exception_fp_ieee_invalid_op 0
		.amdhsa_exception_fp_denorm_src 0
		.amdhsa_exception_fp_ieee_div_zero 0
		.amdhsa_exception_fp_ieee_overflow 0
		.amdhsa_exception_fp_ieee_underflow 0
		.amdhsa_exception_fp_ieee_inexact 0
		.amdhsa_exception_int_div_zero 0
	.end_amdhsa_kernel
	.section	.text._Z19sort_keys_segmentedILj256ELj16ELj1EhN10test_utils4lessEEvPKT2_PS2_PKjT3_,"axG",@progbits,_Z19sort_keys_segmentedILj256ELj16ELj1EhN10test_utils4lessEEvPKT2_PS2_PKjT3_,comdat
.Lfunc_end110:
	.size	_Z19sort_keys_segmentedILj256ELj16ELj1EhN10test_utils4lessEEvPKT2_PS2_PKjT3_, .Lfunc_end110-_Z19sort_keys_segmentedILj256ELj16ELj1EhN10test_utils4lessEEvPKT2_PS2_PKjT3_
                                        ; -- End function
	.section	.AMDGPU.csdata,"",@progbits
; Kernel info:
; codeLenInByte = 1724
; NumSgprs: 18
; NumVgprs: 19
; ScratchSize: 0
; MemoryBound: 0
; FloatMode: 240
; IeeeMode: 1
; LDSByteSize: 272 bytes/workgroup (compile time only)
; SGPRBlocks: 2
; VGPRBlocks: 2
; NumSGPRsForWavesPerEU: 18
; NumVGPRsForWavesPerEU: 19
; Occupancy: 16
; WaveLimiterHint : 0
; COMPUTE_PGM_RSRC2:SCRATCH_EN: 0
; COMPUTE_PGM_RSRC2:USER_SGPR: 15
; COMPUTE_PGM_RSRC2:TRAP_HANDLER: 0
; COMPUTE_PGM_RSRC2:TGID_X_EN: 1
; COMPUTE_PGM_RSRC2:TGID_Y_EN: 0
; COMPUTE_PGM_RSRC2:TGID_Z_EN: 0
; COMPUTE_PGM_RSRC2:TIDIG_COMP_CNT: 0
	.section	.text._Z20sort_pairs_segmentedILj256ELj16ELj1EhN10test_utils4lessEEvPKT2_PS2_PKjT3_,"axG",@progbits,_Z20sort_pairs_segmentedILj256ELj16ELj1EhN10test_utils4lessEEvPKT2_PS2_PKjT3_,comdat
	.protected	_Z20sort_pairs_segmentedILj256ELj16ELj1EhN10test_utils4lessEEvPKT2_PS2_PKjT3_ ; -- Begin function _Z20sort_pairs_segmentedILj256ELj16ELj1EhN10test_utils4lessEEvPKT2_PS2_PKjT3_
	.globl	_Z20sort_pairs_segmentedILj256ELj16ELj1EhN10test_utils4lessEEvPKT2_PS2_PKjT3_
	.p2align	8
	.type	_Z20sort_pairs_segmentedILj256ELj16ELj1EhN10test_utils4lessEEvPKT2_PS2_PKjT3_,@function
_Z20sort_pairs_segmentedILj256ELj16ELj1EhN10test_utils4lessEEvPKT2_PS2_PKjT3_: ; @_Z20sort_pairs_segmentedILj256ELj16ELj1EhN10test_utils4lessEEvPKT2_PS2_PKjT3_
; %bb.0:
	s_clause 0x1
	s_load_b64 s[2:3], s[0:1], 0x10
	s_load_b128 s[4:7], s[0:1], 0x0
	v_lshrrev_b32_e32 v9, 4, v0
	v_mbcnt_lo_u32_b32 v6, -1, 0
	v_mov_b32_e32 v2, 0
	s_delay_alu instid0(VALU_DEP_3) | instskip(NEXT) | instid1(VALU_DEP_1)
	v_lshl_or_b32 v1, s15, 4, v9
	v_lshlrev_b64 v[3:4], 2, v[1:2]
	s_waitcnt lgkmcnt(0)
	s_delay_alu instid0(VALU_DEP_1) | instskip(NEXT) | instid1(VALU_DEP_2)
	v_add_co_u32 v3, vcc_lo, s2, v3
	v_add_co_ci_u32_e32 v4, vcc_lo, s3, v4, vcc_lo
	global_load_b32 v5, v[3:4], off
	v_and_b32_e32 v3, 15, v6
	v_lshlrev_b32_e32 v4, 4, v1
	s_waitcnt vmcnt(0)
	s_delay_alu instid0(VALU_DEP_2) | instskip(SKIP_1) | instid1(VALU_DEP_1)
	v_cmp_lt_u32_e32 vcc_lo, v3, v5
	v_cmp_ge_u32_e64 s0, v3, v5
	s_and_saveexec_b32 s1, s0
	s_delay_alu instid0(SALU_CYCLE_1)
	s_xor_b32 s0, exec_lo, s1
                                        ; implicit-def: $vgpr0_vgpr1
; %bb.1:
	v_mov_b32_e32 v1, v2
; %bb.2:
	s_or_saveexec_b32 s1, s0
                                        ; implicit-def: $vgpr2
	s_delay_alu instid0(SALU_CYCLE_1)
	s_xor_b32 exec_lo, exec_lo, s1
	s_cbranch_execz .LBB111_4
; %bb.3:
	v_add_co_u32 v0, s0, s4, v4
	s_delay_alu instid0(VALU_DEP_1) | instskip(NEXT) | instid1(VALU_DEP_2)
	v_add_co_ci_u32_e64 v1, null, s5, 0, s0
	v_add_co_u32 v0, s0, v0, v3
	s_delay_alu instid0(VALU_DEP_1)
	v_add_co_ci_u32_e64 v1, s0, 0, v1, s0
	global_load_u8 v2, v[0:1], off
	v_mov_b32_e32 v1, 0
.LBB111_4:
	s_or_b32 exec_lo, exec_lo, s1
	v_and_b32_e32 v0, 14, v6
	v_and_b32_e32 v11, 1, v6
	v_mad_u32_u24 v14, v9, 17, v3
	s_mov_b32 s2, 0
	s_mov_b32 s1, exec_lo
	v_min_i32_e32 v10, v5, v0
	v_min_i32_e32 v11, v5, v11
	; wave barrier
	s_waitcnt vmcnt(0)
	ds_store_b8 v14, v2
	v_add_nc_u32_e32 v0, 1, v10
	; wave barrier
	s_delay_alu instid0(VALU_DEP_1) | instskip(NEXT) | instid1(VALU_DEP_1)
	v_min_i32_e32 v7, v5, v0
	v_add_nc_u32_e32 v0, 1, v7
	v_sub_nc_u32_e32 v13, v7, v10
	s_delay_alu instid0(VALU_DEP_2) | instskip(NEXT) | instid1(VALU_DEP_2)
	v_min_i32_e32 v8, v5, v0
	v_min_i32_e32 v13, v11, v13
	s_delay_alu instid0(VALU_DEP_2) | instskip(NEXT) | instid1(VALU_DEP_1)
	v_sub_nc_u32_e32 v0, v8, v7
	v_sub_nc_u32_e32 v12, v11, v0
	v_cmp_ge_i32_e64 s0, v11, v0
	v_mul_u32_u24_e32 v0, 17, v9
	s_delay_alu instid0(VALU_DEP_2) | instskip(NEXT) | instid1(VALU_DEP_1)
	v_cndmask_b32_e64 v12, 0, v12, s0
	v_cmpx_lt_i32_e64 v12, v13
	s_cbranch_execz .LBB111_8
; %bb.5:
	s_delay_alu instid0(VALU_DEP_3)
	v_add_nc_u32_e32 v9, v0, v10
	v_add3_u32 v14, v0, v7, v11
	.p2align	6
.LBB111_6:                              ; =>This Inner Loop Header: Depth=1
	v_sub_nc_u32_e32 v15, v13, v12
	s_delay_alu instid0(VALU_DEP_1) | instskip(NEXT) | instid1(VALU_DEP_1)
	v_lshrrev_b32_e32 v16, 31, v15
	v_add_nc_u32_e32 v15, v15, v16
	s_delay_alu instid0(VALU_DEP_1) | instskip(NEXT) | instid1(VALU_DEP_1)
	v_ashrrev_i32_e32 v15, 1, v15
	v_add_nc_u32_e32 v15, v15, v12
	s_delay_alu instid0(VALU_DEP_1)
	v_add_nc_u32_e32 v16, v9, v15
	v_xad_u32 v17, v15, -1, v14
	v_add_nc_u32_e32 v18, 1, v15
	ds_load_u8 v16, v16
	ds_load_u8 v17, v17
	s_waitcnt lgkmcnt(0)
	v_cmp_lt_u16_e64 s0, v17, v16
	s_delay_alu instid0(VALU_DEP_1) | instskip(SKIP_1) | instid1(VALU_DEP_1)
	v_cndmask_b32_e64 v13, v13, v15, s0
	v_cndmask_b32_e64 v12, v18, v12, s0
	v_cmp_ge_i32_e64 s0, v12, v13
	s_delay_alu instid0(VALU_DEP_1) | instskip(NEXT) | instid1(SALU_CYCLE_1)
	s_or_b32 s2, s0, s2
	s_and_not1_b32 exec_lo, exec_lo, s2
	s_cbranch_execnz .LBB111_6
; %bb.7:
	s_or_b32 exec_lo, exec_lo, s2
.LBB111_8:
	s_delay_alu instid0(SALU_CYCLE_1) | instskip(SKIP_2) | instid1(VALU_DEP_2)
	s_or_b32 exec_lo, exec_lo, s1
	v_add_nc_u32_e32 v9, v7, v11
	v_add_nc_u32_e32 v11, v12, v10
	v_sub_nc_u32_e32 v9, v9, v12
	s_delay_alu instid0(VALU_DEP_2) | instskip(SKIP_1) | instid1(VALU_DEP_3)
	v_add_nc_u32_e32 v10, v0, v11
	v_cmp_le_i32_e64 s0, v7, v11
	v_add_nc_u32_e32 v12, v0, v9
	v_cmp_gt_i32_e64 s2, v8, v9
	v_add_nc_u16 v8, v2, 1
	v_add_nc_u32_e32 v2, v0, v3
	ds_load_u8 v13, v10
	ds_load_u8 v12, v12
	v_and_b32_e32 v10, 12, v6
	; wave barrier
	ds_store_b8 v2, v8
	v_and_b32_e32 v8, 3, v6
	v_min_i32_e32 v10, v5, v10
	; wave barrier
	s_delay_alu instid0(VALU_DEP_1) | instskip(NEXT) | instid1(VALU_DEP_1)
	v_add_nc_u32_e32 v16, 2, v10
	v_min_i32_e32 v7, v5, v16
	s_waitcnt lgkmcnt(2)
	v_and_b32_e32 v14, 0xff, v13
	s_waitcnt lgkmcnt(1)
	v_and_b32_e32 v15, 0xff, v12
	s_delay_alu instid0(VALU_DEP_1) | instskip(SKIP_1) | instid1(VALU_DEP_2)
	v_cmp_lt_u16_e64 s1, v15, v14
	v_add_nc_u32_e32 v14, 2, v7
	s_or_b32 s0, s0, s1
	s_mov_b32 s1, exec_lo
	s_and_b32 s0, s2, s0
	s_mov_b32 s2, 0
	v_cndmask_b32_e64 v11, v11, v9, s0
	v_cndmask_b32_e64 v15, v13, v12, s0
	v_min_i32_e32 v9, v5, v14
	v_sub_nc_u32_e32 v14, v7, v10
	s_delay_alu instid0(VALU_DEP_4) | instskip(SKIP_1) | instid1(VALU_DEP_4)
	v_add_nc_u32_e32 v12, v0, v11
	v_min_i32_e32 v11, v5, v8
	v_sub_nc_u32_e32 v13, v9, v7
	ds_load_u8 v8, v12
	v_sub_nc_u32_e32 v12, v11, v13
	v_cmp_ge_i32_e64 s0, v11, v13
	v_min_i32_e32 v13, v11, v14
	; wave barrier
	ds_store_b8 v2, v15
	v_cndmask_b32_e64 v12, 0, v12, s0
	; wave barrier
	s_delay_alu instid0(VALU_DEP_1)
	v_cmpx_lt_i32_e64 v12, v13
	s_cbranch_execz .LBB111_12
; %bb.9:
	v_add_nc_u32_e32 v14, v0, v10
	v_add3_u32 v15, v0, v7, v11
	.p2align	6
.LBB111_10:                             ; =>This Inner Loop Header: Depth=1
	v_sub_nc_u32_e32 v16, v13, v12
	s_delay_alu instid0(VALU_DEP_1) | instskip(NEXT) | instid1(VALU_DEP_1)
	v_lshrrev_b32_e32 v17, 31, v16
	v_add_nc_u32_e32 v16, v16, v17
	s_delay_alu instid0(VALU_DEP_1) | instskip(NEXT) | instid1(VALU_DEP_1)
	v_ashrrev_i32_e32 v16, 1, v16
	v_add_nc_u32_e32 v16, v16, v12
	s_delay_alu instid0(VALU_DEP_1)
	v_add_nc_u32_e32 v17, v14, v16
	v_xad_u32 v18, v16, -1, v15
	v_add_nc_u32_e32 v19, 1, v16
	ds_load_u8 v17, v17
	ds_load_u8 v18, v18
	s_waitcnt lgkmcnt(0)
	v_cmp_lt_u16_e64 s0, v18, v17
	s_delay_alu instid0(VALU_DEP_1) | instskip(SKIP_1) | instid1(VALU_DEP_1)
	v_cndmask_b32_e64 v13, v13, v16, s0
	v_cndmask_b32_e64 v12, v19, v12, s0
	v_cmp_ge_i32_e64 s0, v12, v13
	s_delay_alu instid0(VALU_DEP_1) | instskip(NEXT) | instid1(SALU_CYCLE_1)
	s_or_b32 s2, s0, s2
	s_and_not1_b32 exec_lo, exec_lo, s2
	s_cbranch_execnz .LBB111_10
; %bb.11:
	s_or_b32 exec_lo, exec_lo, s2
.LBB111_12:
	s_delay_alu instid0(SALU_CYCLE_1) | instskip(SKIP_2) | instid1(VALU_DEP_2)
	s_or_b32 exec_lo, exec_lo, s1
	v_add_nc_u32_e32 v11, v7, v11
	v_add_nc_u32_e32 v13, v12, v10
	v_sub_nc_u32_e32 v11, v11, v12
	s_delay_alu instid0(VALU_DEP_2) | instskip(SKIP_1) | instid1(VALU_DEP_3)
	v_add_nc_u32_e32 v10, v0, v13
	v_cmp_le_i32_e64 s0, v7, v13
	v_add_nc_u32_e32 v12, v0, v11
	v_cmp_gt_i32_e64 s2, v9, v11
	ds_load_u8 v14, v10
	ds_load_u8 v12, v12
	v_and_b32_e32 v10, 8, v6
	v_and_b32_e32 v6, 7, v6
	; wave barrier
	s_waitcnt lgkmcnt(3)
	ds_store_b8 v2, v8
	v_min_i32_e32 v10, v5, v10
	; wave barrier
	s_delay_alu instid0(VALU_DEP_1) | instskip(NEXT) | instid1(VALU_DEP_1)
	v_add_nc_u32_e32 v17, 4, v10
	v_min_i32_e32 v7, v5, v17
	s_waitcnt lgkmcnt(2)
	v_and_b32_e32 v15, 0xff, v14
	s_waitcnt lgkmcnt(1)
	v_and_b32_e32 v16, 0xff, v12
	v_add_nc_u32_e32 v9, 4, v7
	s_delay_alu instid0(VALU_DEP_2) | instskip(NEXT) | instid1(VALU_DEP_2)
	v_cmp_lt_u16_e64 s1, v16, v15
	v_min_i32_e32 v8, v5, v9
	v_min_i32_e32 v9, v5, v6
	s_delay_alu instid0(VALU_DEP_3)
	s_or_b32 s0, s0, s1
	s_mov_b32 s1, exec_lo
	s_and_b32 s0, s2, s0
	s_mov_b32 s2, 0
	v_cndmask_b32_e64 v11, v13, v11, s0
	v_cndmask_b32_e64 v14, v14, v12, s0
	v_sub_nc_u32_e32 v12, v8, v7
	v_sub_nc_u32_e32 v13, v7, v10
	s_delay_alu instid0(VALU_DEP_4) | instskip(NEXT) | instid1(VALU_DEP_3)
	v_add_nc_u32_e32 v11, v0, v11
	v_cmp_ge_i32_e64 s0, v9, v12
	ds_load_u8 v6, v11
	v_sub_nc_u32_e32 v11, v9, v12
	v_min_i32_e32 v12, v9, v13
	; wave barrier
	ds_store_b8 v2, v14
	v_cndmask_b32_e64 v11, 0, v11, s0
	; wave barrier
	s_delay_alu instid0(VALU_DEP_1)
	v_cmpx_lt_i32_e64 v11, v12
	s_cbranch_execz .LBB111_16
; %bb.13:
	v_add_nc_u32_e32 v13, v0, v10
	v_add3_u32 v14, v0, v7, v9
	.p2align	6
.LBB111_14:                             ; =>This Inner Loop Header: Depth=1
	v_sub_nc_u32_e32 v15, v12, v11
	s_delay_alu instid0(VALU_DEP_1) | instskip(NEXT) | instid1(VALU_DEP_1)
	v_lshrrev_b32_e32 v16, 31, v15
	v_add_nc_u32_e32 v15, v15, v16
	s_delay_alu instid0(VALU_DEP_1) | instskip(NEXT) | instid1(VALU_DEP_1)
	v_ashrrev_i32_e32 v15, 1, v15
	v_add_nc_u32_e32 v15, v15, v11
	s_delay_alu instid0(VALU_DEP_1)
	v_add_nc_u32_e32 v16, v13, v15
	v_xad_u32 v17, v15, -1, v14
	v_add_nc_u32_e32 v18, 1, v15
	ds_load_u8 v16, v16
	ds_load_u8 v17, v17
	s_waitcnt lgkmcnt(0)
	v_cmp_lt_u16_e64 s0, v17, v16
	s_delay_alu instid0(VALU_DEP_1) | instskip(SKIP_1) | instid1(VALU_DEP_1)
	v_cndmask_b32_e64 v12, v12, v15, s0
	v_cndmask_b32_e64 v11, v18, v11, s0
	v_cmp_ge_i32_e64 s0, v11, v12
	s_delay_alu instid0(VALU_DEP_1) | instskip(NEXT) | instid1(SALU_CYCLE_1)
	s_or_b32 s2, s0, s2
	s_and_not1_b32 exec_lo, exec_lo, s2
	s_cbranch_execnz .LBB111_14
; %bb.15:
	s_or_b32 exec_lo, exec_lo, s2
.LBB111_16:
	s_delay_alu instid0(SALU_CYCLE_1) | instskip(SKIP_2) | instid1(VALU_DEP_2)
	s_or_b32 exec_lo, exec_lo, s1
	v_add_nc_u32_e32 v9, v7, v9
	v_add_nc_u32_e32 v10, v11, v10
	v_sub_nc_u32_e32 v11, v9, v11
	s_delay_alu instid0(VALU_DEP_2) | instskip(SKIP_1) | instid1(VALU_DEP_3)
	v_add_nc_u32_e32 v9, v0, v10
	v_cmp_le_i32_e64 s0, v7, v10
	v_add_nc_u32_e32 v12, v0, v11
	v_cmp_gt_i32_e64 s2, v8, v11
	ds_load_u8 v13, v9
	ds_load_u8 v12, v12
	v_min_i32_e32 v9, 0, v5
	; wave barrier
	s_waitcnt lgkmcnt(3)
	ds_store_b8 v2, v6
	v_add_nc_u32_e32 v7, 8, v9
	; wave barrier
	s_delay_alu instid0(VALU_DEP_1) | instskip(NEXT) | instid1(VALU_DEP_1)
	v_min_i32_e32 v7, v5, v7
	v_add_nc_u32_e32 v8, 8, v7
	s_waitcnt lgkmcnt(2)
	v_and_b32_e32 v14, 0xff, v13
	s_waitcnt lgkmcnt(1)
	v_and_b32_e32 v15, 0xff, v12
	v_min_i32_e32 v6, v5, v8
	v_min_i32_e32 v8, v5, v3
	s_delay_alu instid0(VALU_DEP_3) | instskip(NEXT) | instid1(VALU_DEP_1)
	v_cmp_lt_u16_e64 s1, v15, v14
	s_or_b32 s0, s0, s1
	s_mov_b32 s1, exec_lo
	s_and_b32 s0, s2, s0
	s_mov_b32 s2, 0
	v_cndmask_b32_e64 v10, v10, v11, s0
	v_sub_nc_u32_e32 v11, v6, v7
	v_cndmask_b32_e64 v12, v13, v12, s0
	v_sub_nc_u32_e32 v13, v7, v9
	s_delay_alu instid0(VALU_DEP_4) | instskip(NEXT) | instid1(VALU_DEP_4)
	v_add_nc_u32_e32 v10, v0, v10
	v_cmp_ge_i32_e64 s0, v8, v11
	ds_load_u8 v5, v10
	v_sub_nc_u32_e32 v10, v8, v11
	v_min_i32_e32 v11, v8, v13
	; wave barrier
	ds_store_b8 v2, v12
	v_cndmask_b32_e64 v10, 0, v10, s0
	; wave barrier
	s_delay_alu instid0(VALU_DEP_1)
	v_cmpx_lt_i32_e64 v10, v11
	s_cbranch_execz .LBB111_20
; %bb.17:
	v_add_nc_u32_e32 v12, v0, v9
	v_add3_u32 v13, v0, v7, v8
	.p2align	6
.LBB111_18:                             ; =>This Inner Loop Header: Depth=1
	v_sub_nc_u32_e32 v14, v11, v10
	s_delay_alu instid0(VALU_DEP_1) | instskip(NEXT) | instid1(VALU_DEP_1)
	v_lshrrev_b32_e32 v15, 31, v14
	v_add_nc_u32_e32 v14, v14, v15
	s_delay_alu instid0(VALU_DEP_1) | instskip(NEXT) | instid1(VALU_DEP_1)
	v_ashrrev_i32_e32 v14, 1, v14
	v_add_nc_u32_e32 v14, v14, v10
	s_delay_alu instid0(VALU_DEP_1)
	v_add_nc_u32_e32 v15, v12, v14
	v_xad_u32 v16, v14, -1, v13
	v_add_nc_u32_e32 v17, 1, v14
	ds_load_u8 v15, v15
	ds_load_u8 v16, v16
	s_waitcnt lgkmcnt(0)
	v_cmp_lt_u16_e64 s0, v16, v15
	s_delay_alu instid0(VALU_DEP_1) | instskip(SKIP_1) | instid1(VALU_DEP_1)
	v_cndmask_b32_e64 v11, v11, v14, s0
	v_cndmask_b32_e64 v10, v17, v10, s0
	v_cmp_ge_i32_e64 s0, v10, v11
	s_delay_alu instid0(VALU_DEP_1) | instskip(NEXT) | instid1(SALU_CYCLE_1)
	s_or_b32 s2, s0, s2
	s_and_not1_b32 exec_lo, exec_lo, s2
	s_cbranch_execnz .LBB111_18
; %bb.19:
	s_or_b32 exec_lo, exec_lo, s2
.LBB111_20:
	s_delay_alu instid0(SALU_CYCLE_1) | instskip(SKIP_2) | instid1(VALU_DEP_2)
	s_or_b32 exec_lo, exec_lo, s1
	v_add_nc_u32_e32 v11, v7, v8
	v_add_nc_u32_e32 v8, v10, v9
	v_sub_nc_u32_e32 v9, v11, v10
	s_delay_alu instid0(VALU_DEP_2) | instskip(NEXT) | instid1(VALU_DEP_2)
	v_add_nc_u32_e32 v10, v0, v8
	v_add_nc_u32_e32 v11, v0, v9
	ds_load_u8 v10, v10
	ds_load_u8 v11, v11
	; wave barrier
	s_waitcnt lgkmcnt(3)
	ds_store_b8 v2, v5
	; wave barrier
	s_and_saveexec_b32 s0, vcc_lo
	s_cbranch_execz .LBB111_22
; %bb.21:
	s_waitcnt lgkmcnt(2)
	v_and_b32_e32 v2, 0xff, v10
	s_waitcnt lgkmcnt(1)
	v_and_b32_e32 v5, 0xff, v11
	v_cmp_le_i32_e32 vcc_lo, v7, v8
	v_cmp_gt_i32_e64 s1, v6, v9
	s_delay_alu instid0(VALU_DEP_3) | instskip(NEXT) | instid1(VALU_DEP_1)
	v_cmp_lt_u16_e64 s0, v5, v2
	s_or_b32 s0, vcc_lo, s0
	s_delay_alu instid0(VALU_DEP_2) | instid1(SALU_CYCLE_1)
	s_and_b32 vcc_lo, s1, s0
	v_dual_cndmask_b32 v5, v8, v9 :: v_dual_cndmask_b32 v2, v10, v11
	s_delay_alu instid0(VALU_DEP_1) | instskip(SKIP_2) | instid1(VALU_DEP_1)
	v_add_nc_u32_e32 v0, v0, v5
	ds_load_u8 v5, v0
	v_add_co_u32 v0, s0, s6, v4
	v_add_co_ci_u32_e64 v4, null, s7, 0, s0
	s_delay_alu instid0(VALU_DEP_2) | instskip(NEXT) | instid1(VALU_DEP_2)
	v_add_co_u32 v0, vcc_lo, v0, v3
	v_add_co_ci_u32_e32 v1, vcc_lo, v4, v1, vcc_lo
	s_waitcnt lgkmcnt(0)
	v_add_nc_u16 v2, v5, v2
	global_store_b8 v[0:1], v2, off
.LBB111_22:
	s_nop 0
	s_sendmsg sendmsg(MSG_DEALLOC_VGPRS)
	s_endpgm
	.section	.rodata,"a",@progbits
	.p2align	6, 0x0
	.amdhsa_kernel _Z20sort_pairs_segmentedILj256ELj16ELj1EhN10test_utils4lessEEvPKT2_PS2_PKjT3_
		.amdhsa_group_segment_fixed_size 272
		.amdhsa_private_segment_fixed_size 0
		.amdhsa_kernarg_size 28
		.amdhsa_user_sgpr_count 15
		.amdhsa_user_sgpr_dispatch_ptr 0
		.amdhsa_user_sgpr_queue_ptr 0
		.amdhsa_user_sgpr_kernarg_segment_ptr 1
		.amdhsa_user_sgpr_dispatch_id 0
		.amdhsa_user_sgpr_private_segment_size 0
		.amdhsa_wavefront_size32 1
		.amdhsa_uses_dynamic_stack 0
		.amdhsa_enable_private_segment 0
		.amdhsa_system_sgpr_workgroup_id_x 1
		.amdhsa_system_sgpr_workgroup_id_y 0
		.amdhsa_system_sgpr_workgroup_id_z 0
		.amdhsa_system_sgpr_workgroup_info 0
		.amdhsa_system_vgpr_workitem_id 0
		.amdhsa_next_free_vgpr 20
		.amdhsa_next_free_sgpr 16
		.amdhsa_reserve_vcc 1
		.amdhsa_float_round_mode_32 0
		.amdhsa_float_round_mode_16_64 0
		.amdhsa_float_denorm_mode_32 3
		.amdhsa_float_denorm_mode_16_64 3
		.amdhsa_dx10_clamp 1
		.amdhsa_ieee_mode 1
		.amdhsa_fp16_overflow 0
		.amdhsa_workgroup_processor_mode 1
		.amdhsa_memory_ordered 1
		.amdhsa_forward_progress 0
		.amdhsa_shared_vgpr_count 0
		.amdhsa_exception_fp_ieee_invalid_op 0
		.amdhsa_exception_fp_denorm_src 0
		.amdhsa_exception_fp_ieee_div_zero 0
		.amdhsa_exception_fp_ieee_overflow 0
		.amdhsa_exception_fp_ieee_underflow 0
		.amdhsa_exception_fp_ieee_inexact 0
		.amdhsa_exception_int_div_zero 0
	.end_amdhsa_kernel
	.section	.text._Z20sort_pairs_segmentedILj256ELj16ELj1EhN10test_utils4lessEEvPKT2_PS2_PKjT3_,"axG",@progbits,_Z20sort_pairs_segmentedILj256ELj16ELj1EhN10test_utils4lessEEvPKT2_PS2_PKjT3_,comdat
.Lfunc_end111:
	.size	_Z20sort_pairs_segmentedILj256ELj16ELj1EhN10test_utils4lessEEvPKT2_PS2_PKjT3_, .Lfunc_end111-_Z20sort_pairs_segmentedILj256ELj16ELj1EhN10test_utils4lessEEvPKT2_PS2_PKjT3_
                                        ; -- End function
	.section	.AMDGPU.csdata,"",@progbits
; Kernel info:
; codeLenInByte = 1848
; NumSgprs: 18
; NumVgprs: 20
; ScratchSize: 0
; MemoryBound: 0
; FloatMode: 240
; IeeeMode: 1
; LDSByteSize: 272 bytes/workgroup (compile time only)
; SGPRBlocks: 2
; VGPRBlocks: 2
; NumSGPRsForWavesPerEU: 18
; NumVGPRsForWavesPerEU: 20
; Occupancy: 16
; WaveLimiterHint : 0
; COMPUTE_PGM_RSRC2:SCRATCH_EN: 0
; COMPUTE_PGM_RSRC2:USER_SGPR: 15
; COMPUTE_PGM_RSRC2:TRAP_HANDLER: 0
; COMPUTE_PGM_RSRC2:TGID_X_EN: 1
; COMPUTE_PGM_RSRC2:TGID_Y_EN: 0
; COMPUTE_PGM_RSRC2:TGID_Z_EN: 0
; COMPUTE_PGM_RSRC2:TIDIG_COMP_CNT: 0
	.section	.text._Z9sort_keysILj256ELj16ELj4EhN10test_utils4lessEEvPKT2_PS2_T3_,"axG",@progbits,_Z9sort_keysILj256ELj16ELj4EhN10test_utils4lessEEvPKT2_PS2_T3_,comdat
	.protected	_Z9sort_keysILj256ELj16ELj4EhN10test_utils4lessEEvPKT2_PS2_T3_ ; -- Begin function _Z9sort_keysILj256ELj16ELj4EhN10test_utils4lessEEvPKT2_PS2_T3_
	.globl	_Z9sort_keysILj256ELj16ELj4EhN10test_utils4lessEEvPKT2_PS2_T3_
	.p2align	8
	.type	_Z9sort_keysILj256ELj16ELj4EhN10test_utils4lessEEvPKT2_PS2_T3_,@function
_Z9sort_keysILj256ELj16ELj4EhN10test_utils4lessEEvPKT2_PS2_T3_: ; @_Z9sort_keysILj256ELj16ELj4EhN10test_utils4lessEEvPKT2_PS2_T3_
; %bb.0:
	s_load_b128 s[4:7], s[0:1], 0x0
	s_lshl_b32 s8, s15, 10
	v_lshlrev_b32_e32 v1, 2, v0
	v_lshrrev_b32_e32 v0, 4, v0
	s_waitcnt lgkmcnt(0)
	s_add_u32 s0, s4, s8
	s_addc_u32 s1, s5, 0
	global_load_b32 v2, v1, s[0:1]
	s_mov_b32 s1, exec_lo
	; wave barrier
	s_waitcnt vmcnt(0)
	v_lshrrev_b32_e32 v3, 8, v2
	v_and_b32_e32 v4, 0xff, v2
	v_perm_b32 v5, v2, v2, 0x7060405
	s_delay_alu instid0(VALU_DEP_3) | instskip(NEXT) | instid1(VALU_DEP_1)
	v_and_b32_e32 v3, 0xff, v3
	v_cmp_lt_u16_e32 vcc_lo, v3, v4
	s_delay_alu instid0(VALU_DEP_3) | instskip(NEXT) | instid1(VALU_DEP_1)
	v_cndmask_b32_e32 v2, v2, v5, vcc_lo
	v_lshrrev_b32_e32 v5, 16, v2
	v_lshrrev_b32_e32 v7, 24, v2
	s_delay_alu instid0(VALU_DEP_2) | instskip(SKIP_1) | instid1(VALU_DEP_2)
	v_perm_b32 v6, 0, v5, 0xc0c0001
	v_and_b32_e32 v5, 0xff, v5
	v_lshlrev_b32_e32 v6, 16, v6
	s_delay_alu instid0(VALU_DEP_2) | instskip(NEXT) | instid1(VALU_DEP_2)
	v_cmp_lt_u16_e32 vcc_lo, v7, v5
	v_and_or_b32 v6, 0xffff, v2, v6
	s_delay_alu instid0(VALU_DEP_1) | instskip(SKIP_3) | instid1(VALU_DEP_4)
	v_cndmask_b32_e32 v2, v2, v6, vcc_lo
	v_min_u16 v6, v7, v5
	v_max_u16 v9, v3, v4
	v_min_u16 v3, v3, v4
	v_lshrrev_b32_e32 v8, 16, v2
	s_delay_alu instid0(VALU_DEP_4) | instskip(SKIP_4) | instid1(VALU_DEP_4)
	v_lshlrev_b16 v10, 8, v6
	v_and_b32_e32 v11, 0xff, v2
	v_max_u16 v12, v6, v9
	v_cmp_lt_u16_e32 vcc_lo, v6, v9
	v_and_b32_e32 v8, 0xffffff00, v8
	v_or_b32_e32 v4, v11, v10
	v_lshlrev_b16 v10, 8, v3
	v_min_u16 v11, v6, v9
	s_delay_alu instid0(VALU_DEP_4) | instskip(NEXT) | instid1(VALU_DEP_4)
	v_or_b32_e32 v8, v9, v8
	v_and_b32_e32 v4, 0xffff, v4
	s_delay_alu instid0(VALU_DEP_3) | instskip(NEXT) | instid1(VALU_DEP_3)
	v_or_b32_e32 v10, v11, v10
	v_lshlrev_b32_e32 v8, 16, v8
	s_delay_alu instid0(VALU_DEP_1) | instskip(NEXT) | instid1(VALU_DEP_3)
	v_or_b32_e32 v4, v4, v8
	v_and_b32_e32 v8, 0xffff, v10
	s_delay_alu instid0(VALU_DEP_2) | instskip(SKIP_4) | instid1(VALU_DEP_4)
	v_cndmask_b32_e32 v2, v2, v4, vcc_lo
	v_max_u16 v5, v7, v5
	v_lshlrev_b16 v7, 8, v12
	v_cmp_lt_u16_e32 vcc_lo, v6, v3
	v_mbcnt_lo_u32_b32 v6, -1, 0
	v_cmp_gt_u16_e64 s0, v9, v5
	s_delay_alu instid0(VALU_DEP_4) | instskip(SKIP_2) | instid1(VALU_DEP_4)
	v_or_b32_e32 v4, v5, v7
	v_and_or_b32 v7, 0xffff0000, v2, v8
	v_cndmask_b32_e32 v13, v11, v3, vcc_lo
	v_cndmask_b32_e64 v12, v12, v5, s0
	s_delay_alu instid0(VALU_DEP_4) | instskip(NEXT) | instid1(VALU_DEP_4)
	v_lshlrev_b32_e32 v4, 16, v4
	v_cndmask_b32_e32 v2, v2, v7, vcc_lo
	s_delay_alu instid0(VALU_DEP_3) | instskip(NEXT) | instid1(VALU_DEP_2)
	v_lshlrev_b16 v7, 8, v12
	v_and_or_b32 v4, 0xffff, v2, v4
	s_delay_alu instid0(VALU_DEP_1) | instskip(SKIP_2) | instid1(VALU_DEP_2)
	v_cndmask_b32_e64 v10, v2, v4, s0
	v_lshlrev_b32_e32 v4, 2, v6
	s_mov_b32 s0, 0
	v_lshrrev_b32_e32 v2, 16, v10
	v_and_b32_e32 v3, 0xff, v10
	s_delay_alu instid0(VALU_DEP_2) | instskip(NEXT) | instid1(VALU_DEP_2)
	v_and_b32_e32 v2, 0xffffff00, v2
	v_or_b32_e32 v3, v3, v7
	v_and_b32_e32 v7, 4, v4
	s_delay_alu instid0(VALU_DEP_3) | instskip(NEXT) | instid1(VALU_DEP_3)
	v_or_b32_e32 v9, v13, v2
	v_and_b32_e32 v14, 0xffff, v3
	v_and_b32_e32 v2, 60, v4
	s_delay_alu instid0(VALU_DEP_3) | instskip(NEXT) | instid1(VALU_DEP_2)
	v_lshlrev_b32_e32 v9, 16, v9
	v_mad_u32_u24 v3, 0x41, v0, v2
	v_mul_u32_u24_e32 v0, 0x41, v0
	s_delay_alu instid0(VALU_DEP_3) | instskip(SKIP_1) | instid1(VALU_DEP_1)
	v_or_b32_e32 v14, v14, v9
	v_and_b32_e32 v5, 56, v4
	v_or_b32_e32 v8, 4, v5
	v_add_nc_u32_e32 v6, 8, v5
	s_delay_alu instid0(VALU_DEP_1) | instskip(NEXT) | instid1(VALU_DEP_1)
	v_sub_nc_u32_e32 v11, v6, v8
	v_sub_nc_u32_e32 v16, v7, v11
	v_cmp_ge_i32_e32 vcc_lo, v7, v11
	s_delay_alu instid0(VALU_DEP_2)
	v_cndmask_b32_e32 v11, 0, v16, vcc_lo
	v_cmp_lt_u16_e32 vcc_lo, v12, v13
	v_cndmask_b32_e32 v10, v10, v14, vcc_lo
	v_sub_nc_u32_e32 v15, v8, v5
	ds_store_b32 v3, v10
	v_min_i32_e32 v9, v7, v15
	; wave barrier
	s_delay_alu instid0(VALU_DEP_1)
	v_cmpx_lt_i32_e64 v11, v9
	s_cbranch_execz .LBB112_4
; %bb.1:
	v_add_nc_u32_e32 v10, v0, v5
	s_delay_alu instid0(VALU_DEP_1)
	v_add3_u32 v12, v10, v7, 4
	.p2align	6
.LBB112_2:                              ; =>This Inner Loop Header: Depth=1
	v_sub_nc_u32_e32 v13, v9, v11
	s_delay_alu instid0(VALU_DEP_1) | instskip(NEXT) | instid1(VALU_DEP_1)
	v_lshrrev_b32_e32 v14, 31, v13
	v_add_nc_u32_e32 v13, v13, v14
	s_delay_alu instid0(VALU_DEP_1) | instskip(NEXT) | instid1(VALU_DEP_1)
	v_ashrrev_i32_e32 v13, 1, v13
	v_add_nc_u32_e32 v13, v13, v11
	s_delay_alu instid0(VALU_DEP_1)
	v_add_nc_u32_e32 v16, 1, v13
	v_add_nc_u32_e32 v14, v10, v13
	v_xad_u32 v15, v13, -1, v12
	ds_load_u8 v14, v14
	ds_load_u8 v15, v15
	s_waitcnt lgkmcnt(0)
	v_cmp_lt_u16_e32 vcc_lo, v15, v14
	v_cndmask_b32_e32 v11, v16, v11, vcc_lo
	v_cndmask_b32_e32 v9, v9, v13, vcc_lo
	s_delay_alu instid0(VALU_DEP_1) | instskip(SKIP_1) | instid1(SALU_CYCLE_1)
	v_cmp_ge_i32_e32 vcc_lo, v11, v9
	s_or_b32 s0, vcc_lo, s0
	s_and_not1_b32 exec_lo, exec_lo, s0
	s_cbranch_execnz .LBB112_2
; %bb.3:
	s_or_b32 exec_lo, exec_lo, s0
.LBB112_4:
	s_delay_alu instid0(SALU_CYCLE_1) | instskip(SKIP_4) | instid1(VALU_DEP_4)
	s_or_b32 exec_lo, exec_lo, s1
	v_add_nc_u32_e32 v9, v5, v7
	v_add_nc_u32_e32 v5, v11, v5
	;; [unrolled: 1-line block ×3, first 2 shown]
	v_cmp_lt_i32_e32 vcc_lo, 3, v11
	v_sub_nc_u32_e32 v9, v9, v11
	s_delay_alu instid0(VALU_DEP_4) | instskip(NEXT) | instid1(VALU_DEP_4)
	v_add_nc_u32_e32 v14, v0, v5
	v_sub_nc_u32_e32 v7, v7, v11
                                        ; implicit-def: $vgpr11
	s_delay_alu instid0(VALU_DEP_3)
	v_add_nc_u32_e32 v13, v0, v9
	ds_load_u8 v9, v14
	ds_load_u8 v10, v13 offset:4
	v_cmp_gt_i32_e64 s1, v6, v7
	s_waitcnt lgkmcnt(1)
	v_and_b32_e32 v12, 0xff, v9
	s_waitcnt lgkmcnt(0)
	v_and_b32_e32 v15, 0xff, v10
	s_delay_alu instid0(VALU_DEP_1) | instskip(NEXT) | instid1(VALU_DEP_1)
	v_cmp_lt_u16_e64 s0, v15, v12
                                        ; implicit-def: $vgpr12
	s_or_b32 s0, vcc_lo, s0
	s_delay_alu instid0(SALU_CYCLE_1) | instskip(NEXT) | instid1(SALU_CYCLE_1)
	s_and_b32 vcc_lo, s1, s0
	s_xor_b32 s0, vcc_lo, -1
	s_delay_alu instid0(SALU_CYCLE_1) | instskip(NEXT) | instid1(SALU_CYCLE_1)
	s_and_saveexec_b32 s1, s0
	s_xor_b32 s0, exec_lo, s1
	s_cbranch_execz .LBB112_6
; %bb.5:
	ds_load_u8 v12, v14 offset:1
	v_mov_b32_e32 v11, v10
                                        ; implicit-def: $vgpr13
.LBB112_6:
	s_and_not1_saveexec_b32 s0, s0
	s_cbranch_execz .LBB112_8
; %bb.7:
	ds_load_u8 v11, v13 offset:5
	s_waitcnt lgkmcnt(1)
	v_mov_b32_e32 v12, v9
.LBB112_8:
	s_or_b32 exec_lo, exec_lo, s0
	v_add_nc_u32_e32 v13, 1, v5
	v_add_nc_u32_e32 v15, 1, v7
	s_waitcnt lgkmcnt(0)
	v_and_b32_e32 v16, 0xff, v12
	s_delay_alu instid0(VALU_DEP_2) | instskip(SKIP_1) | instid1(VALU_DEP_2)
	v_dual_cndmask_b32 v14, v13, v5 :: v_dual_cndmask_b32 v13, v7, v15
	v_and_b32_e32 v5, 0xff, v11
	v_cmp_ge_i32_e64 s0, v14, v8
	s_delay_alu instid0(VALU_DEP_3) | instskip(NEXT) | instid1(VALU_DEP_3)
	v_cmp_lt_i32_e64 s2, v13, v6
	v_cmp_lt_u16_e64 s1, v5, v16
                                        ; implicit-def: $vgpr5
	s_delay_alu instid0(VALU_DEP_1)
	s_or_b32 s0, s0, s1
	s_delay_alu instid0(VALU_DEP_2) | instid1(SALU_CYCLE_1)
	s_and_b32 s0, s2, s0
	s_delay_alu instid0(SALU_CYCLE_1) | instskip(NEXT) | instid1(SALU_CYCLE_1)
	s_xor_b32 s1, s0, -1
	s_and_saveexec_b32 s2, s1
	s_delay_alu instid0(SALU_CYCLE_1)
	s_xor_b32 s1, exec_lo, s2
	s_cbranch_execz .LBB112_10
; %bb.9:
	v_add_nc_u32_e32 v5, v0, v14
	ds_load_u8 v5, v5 offset:1
.LBB112_10:
	s_or_saveexec_b32 s1, s1
	v_mov_b32_e32 v7, v11
	s_xor_b32 exec_lo, exec_lo, s1
	s_cbranch_execz .LBB112_12
; %bb.11:
	s_waitcnt lgkmcnt(0)
	v_add_nc_u32_e32 v5, v0, v13
	ds_load_u8 v7, v5 offset:1
	v_mov_b32_e32 v5, v12
.LBB112_12:
	s_or_b32 exec_lo, exec_lo, s1
	v_add_nc_u32_e32 v15, 1, v14
	v_add_nc_u32_e32 v16, 1, v13
	s_waitcnt lgkmcnt(0)
	v_and_b32_e32 v17, 0xff, v5
	s_delay_alu instid0(VALU_DEP_3) | instskip(SKIP_2) | instid1(VALU_DEP_3)
	v_cndmask_b32_e64 v14, v15, v14, s0
	v_and_b32_e32 v15, 0xff, v7
	v_cndmask_b32_e64 v16, v13, v16, s0
	v_cmp_ge_i32_e64 s1, v14, v8
	s_delay_alu instid0(VALU_DEP_3) | instskip(NEXT) | instid1(VALU_DEP_3)
	v_cmp_lt_u16_e64 s2, v15, v17
	v_cmp_lt_i32_e64 s3, v16, v6
                                        ; implicit-def: $vgpr15
	s_delay_alu instid0(VALU_DEP_2)
	s_or_b32 s1, s1, s2
	s_delay_alu instid0(VALU_DEP_1) | instid1(SALU_CYCLE_1)
	s_and_b32 s1, s3, s1
	s_delay_alu instid0(SALU_CYCLE_1) | instskip(NEXT) | instid1(SALU_CYCLE_1)
	s_xor_b32 s2, s1, -1
	s_and_saveexec_b32 s3, s2
	s_delay_alu instid0(SALU_CYCLE_1)
	s_xor_b32 s2, exec_lo, s3
	s_cbranch_execz .LBB112_14
; %bb.13:
	v_add_nc_u32_e32 v13, v0, v14
	ds_load_u8 v15, v13 offset:1
.LBB112_14:
	s_or_saveexec_b32 s2, s2
	v_mov_b32_e32 v17, v7
	s_xor_b32 exec_lo, exec_lo, s2
	s_cbranch_execz .LBB112_16
; %bb.15:
	v_add_nc_u32_e32 v13, v0, v16
	s_waitcnt lgkmcnt(0)
	v_mov_b32_e32 v15, v5
	ds_load_u8 v17, v13 offset:1
.LBB112_16:
	s_or_b32 exec_lo, exec_lo, s2
	v_dual_cndmask_b32 v9, v9, v10 :: v_dual_add_nc_u32 v18, 1, v16
	v_add_nc_u32_e32 v19, 1, v14
	s_waitcnt lgkmcnt(0)
	v_and_b32_e32 v21, 0xff, v17
	v_cndmask_b32_e64 v20, v5, v7, s1
	v_cndmask_b32_e64 v16, v16, v18, s1
	;; [unrolled: 1-line block ×4, first 2 shown]
	v_and_b32_e32 v19, 0xff, v15
	v_and_b32_e32 v14, 12, v4
	v_cmp_lt_i32_e32 vcc_lo, v16, v6
	s_delay_alu instid0(VALU_DEP_4) | instskip(NEXT) | instid1(VALU_DEP_4)
	v_cmp_ge_i32_e64 s0, v18, v8
	v_cmp_lt_u16_e64 s1, v21, v19
	; wave barrier
	s_delay_alu instid0(VALU_DEP_1) | instskip(NEXT) | instid1(SALU_CYCLE_1)
	s_or_b32 s1, s0, s1
	s_and_b32 vcc_lo, vcc_lo, s1
	v_and_b32_e32 v13, 48, v4
	s_mov_b32 s1, 0
	s_delay_alu instid0(VALU_DEP_1) | instskip(SKIP_1) | instid1(VALU_DEP_2)
	v_or_b32_e32 v7, 8, v13
	v_add_nc_u32_e32 v5, 16, v13
	v_sub_nc_u32_e32 v10, v7, v13
	s_delay_alu instid0(VALU_DEP_2) | instskip(NEXT) | instid1(VALU_DEP_1)
	v_sub_nc_u32_e32 v22, v5, v7
	v_sub_nc_u32_e32 v8, v14, v22
	v_cmp_ge_i32_e64 s0, v14, v22
	s_delay_alu instid0(VALU_DEP_1)
	v_cndmask_b32_e64 v6, 0, v8, s0
	v_min_i32_e32 v8, v14, v10
	v_cndmask_b32_e32 v10, v15, v17, vcc_lo
	s_mov_b32 s0, exec_lo
	ds_store_b8 v3, v9
	ds_store_b8 v3, v11 offset:1
	ds_store_b8 v3, v20 offset:2
	;; [unrolled: 1-line block ×3, first 2 shown]
	; wave barrier
	v_cmpx_lt_i32_e64 v6, v8
	s_cbranch_execz .LBB112_20
; %bb.17:
	v_add_nc_u32_e32 v9, v0, v13
	s_delay_alu instid0(VALU_DEP_1)
	v_add3_u32 v10, v9, v14, 8
	.p2align	6
.LBB112_18:                             ; =>This Inner Loop Header: Depth=1
	v_sub_nc_u32_e32 v11, v8, v6
	s_delay_alu instid0(VALU_DEP_1) | instskip(NEXT) | instid1(VALU_DEP_1)
	v_lshrrev_b32_e32 v12, 31, v11
	v_add_nc_u32_e32 v11, v11, v12
	s_delay_alu instid0(VALU_DEP_1) | instskip(NEXT) | instid1(VALU_DEP_1)
	v_ashrrev_i32_e32 v11, 1, v11
	v_add_nc_u32_e32 v11, v11, v6
	s_delay_alu instid0(VALU_DEP_1)
	v_add_nc_u32_e32 v12, v9, v11
	v_xad_u32 v15, v11, -1, v10
	v_add_nc_u32_e32 v16, 1, v11
	ds_load_u8 v12, v12
	ds_load_u8 v15, v15
	s_waitcnt lgkmcnt(0)
	v_cmp_lt_u16_e32 vcc_lo, v15, v12
	v_cndmask_b32_e32 v6, v16, v6, vcc_lo
	v_cndmask_b32_e32 v8, v8, v11, vcc_lo
	s_delay_alu instid0(VALU_DEP_1) | instskip(SKIP_1) | instid1(SALU_CYCLE_1)
	v_cmp_ge_i32_e32 vcc_lo, v6, v8
	s_or_b32 s1, vcc_lo, s1
	s_and_not1_b32 exec_lo, exec_lo, s1
	s_cbranch_execnz .LBB112_18
; %bb.19:
	s_or_b32 exec_lo, exec_lo, s1
.LBB112_20:
	s_delay_alu instid0(SALU_CYCLE_1) | instskip(SKIP_4) | instid1(VALU_DEP_4)
	s_or_b32 exec_lo, exec_lo, s0
	v_add_nc_u32_e32 v9, v13, v14
	v_add_nc_u32_e32 v8, v6, v13
	;; [unrolled: 1-line block ×3, first 2 shown]
	v_cmp_lt_i32_e32 vcc_lo, 7, v6
	v_sub_nc_u32_e32 v9, v9, v6
	s_delay_alu instid0(VALU_DEP_4) | instskip(NEXT) | instid1(VALU_DEP_4)
	v_add_nc_u32_e32 v16, v0, v8
	v_sub_nc_u32_e32 v13, v11, v6
                                        ; implicit-def: $vgpr11
	s_delay_alu instid0(VALU_DEP_3)
	v_add_nc_u32_e32 v15, v0, v9
	ds_load_u8 v9, v16
	ds_load_u8 v10, v15 offset:8
	v_cmp_gt_i32_e64 s1, v5, v13
	s_waitcnt lgkmcnt(1)
	v_and_b32_e32 v12, 0xff, v9
	s_waitcnt lgkmcnt(0)
	v_and_b32_e32 v14, 0xff, v10
	s_delay_alu instid0(VALU_DEP_1) | instskip(NEXT) | instid1(VALU_DEP_1)
	v_cmp_lt_u16_e64 s0, v14, v12
                                        ; implicit-def: $vgpr12
	s_or_b32 s0, vcc_lo, s0
	s_delay_alu instid0(SALU_CYCLE_1) | instskip(NEXT) | instid1(SALU_CYCLE_1)
	s_and_b32 vcc_lo, s1, s0
	s_xor_b32 s0, vcc_lo, -1
	s_delay_alu instid0(SALU_CYCLE_1) | instskip(NEXT) | instid1(SALU_CYCLE_1)
	s_and_saveexec_b32 s1, s0
	s_xor_b32 s0, exec_lo, s1
	s_cbranch_execz .LBB112_22
; %bb.21:
	ds_load_u8 v12, v16 offset:1
	v_mov_b32_e32 v11, v10
                                        ; implicit-def: $vgpr15
.LBB112_22:
	s_and_not1_saveexec_b32 s0, s0
	s_cbranch_execz .LBB112_24
; %bb.23:
	ds_load_u8 v11, v15 offset:9
	s_waitcnt lgkmcnt(1)
	v_mov_b32_e32 v12, v9
.LBB112_24:
	s_or_b32 exec_lo, exec_lo, s0
	v_add_nc_u32_e32 v15, 1, v13
	v_add_nc_u32_e32 v6, 1, v8
	s_waitcnt lgkmcnt(0)
	s_delay_alu instid0(VALU_DEP_2) | instskip(NEXT) | instid1(VALU_DEP_2)
	v_dual_cndmask_b32 v13, v13, v15 :: v_dual_and_b32 v16, 0xff, v12
	v_cndmask_b32_e32 v14, v6, v8, vcc_lo
	v_and_b32_e32 v6, 0xff, v11
	s_delay_alu instid0(VALU_DEP_3) | instskip(NEXT) | instid1(VALU_DEP_3)
	v_cmp_lt_i32_e64 s2, v13, v5
	v_cmp_ge_i32_e64 s0, v14, v7
	s_delay_alu instid0(VALU_DEP_3) | instskip(NEXT) | instid1(VALU_DEP_1)
	v_cmp_lt_u16_e64 s1, v6, v16
                                        ; implicit-def: $vgpr6
	s_or_b32 s0, s0, s1
	s_delay_alu instid0(VALU_DEP_3) | instid1(SALU_CYCLE_1)
	s_and_b32 s0, s2, s0
	s_delay_alu instid0(SALU_CYCLE_1) | instskip(NEXT) | instid1(SALU_CYCLE_1)
	s_xor_b32 s1, s0, -1
	s_and_saveexec_b32 s2, s1
	s_delay_alu instid0(SALU_CYCLE_1)
	s_xor_b32 s1, exec_lo, s2
	s_cbranch_execz .LBB112_26
; %bb.25:
	v_add_nc_u32_e32 v6, v0, v14
	ds_load_u8 v6, v6 offset:1
.LBB112_26:
	s_or_saveexec_b32 s1, s1
	v_mov_b32_e32 v8, v11
	s_xor_b32 exec_lo, exec_lo, s1
	s_cbranch_execz .LBB112_28
; %bb.27:
	s_waitcnt lgkmcnt(0)
	v_add_nc_u32_e32 v6, v0, v13
	ds_load_u8 v8, v6 offset:1
	v_mov_b32_e32 v6, v12
.LBB112_28:
	s_or_b32 exec_lo, exec_lo, s1
	v_add_nc_u32_e32 v15, 1, v14
	v_add_nc_u32_e32 v16, 1, v13
	s_waitcnt lgkmcnt(0)
	v_and_b32_e32 v17, 0xff, v6
	s_delay_alu instid0(VALU_DEP_3) | instskip(SKIP_2) | instid1(VALU_DEP_3)
	v_cndmask_b32_e64 v14, v15, v14, s0
	v_and_b32_e32 v15, 0xff, v8
	v_cndmask_b32_e64 v16, v13, v16, s0
	v_cmp_ge_i32_e64 s1, v14, v7
	s_delay_alu instid0(VALU_DEP_3) | instskip(NEXT) | instid1(VALU_DEP_3)
	v_cmp_lt_u16_e64 s2, v15, v17
	v_cmp_lt_i32_e64 s3, v16, v5
                                        ; implicit-def: $vgpr15
	s_delay_alu instid0(VALU_DEP_2)
	s_or_b32 s1, s1, s2
	s_delay_alu instid0(VALU_DEP_1) | instid1(SALU_CYCLE_1)
	s_and_b32 s1, s3, s1
	s_delay_alu instid0(SALU_CYCLE_1) | instskip(NEXT) | instid1(SALU_CYCLE_1)
	s_xor_b32 s2, s1, -1
	s_and_saveexec_b32 s3, s2
	s_delay_alu instid0(SALU_CYCLE_1)
	s_xor_b32 s2, exec_lo, s3
	s_cbranch_execz .LBB112_30
; %bb.29:
	v_add_nc_u32_e32 v13, v0, v14
	ds_load_u8 v15, v13 offset:1
.LBB112_30:
	s_or_saveexec_b32 s2, s2
	v_mov_b32_e32 v17, v8
	s_xor_b32 exec_lo, exec_lo, s2
	s_cbranch_execz .LBB112_32
; %bb.31:
	v_add_nc_u32_e32 v13, v0, v16
	s_waitcnt lgkmcnt(0)
	v_mov_b32_e32 v15, v6
	ds_load_u8 v17, v13 offset:1
.LBB112_32:
	s_or_b32 exec_lo, exec_lo, s2
	v_dual_cndmask_b32 v9, v9, v10 :: v_dual_add_nc_u32 v18, 1, v16
	v_add_nc_u32_e32 v19, 1, v14
	s_waitcnt lgkmcnt(0)
	v_and_b32_e32 v21, 0xff, v17
	v_and_b32_e32 v13, 32, v4
	v_cndmask_b32_e64 v16, v16, v18, s1
	v_cndmask_b32_e64 v20, v6, v8, s1
	;; [unrolled: 1-line block ×3, first 2 shown]
	v_and_b32_e32 v19, 0xff, v15
	v_cndmask_b32_e64 v11, v12, v11, s0
	v_or_b32_e32 v8, 16, v13
	v_add_nc_u32_e32 v6, 32, v13
	v_cmp_ge_i32_e64 s0, v18, v7
	v_cmp_lt_u16_e64 s1, v21, v19
	v_cmp_lt_i32_e32 vcc_lo, v16, v5
	v_sub_nc_u32_e32 v10, v8, v13
	; wave barrier
	s_delay_alu instid0(VALU_DEP_3) | instskip(NEXT) | instid1(SALU_CYCLE_1)
	s_or_b32 s1, s0, s1
	s_and_b32 vcc_lo, vcc_lo, s1
	v_dual_cndmask_b32 v5, v15, v17 :: v_dual_and_b32 v14, 28, v4
	v_sub_nc_u32_e32 v4, v6, v8
	s_mov_b32 s1, 0
	ds_store_b8 v3, v9
	ds_store_b8 v3, v11 offset:1
	ds_store_b8 v3, v20 offset:2
	;; [unrolled: 1-line block ×3, first 2 shown]
	; wave barrier
	v_sub_nc_u32_e32 v7, v14, v4
	v_cmp_ge_i32_e64 s0, v14, v4
	v_min_i32_e32 v4, v14, v10
	s_delay_alu instid0(VALU_DEP_2) | instskip(SKIP_1) | instid1(VALU_DEP_1)
	v_cndmask_b32_e64 v7, 0, v7, s0
	s_mov_b32 s0, exec_lo
	v_cmpx_lt_i32_e64 v7, v4
	s_cbranch_execz .LBB112_36
; %bb.33:
	v_add_nc_u32_e32 v5, v0, v13
	s_delay_alu instid0(VALU_DEP_1)
	v_add3_u32 v9, v5, v14, 16
	.p2align	6
.LBB112_34:                             ; =>This Inner Loop Header: Depth=1
	v_sub_nc_u32_e32 v10, v4, v7
	s_delay_alu instid0(VALU_DEP_1) | instskip(NEXT) | instid1(VALU_DEP_1)
	v_lshrrev_b32_e32 v11, 31, v10
	v_add_nc_u32_e32 v10, v10, v11
	s_delay_alu instid0(VALU_DEP_1) | instskip(NEXT) | instid1(VALU_DEP_1)
	v_ashrrev_i32_e32 v10, 1, v10
	v_add_nc_u32_e32 v10, v10, v7
	s_delay_alu instid0(VALU_DEP_1)
	v_add_nc_u32_e32 v11, v5, v10
	v_xad_u32 v12, v10, -1, v9
	v_add_nc_u32_e32 v15, 1, v10
	ds_load_u8 v11, v11
	ds_load_u8 v12, v12
	s_waitcnt lgkmcnt(0)
	v_cmp_lt_u16_e32 vcc_lo, v12, v11
	v_dual_cndmask_b32 v4, v4, v10 :: v_dual_cndmask_b32 v7, v15, v7
	s_delay_alu instid0(VALU_DEP_1) | instskip(SKIP_1) | instid1(SALU_CYCLE_1)
	v_cmp_ge_i32_e32 vcc_lo, v7, v4
	s_or_b32 s1, vcc_lo, s1
	s_and_not1_b32 exec_lo, exec_lo, s1
	s_cbranch_execnz .LBB112_34
; %bb.35:
	s_or_b32 exec_lo, exec_lo, s1
.LBB112_36:
	s_delay_alu instid0(SALU_CYCLE_1) | instskip(SKIP_4) | instid1(VALU_DEP_4)
	s_or_b32 exec_lo, exec_lo, s0
	v_add_nc_u32_e32 v4, v13, v14
	v_add_nc_u32_e32 v10, v7, v13
	v_add_nc_u32_e32 v9, v8, v14
	v_cmp_lt_i32_e32 vcc_lo, 15, v7
	v_sub_nc_u32_e32 v4, v4, v7
	s_delay_alu instid0(VALU_DEP_4) | instskip(NEXT) | instid1(VALU_DEP_4)
	v_add_nc_u32_e32 v13, v0, v10
	v_sub_nc_u32_e32 v11, v9, v7
                                        ; implicit-def: $vgpr7
                                        ; implicit-def: $vgpr9
	s_delay_alu instid0(VALU_DEP_3)
	v_add_nc_u32_e32 v12, v0, v4
	ds_load_u8 v4, v13
	ds_load_u8 v5, v12 offset:16
	v_cmp_gt_i32_e64 s1, v6, v11
	s_waitcnt lgkmcnt(1)
	v_and_b32_e32 v14, 0xff, v4
	s_waitcnt lgkmcnt(0)
	v_and_b32_e32 v15, 0xff, v5
	s_delay_alu instid0(VALU_DEP_1) | instskip(NEXT) | instid1(VALU_DEP_1)
	v_cmp_lt_u16_e64 s0, v15, v14
	s_or_b32 s0, vcc_lo, s0
	s_delay_alu instid0(SALU_CYCLE_1) | instskip(NEXT) | instid1(SALU_CYCLE_1)
	s_and_b32 vcc_lo, s1, s0
	s_xor_b32 s0, vcc_lo, -1
	s_delay_alu instid0(SALU_CYCLE_1) | instskip(NEXT) | instid1(SALU_CYCLE_1)
	s_and_saveexec_b32 s1, s0
	s_xor_b32 s0, exec_lo, s1
	s_cbranch_execz .LBB112_38
; %bb.37:
	ds_load_u8 v9, v13 offset:1
	v_mov_b32_e32 v7, v5
                                        ; implicit-def: $vgpr12
.LBB112_38:
	s_and_not1_saveexec_b32 s0, s0
	s_cbranch_execz .LBB112_40
; %bb.39:
	ds_load_u8 v7, v12 offset:17
	s_waitcnt lgkmcnt(1)
	v_mov_b32_e32 v9, v4
.LBB112_40:
	s_or_b32 exec_lo, exec_lo, s0
	v_add_nc_u32_e32 v12, 1, v10
	v_add_nc_u32_e32 v14, 1, v11
	s_waitcnt lgkmcnt(0)
	v_and_b32_e32 v15, 0xff, v9
	s_delay_alu instid0(VALU_DEP_3) | instskip(NEXT) | instid1(VALU_DEP_3)
	v_cndmask_b32_e32 v13, v12, v10, vcc_lo
	v_cndmask_b32_e32 v12, v11, v14, vcc_lo
	v_and_b32_e32 v10, 0xff, v7
	s_delay_alu instid0(VALU_DEP_3) | instskip(NEXT) | instid1(VALU_DEP_3)
	v_cmp_ge_i32_e64 s0, v13, v8
	v_cmp_lt_i32_e64 s2, v12, v6
	s_delay_alu instid0(VALU_DEP_3) | instskip(NEXT) | instid1(VALU_DEP_1)
	v_cmp_lt_u16_e64 s1, v10, v15
                                        ; implicit-def: $vgpr10
	s_or_b32 s0, s0, s1
	s_delay_alu instid0(VALU_DEP_2) | instid1(SALU_CYCLE_1)
	s_and_b32 s0, s2, s0
	s_delay_alu instid0(SALU_CYCLE_1) | instskip(NEXT) | instid1(SALU_CYCLE_1)
	s_xor_b32 s1, s0, -1
	s_and_saveexec_b32 s2, s1
	s_delay_alu instid0(SALU_CYCLE_1)
	s_xor_b32 s1, exec_lo, s2
	s_cbranch_execz .LBB112_42
; %bb.41:
	v_add_nc_u32_e32 v10, v0, v13
	ds_load_u8 v10, v10 offset:1
.LBB112_42:
	s_or_saveexec_b32 s1, s1
	v_mov_b32_e32 v11, v7
	s_xor_b32 exec_lo, exec_lo, s1
	s_cbranch_execz .LBB112_44
; %bb.43:
	s_waitcnt lgkmcnt(0)
	v_add_nc_u32_e32 v10, v0, v12
	ds_load_u8 v11, v10 offset:1
	v_mov_b32_e32 v10, v9
.LBB112_44:
	s_or_b32 exec_lo, exec_lo, s1
	v_add_nc_u32_e32 v14, 1, v13
	v_add_nc_u32_e32 v15, 1, v12
	s_waitcnt lgkmcnt(0)
	v_and_b32_e32 v16, 0xff, v10
	v_and_b32_e32 v17, 0xff, v11
	v_cndmask_b32_e64 v14, v14, v13, s0
	v_cndmask_b32_e64 v13, v12, v15, s0
                                        ; implicit-def: $vgpr12
	s_delay_alu instid0(VALU_DEP_3) | instskip(NEXT) | instid1(VALU_DEP_3)
	v_cmp_lt_u16_e64 s2, v17, v16
	v_cmp_ge_i32_e64 s1, v14, v8
	s_delay_alu instid0(VALU_DEP_3) | instskip(NEXT) | instid1(VALU_DEP_2)
	v_cmp_lt_i32_e64 s3, v13, v6
	s_or_b32 s1, s1, s2
	s_delay_alu instid0(VALU_DEP_1) | instid1(SALU_CYCLE_1)
	s_and_b32 s1, s3, s1
	s_delay_alu instid0(SALU_CYCLE_1) | instskip(NEXT) | instid1(SALU_CYCLE_1)
	s_xor_b32 s2, s1, -1
	s_and_saveexec_b32 s3, s2
	s_delay_alu instid0(SALU_CYCLE_1)
	s_xor_b32 s2, exec_lo, s3
	s_cbranch_execz .LBB112_46
; %bb.45:
	v_add_nc_u32_e32 v12, v0, v14
	ds_load_u8 v12, v12 offset:1
.LBB112_46:
	s_or_saveexec_b32 s2, s2
	v_mov_b32_e32 v15, v11
	s_xor_b32 exec_lo, exec_lo, s2
	s_cbranch_execz .LBB112_48
; %bb.47:
	s_waitcnt lgkmcnt(0)
	v_add_nc_u32_e32 v12, v0, v13
	ds_load_u8 v15, v12 offset:1
	v_mov_b32_e32 v12, v10
.LBB112_48:
	s_or_b32 exec_lo, exec_lo, s2
	v_dual_cndmask_b32 v5, v4, v5 :: v_dual_add_nc_u32 v16, 1, v14
	v_add_nc_u32_e32 v17, 1, v13
	s_waitcnt lgkmcnt(0)
	v_and_b32_e32 v18, 0xff, v12
	v_and_b32_e32 v19, 0xff, v15
	v_cndmask_b32_e64 v14, v16, v14, s1
	v_cndmask_b32_e64 v10, v10, v11, s1
	;; [unrolled: 1-line block ×4, first 2 shown]
	v_cmp_lt_u16_e64 s0, v19, v18
	v_cmp_ge_i32_e64 s1, v14, v8
	v_min_i32_e32 v4, 32, v2
	v_cmp_lt_i32_e32 vcc_lo, v11, v6
	v_sub_nc_u32_e64 v6, v2, 32 clamp
	s_delay_alu instid0(VALU_DEP_4) | instskip(NEXT) | instid1(SALU_CYCLE_1)
	s_or_b32 s0, s1, s0
	; wave barrier
	s_and_b32 vcc_lo, vcc_lo, s0
	s_mov_b32 s0, exec_lo
	v_cndmask_b32_e32 v8, v12, v15, vcc_lo
	ds_store_b8 v3, v5
	ds_store_b8 v3, v7 offset:1
	ds_store_b8 v3, v10 offset:2
	;; [unrolled: 1-line block ×3, first 2 shown]
	; wave barrier
	v_cmpx_lt_u32_e64 v6, v4
	s_cbranch_execz .LBB112_52
; %bb.49:
	s_mov_b32 s1, 0
	.p2align	6
.LBB112_50:                             ; =>This Inner Loop Header: Depth=1
	v_sub_nc_u32_e32 v5, v4, v6
	s_delay_alu instid0(VALU_DEP_1) | instskip(NEXT) | instid1(VALU_DEP_1)
	v_lshrrev_b32_e32 v7, 31, v5
	v_add_nc_u32_e32 v5, v5, v7
	s_delay_alu instid0(VALU_DEP_1) | instskip(NEXT) | instid1(VALU_DEP_1)
	v_ashrrev_i32_e32 v5, 1, v5
	v_add_nc_u32_e32 v5, v5, v6
	s_delay_alu instid0(VALU_DEP_1)
	v_add_nc_u32_e32 v9, 1, v5
	v_add_nc_u32_e32 v7, v0, v5
	v_xad_u32 v8, v5, -1, v3
	ds_load_u8 v7, v7
	ds_load_u8 v8, v8 offset:32
	s_waitcnt lgkmcnt(0)
	v_cmp_lt_u16_e32 vcc_lo, v8, v7
	v_cndmask_b32_e32 v6, v9, v6, vcc_lo
	v_cndmask_b32_e32 v4, v4, v5, vcc_lo
	s_delay_alu instid0(VALU_DEP_1) | instskip(SKIP_1) | instid1(SALU_CYCLE_1)
	v_cmp_ge_i32_e32 vcc_lo, v6, v4
	s_or_b32 s1, vcc_lo, s1
	s_and_not1_b32 exec_lo, exec_lo, s1
	s_cbranch_execnz .LBB112_50
; %bb.51:
	s_or_b32 exec_lo, exec_lo, s1
.LBB112_52:
	s_delay_alu instid0(SALU_CYCLE_1) | instskip(SKIP_3) | instid1(VALU_DEP_3)
	s_or_b32 exec_lo, exec_lo, s0
	v_sub_nc_u32_e32 v4, v2, v6
	v_add_nc_u32_e32 v9, v0, v6
	v_cmp_lt_i32_e32 vcc_lo, 31, v6
	v_add_nc_u32_e32 v8, v0, v4
	v_add_nc_u32_e32 v7, 32, v4
                                        ; implicit-def: $vgpr4
	ds_load_u8 v2, v9
	ds_load_u8 v3, v8 offset:32
	v_cmp_gt_i32_e64 s1, 64, v7
	s_waitcnt lgkmcnt(1)
	v_and_b32_e32 v5, 0xff, v2
	s_waitcnt lgkmcnt(0)
	v_and_b32_e32 v10, 0xff, v3
	s_delay_alu instid0(VALU_DEP_1) | instskip(NEXT) | instid1(VALU_DEP_1)
	v_cmp_lt_u16_e64 s0, v10, v5
                                        ; implicit-def: $vgpr5
	s_or_b32 s0, vcc_lo, s0
	s_delay_alu instid0(SALU_CYCLE_1) | instskip(NEXT) | instid1(SALU_CYCLE_1)
	s_and_b32 vcc_lo, s1, s0
	s_xor_b32 s0, vcc_lo, -1
	s_delay_alu instid0(SALU_CYCLE_1) | instskip(NEXT) | instid1(SALU_CYCLE_1)
	s_and_saveexec_b32 s1, s0
	s_xor_b32 s0, exec_lo, s1
	s_cbranch_execz .LBB112_54
; %bb.53:
	ds_load_u8 v5, v9 offset:1
	v_mov_b32_e32 v4, v3
                                        ; implicit-def: $vgpr8
.LBB112_54:
	s_and_not1_saveexec_b32 s0, s0
	s_cbranch_execz .LBB112_56
; %bb.55:
	ds_load_u8 v4, v8 offset:33
	s_waitcnt lgkmcnt(1)
	v_mov_b32_e32 v5, v2
.LBB112_56:
	s_or_b32 exec_lo, exec_lo, s0
	v_add_nc_u32_e32 v8, 1, v6
	v_add_nc_u32_e32 v10, 1, v7
	s_waitcnt lgkmcnt(0)
	v_and_b32_e32 v11, 0xff, v5
	s_delay_alu instid0(VALU_DEP_3) | instskip(NEXT) | instid1(VALU_DEP_3)
	v_cndmask_b32_e32 v9, v8, v6, vcc_lo
	v_cndmask_b32_e32 v8, v7, v10, vcc_lo
	v_and_b32_e32 v6, 0xff, v4
                                        ; implicit-def: $vgpr7
	s_delay_alu instid0(VALU_DEP_3) | instskip(NEXT) | instid1(VALU_DEP_3)
	v_cmp_lt_i32_e64 s0, 31, v9
	v_cmp_gt_i32_e64 s2, 64, v8
	s_delay_alu instid0(VALU_DEP_3) | instskip(NEXT) | instid1(VALU_DEP_1)
	v_cmp_lt_u16_e64 s1, v6, v11
	s_or_b32 s0, s0, s1
	s_delay_alu instid0(VALU_DEP_2) | instid1(SALU_CYCLE_1)
	s_and_b32 s0, s2, s0
	s_delay_alu instid0(SALU_CYCLE_1) | instskip(NEXT) | instid1(SALU_CYCLE_1)
	s_xor_b32 s1, s0, -1
	s_and_saveexec_b32 s2, s1
	s_delay_alu instid0(SALU_CYCLE_1)
	s_xor_b32 s1, exec_lo, s2
	s_cbranch_execz .LBB112_58
; %bb.57:
	v_add_nc_u32_e32 v6, v0, v9
	ds_load_u8 v7, v6 offset:1
.LBB112_58:
	s_or_saveexec_b32 s1, s1
	v_mov_b32_e32 v6, v4
	s_xor_b32 exec_lo, exec_lo, s1
	s_cbranch_execz .LBB112_60
; %bb.59:
	s_waitcnt lgkmcnt(0)
	v_dual_mov_b32 v7, v5 :: v_dual_add_nc_u32 v6, v0, v8
	ds_load_u8 v6, v6 offset:1
.LBB112_60:
	s_or_b32 exec_lo, exec_lo, s1
	v_add_nc_u32_e32 v10, 1, v9
	v_add_nc_u32_e32 v12, 1, v8
	s_waitcnt lgkmcnt(0)
	v_and_b32_e32 v13, 0xff, v7
	s_delay_alu instid0(VALU_DEP_3) | instskip(SKIP_2) | instid1(VALU_DEP_3)
	v_cndmask_b32_e64 v11, v10, v9, s0
	v_and_b32_e32 v9, 0xff, v6
	v_cndmask_b32_e64 v8, v8, v12, s0
                                        ; implicit-def: $vgpr10
	v_cmp_gt_i32_e64 s1, 32, v11
	s_delay_alu instid0(VALU_DEP_3) | instskip(NEXT) | instid1(VALU_DEP_3)
	v_cmp_ge_u16_e64 s2, v9, v13
	v_cmp_lt_i32_e64 s3, 63, v8
                                        ; implicit-def: $vgpr9
	s_delay_alu instid0(VALU_DEP_2)
	s_and_b32 s1, s1, s2
	s_delay_alu instid0(VALU_DEP_1) | instid1(SALU_CYCLE_1)
	s_or_b32 s1, s3, s1
	s_delay_alu instid0(SALU_CYCLE_1) | instskip(NEXT) | instid1(SALU_CYCLE_1)
	s_and_saveexec_b32 s2, s1
	s_xor_b32 s1, exec_lo, s2
	s_cbranch_execz .LBB112_62
; %bb.61:
	v_add_nc_u32_e32 v0, v0, v11
	v_add_nc_u32_e32 v10, 1, v11
                                        ; implicit-def: $vgpr11
	ds_load_u8 v9, v0 offset:1
                                        ; implicit-def: $vgpr0
.LBB112_62:
	s_or_saveexec_b32 s1, s1
	v_mov_b32_e32 v12, v7
	s_xor_b32 exec_lo, exec_lo, s1
	s_cbranch_execz .LBB112_64
; %bb.63:
	s_waitcnt lgkmcnt(0)
	v_dual_mov_b32 v9, v7 :: v_dual_add_nc_u32 v0, v0, v8
	v_add_nc_u32_e32 v8, 1, v8
	v_mov_b32_e32 v12, v6
	v_mov_b32_e32 v10, v11
	ds_load_u8 v0, v0 offset:1
	s_waitcnt lgkmcnt(0)
	v_mov_b32_e32 v6, v0
.LBB112_64:
	s_or_b32 exec_lo, exec_lo, s1
	s_waitcnt lgkmcnt(0)
	v_and_b32_e32 v0, 0xff, v9
	s_delay_alu instid0(VALU_DEP_2) | instskip(SKIP_2) | instid1(VALU_DEP_3)
	v_dual_cndmask_b32 v2, v2, v3 :: v_dual_and_b32 v7, 0xff, v6
	v_cmp_lt_i32_e64 s1, 31, v10
	v_cmp_gt_i32_e64 s3, 64, v8
	v_cmp_lt_u16_e64 s2, v7, v0
	v_cndmask_b32_e64 v0, v5, v4, s0
	v_and_b32_e32 v2, 0xff, v2
	v_and_b32_e32 v4, 0xff, v12
	s_delay_alu instid0(VALU_DEP_4) | instskip(NEXT) | instid1(VALU_DEP_3)
	s_or_b32 s0, s1, s2
	v_lshlrev_b16 v0, 8, v0
	s_and_b32 vcc_lo, s3, s0
	s_add_u32 s0, s6, s8
	v_cndmask_b32_e32 v3, v9, v6, vcc_lo
	s_addc_u32 s1, s7, 0
	v_or_b32_e32 v0, v2, v0
	s_delay_alu instid0(VALU_DEP_2) | instskip(NEXT) | instid1(VALU_DEP_1)
	v_lshlrev_b16 v3, 8, v3
	v_or_b32_e32 v2, v4, v3
	s_delay_alu instid0(VALU_DEP_3) | instskip(SKIP_1) | instid1(VALU_DEP_1)
	v_and_b32_e32 v3, 0xffff, v0
	v_add_co_u32 v0, s0, s0, v1
	v_add_co_ci_u32_e64 v1, null, s1, 0, s0
	s_delay_alu instid0(VALU_DEP_4) | instskip(NEXT) | instid1(VALU_DEP_1)
	v_lshlrev_b32_e32 v2, 16, v2
	v_or_b32_e32 v2, v3, v2
	global_store_b32 v[0:1], v2, off
	s_nop 0
	s_sendmsg sendmsg(MSG_DEALLOC_VGPRS)
	s_endpgm
	.section	.rodata,"a",@progbits
	.p2align	6, 0x0
	.amdhsa_kernel _Z9sort_keysILj256ELj16ELj4EhN10test_utils4lessEEvPKT2_PS2_T3_
		.amdhsa_group_segment_fixed_size 1040
		.amdhsa_private_segment_fixed_size 0
		.amdhsa_kernarg_size 20
		.amdhsa_user_sgpr_count 15
		.amdhsa_user_sgpr_dispatch_ptr 0
		.amdhsa_user_sgpr_queue_ptr 0
		.amdhsa_user_sgpr_kernarg_segment_ptr 1
		.amdhsa_user_sgpr_dispatch_id 0
		.amdhsa_user_sgpr_private_segment_size 0
		.amdhsa_wavefront_size32 1
		.amdhsa_uses_dynamic_stack 0
		.amdhsa_enable_private_segment 0
		.amdhsa_system_sgpr_workgroup_id_x 1
		.amdhsa_system_sgpr_workgroup_id_y 0
		.amdhsa_system_sgpr_workgroup_id_z 0
		.amdhsa_system_sgpr_workgroup_info 0
		.amdhsa_system_vgpr_workitem_id 0
		.amdhsa_next_free_vgpr 23
		.amdhsa_next_free_sgpr 16
		.amdhsa_reserve_vcc 1
		.amdhsa_float_round_mode_32 0
		.amdhsa_float_round_mode_16_64 0
		.amdhsa_float_denorm_mode_32 3
		.amdhsa_float_denorm_mode_16_64 3
		.amdhsa_dx10_clamp 1
		.amdhsa_ieee_mode 1
		.amdhsa_fp16_overflow 0
		.amdhsa_workgroup_processor_mode 1
		.amdhsa_memory_ordered 1
		.amdhsa_forward_progress 0
		.amdhsa_shared_vgpr_count 0
		.amdhsa_exception_fp_ieee_invalid_op 0
		.amdhsa_exception_fp_denorm_src 0
		.amdhsa_exception_fp_ieee_div_zero 0
		.amdhsa_exception_fp_ieee_overflow 0
		.amdhsa_exception_fp_ieee_underflow 0
		.amdhsa_exception_fp_ieee_inexact 0
		.amdhsa_exception_int_div_zero 0
	.end_amdhsa_kernel
	.section	.text._Z9sort_keysILj256ELj16ELj4EhN10test_utils4lessEEvPKT2_PS2_T3_,"axG",@progbits,_Z9sort_keysILj256ELj16ELj4EhN10test_utils4lessEEvPKT2_PS2_T3_,comdat
.Lfunc_end112:
	.size	_Z9sort_keysILj256ELj16ELj4EhN10test_utils4lessEEvPKT2_PS2_T3_, .Lfunc_end112-_Z9sort_keysILj256ELj16ELj4EhN10test_utils4lessEEvPKT2_PS2_T3_
                                        ; -- End function
	.section	.AMDGPU.csdata,"",@progbits
; Kernel info:
; codeLenInByte = 3848
; NumSgprs: 18
; NumVgprs: 23
; ScratchSize: 0
; MemoryBound: 0
; FloatMode: 240
; IeeeMode: 1
; LDSByteSize: 1040 bytes/workgroup (compile time only)
; SGPRBlocks: 2
; VGPRBlocks: 2
; NumSGPRsForWavesPerEU: 18
; NumVGPRsForWavesPerEU: 23
; Occupancy: 16
; WaveLimiterHint : 0
; COMPUTE_PGM_RSRC2:SCRATCH_EN: 0
; COMPUTE_PGM_RSRC2:USER_SGPR: 15
; COMPUTE_PGM_RSRC2:TRAP_HANDLER: 0
; COMPUTE_PGM_RSRC2:TGID_X_EN: 1
; COMPUTE_PGM_RSRC2:TGID_Y_EN: 0
; COMPUTE_PGM_RSRC2:TGID_Z_EN: 0
; COMPUTE_PGM_RSRC2:TIDIG_COMP_CNT: 0
	.section	.text._Z10sort_pairsILj256ELj16ELj4EhN10test_utils4lessEEvPKT2_PS2_T3_,"axG",@progbits,_Z10sort_pairsILj256ELj16ELj4EhN10test_utils4lessEEvPKT2_PS2_T3_,comdat
	.protected	_Z10sort_pairsILj256ELj16ELj4EhN10test_utils4lessEEvPKT2_PS2_T3_ ; -- Begin function _Z10sort_pairsILj256ELj16ELj4EhN10test_utils4lessEEvPKT2_PS2_T3_
	.globl	_Z10sort_pairsILj256ELj16ELj4EhN10test_utils4lessEEvPKT2_PS2_T3_
	.p2align	8
	.type	_Z10sort_pairsILj256ELj16ELj4EhN10test_utils4lessEEvPKT2_PS2_T3_,@function
_Z10sort_pairsILj256ELj16ELj4EhN10test_utils4lessEEvPKT2_PS2_T3_: ; @_Z10sort_pairsILj256ELj16ELj4EhN10test_utils4lessEEvPKT2_PS2_T3_
; %bb.0:
	s_load_b128 s[8:11], s[0:1], 0x0
	s_lshl_b32 s12, s15, 10
	v_lshlrev_b32_e32 v1, 2, v0
	v_lshrrev_b32_e32 v0, 4, v0
	s_mov_b32 s6, 0
	s_mov_b32 s7, exec_lo
	s_waitcnt lgkmcnt(0)
	s_add_u32 s0, s8, s12
	s_addc_u32 s1, s9, 0
	global_load_b32 v5, v1, s[0:1]
	; wave barrier
	s_waitcnt vmcnt(0)
	v_lshrrev_b32_e32 v6, 8, v5
	v_and_b32_e32 v2, 0xff, v5
	v_perm_b32 v4, v5, v5, 0x7060405
	s_delay_alu instid0(VALU_DEP_3) | instskip(NEXT) | instid1(VALU_DEP_1)
	v_and_b32_e32 v3, 0xff, v6
	v_cmp_lt_u16_e64 s0, v3, v2
	s_delay_alu instid0(VALU_DEP_1) | instskip(NEXT) | instid1(VALU_DEP_1)
	v_cndmask_b32_e64 v2, v5, v4, s0
	v_lshrrev_b32_e32 v3, 16, v2
	v_lshrrev_b32_e32 v7, 24, v2
	s_delay_alu instid0(VALU_DEP_2) | instskip(SKIP_1) | instid1(VALU_DEP_2)
	v_perm_b32 v4, 0, v3, 0xc0c0001
	v_and_b32_e32 v3, 0xff, v3
	v_lshlrev_b32_e32 v4, 16, v4
	s_delay_alu instid0(VALU_DEP_2) | instskip(SKIP_1) | instid1(VALU_DEP_3)
	v_cmp_lt_u16_e64 s1, v7, v3
	v_min_u16 v3, v7, v3
	v_and_or_b32 v4, 0xffff, v2, v4
	s_delay_alu instid0(VALU_DEP_2) | instskip(NEXT) | instid1(VALU_DEP_2)
	v_lshlrev_b16 v7, 8, v3
	v_cndmask_b32_e64 v2, v2, v4, s1
	s_delay_alu instid0(VALU_DEP_1) | instskip(SKIP_2) | instid1(VALU_DEP_3)
	v_lshrrev_b32_e32 v4, 16, v2
	v_lshrrev_b16 v8, 8, v2
	v_and_b32_e32 v9, 0xff, v2
	v_and_b32_e32 v4, 0xffffff00, v4
	s_delay_alu instid0(VALU_DEP_2) | instskip(NEXT) | instid1(VALU_DEP_2)
	v_or_b32_e32 v7, v9, v7
	v_or_b32_e32 v4, v8, v4
	v_lshrrev_b32_e32 v8, 8, v2
	s_delay_alu instid0(VALU_DEP_3) | instskip(NEXT) | instid1(VALU_DEP_3)
	v_and_b32_e32 v7, 0xffff, v7
	v_lshlrev_b32_e32 v4, 16, v4
	s_delay_alu instid0(VALU_DEP_3) | instskip(NEXT) | instid1(VALU_DEP_2)
	v_and_b32_e32 v8, 0xff, v8
	v_or_b32_e32 v4, v7, v4
	s_delay_alu instid0(VALU_DEP_2) | instskip(SKIP_2) | instid1(VALU_DEP_3)
	v_cmp_lt_u16_e64 s2, v3, v8
	v_min_u16 v3, v3, v8
	v_mbcnt_lo_u32_b32 v8, -1, 0
	v_cndmask_b32_e64 v2, v2, v4, s2
	s_delay_alu instid0(VALU_DEP_1) | instskip(SKIP_1) | instid1(VALU_DEP_2)
	v_lshlrev_b16 v4, 8, v2
	v_and_b32_e32 v7, 0xff, v2
	v_or_b32_e32 v4, v3, v4
	s_delay_alu instid0(VALU_DEP_2) | instskip(NEXT) | instid1(VALU_DEP_2)
	v_cmp_lt_u16_e64 s3, v3, v7
	v_and_b32_e32 v4, 0xffff, v4
	s_delay_alu instid0(VALU_DEP_1) | instskip(NEXT) | instid1(VALU_DEP_1)
	v_and_or_b32 v4, 0xffff0000, v2, v4
	v_cndmask_b32_e64 v2, v2, v4, s3
	s_delay_alu instid0(VALU_DEP_1) | instskip(SKIP_1) | instid1(VALU_DEP_2)
	v_lshrrev_b32_e32 v3, 16, v2
	v_lshrrev_b32_e32 v7, 24, v2
	v_perm_b32 v4, 0, v3, 0xc0c0001
	v_and_b32_e32 v3, 0xff, v3
	s_delay_alu instid0(VALU_DEP_2) | instskip(NEXT) | instid1(VALU_DEP_2)
	v_lshlrev_b32_e32 v4, 16, v4
	v_cmp_lt_u16_e32 vcc_lo, v7, v3
	v_min_u16 v14, v7, v3
	s_delay_alu instid0(VALU_DEP_3) | instskip(NEXT) | instid1(VALU_DEP_2)
	v_and_or_b32 v4, 0xffff, v2, v4
	v_lshlrev_b16 v10, 8, v14
	s_delay_alu instid0(VALU_DEP_2) | instskip(SKIP_1) | instid1(VALU_DEP_2)
	v_cndmask_b32_e32 v11, v2, v4, vcc_lo
	v_lshlrev_b32_e32 v4, 2, v8
	v_lshrrev_b32_e32 v2, 16, v11
	s_delay_alu instid0(VALU_DEP_2) | instskip(SKIP_1) | instid1(VALU_DEP_3)
	v_and_b32_e32 v9, 56, v4
	v_and_b32_e32 v3, 60, v4
	;; [unrolled: 1-line block ×3, first 2 shown]
	v_lshrrev_b16 v12, 8, v11
	v_and_b32_e32 v13, 0xff, v11
	v_or_b32_e32 v8, 4, v9
	v_add_nc_u32_e32 v7, 8, v9
	v_lshrrev_b32_e32 v15, 8, v11
	v_or_b32_e32 v2, v12, v2
	v_or_b32_e32 v10, v13, v10
	v_and_b32_e32 v12, 4, v4
	v_sub_nc_u32_e32 v13, v7, v8
	v_and_b32_e32 v15, 0xff, v15
	v_lshlrev_b32_e32 v16, 16, v2
	v_and_b32_e32 v10, 0xffff, v10
	v_sub_nc_u32_e32 v17, v8, v9
	v_sub_nc_u32_e32 v18, v12, v13
	v_cmp_ge_i32_e64 s4, v12, v13
	v_mad_u32_u24 v2, 0x41, v0, v3
	v_or_b32_e32 v16, v10, v16
	v_min_i32_e32 v10, v12, v17
	v_mul_u32_u24_e32 v0, 0x41, v0
	v_cndmask_b32_e64 v13, 0, v18, s4
	v_cmp_lt_u16_e64 s4, v14, v15
	s_delay_alu instid0(VALU_DEP_1)
	v_cndmask_b32_e64 v11, v11, v16, s4
	ds_store_b32 v2, v11
	; wave barrier
	v_cmpx_lt_i32_e64 v13, v10
	s_cbranch_execz .LBB113_4
; %bb.1:
	v_add_nc_u32_e32 v11, v0, v9
	s_delay_alu instid0(VALU_DEP_1)
	v_add3_u32 v14, v11, v12, 4
	.p2align	6
.LBB113_2:                              ; =>This Inner Loop Header: Depth=1
	v_sub_nc_u32_e32 v15, v10, v13
	s_delay_alu instid0(VALU_DEP_1) | instskip(NEXT) | instid1(VALU_DEP_1)
	v_lshrrev_b32_e32 v16, 31, v15
	v_add_nc_u32_e32 v15, v15, v16
	s_delay_alu instid0(VALU_DEP_1) | instskip(NEXT) | instid1(VALU_DEP_1)
	v_ashrrev_i32_e32 v15, 1, v15
	v_add_nc_u32_e32 v15, v15, v13
	s_delay_alu instid0(VALU_DEP_1)
	v_add_nc_u32_e32 v16, v11, v15
	v_xad_u32 v17, v15, -1, v14
	v_add_nc_u32_e32 v18, 1, v15
	ds_load_u8 v16, v16
	ds_load_u8 v17, v17
	s_waitcnt lgkmcnt(0)
	v_cmp_lt_u16_e64 s5, v17, v16
	s_delay_alu instid0(VALU_DEP_1) | instskip(SKIP_1) | instid1(VALU_DEP_1)
	v_cndmask_b32_e64 v10, v10, v15, s5
	v_cndmask_b32_e64 v13, v18, v13, s5
	v_cmp_ge_i32_e64 s5, v13, v10
	s_delay_alu instid0(VALU_DEP_1) | instskip(NEXT) | instid1(SALU_CYCLE_1)
	s_or_b32 s6, s5, s6
	s_and_not1_b32 exec_lo, exec_lo, s6
	s_cbranch_execnz .LBB113_2
; %bb.3:
	s_or_b32 exec_lo, exec_lo, s6
.LBB113_4:
	s_delay_alu instid0(SALU_CYCLE_1)
	s_or_b32 exec_lo, exec_lo, s7
	v_add_nc_u32_e32 v10, v9, v12
	v_add_nc_u32_e32 v11, v13, v9
	;; [unrolled: 1-line block ×3, first 2 shown]
	v_cmp_lt_i32_e64 s5, 3, v13
	v_lshrrev_b32_e32 v18, 16, v5
	v_sub_nc_u32_e32 v9, v10, v13
	v_add_nc_u32_e32 v16, v0, v11
	v_sub_nc_u32_e32 v12, v12, v13
	v_lshrrev_b32_e32 v17, 24, v5
                                        ; implicit-def: $vgpr13
	s_delay_alu instid0(VALU_DEP_4)
	v_add_nc_u32_e32 v15, v0, v9
	ds_load_u8 v9, v16
	ds_load_u8 v10, v15 offset:4
	v_cmp_gt_i32_e64 s7, v7, v12
	s_waitcnt lgkmcnt(1)
	v_and_b32_e32 v14, 0xff, v9
	s_waitcnt lgkmcnt(0)
	v_and_b32_e32 v19, 0xff, v10
	s_delay_alu instid0(VALU_DEP_1) | instskip(NEXT) | instid1(VALU_DEP_1)
	v_cmp_lt_u16_e64 s6, v19, v14
                                        ; implicit-def: $vgpr14
	s_or_b32 s5, s5, s6
	s_delay_alu instid0(SALU_CYCLE_1) | instskip(NEXT) | instid1(SALU_CYCLE_1)
	s_and_b32 s5, s7, s5
	s_xor_b32 s6, s5, -1
	s_delay_alu instid0(SALU_CYCLE_1) | instskip(NEXT) | instid1(SALU_CYCLE_1)
	s_and_saveexec_b32 s7, s6
	s_xor_b32 s6, exec_lo, s7
	s_cbranch_execz .LBB113_6
; %bb.5:
	ds_load_u8 v14, v16 offset:1
	v_mov_b32_e32 v13, v10
                                        ; implicit-def: $vgpr15
.LBB113_6:
	s_and_not1_saveexec_b32 s6, s6
	s_cbranch_execz .LBB113_8
; %bb.7:
	ds_load_u8 v13, v15 offset:5
	s_waitcnt lgkmcnt(1)
	v_mov_b32_e32 v14, v9
.LBB113_8:
	s_or_b32 exec_lo, exec_lo, s6
	v_add_nc_u32_e32 v15, 1, v11
	v_add_nc_u32_e32 v16, 1, v12
	s_waitcnt lgkmcnt(0)
	v_and_b32_e32 v21, 0xff, v14
	s_delay_alu instid0(VALU_DEP_3) | instskip(SKIP_2) | instid1(VALU_DEP_3)
	v_cndmask_b32_e64 v19, v15, v11, s5
	v_and_b32_e32 v15, 0xff, v13
	v_cndmask_b32_e64 v20, v12, v16, s5
	v_cmp_ge_i32_e64 s6, v19, v8
	s_delay_alu instid0(VALU_DEP_3) | instskip(NEXT) | instid1(VALU_DEP_3)
	v_cmp_lt_u16_e64 s7, v15, v21
	v_cmp_lt_i32_e64 s8, v20, v7
                                        ; implicit-def: $vgpr15
	s_delay_alu instid0(VALU_DEP_2)
	s_or_b32 s6, s6, s7
	s_delay_alu instid0(VALU_DEP_1) | instid1(SALU_CYCLE_1)
	s_and_b32 s6, s8, s6
	s_delay_alu instid0(SALU_CYCLE_1) | instskip(NEXT) | instid1(SALU_CYCLE_1)
	s_xor_b32 s7, s6, -1
	s_and_saveexec_b32 s8, s7
	s_delay_alu instid0(SALU_CYCLE_1)
	s_xor_b32 s7, exec_lo, s8
	s_cbranch_execz .LBB113_10
; %bb.9:
	v_add_nc_u32_e32 v15, v0, v19
	ds_load_u8 v15, v15 offset:1
.LBB113_10:
	s_or_saveexec_b32 s7, s7
	v_mov_b32_e32 v16, v13
	s_xor_b32 exec_lo, exec_lo, s7
	s_cbranch_execz .LBB113_12
; %bb.11:
	s_waitcnt lgkmcnt(0)
	v_add_nc_u32_e32 v15, v0, v20
	ds_load_u8 v16, v15 offset:1
	v_mov_b32_e32 v15, v14
.LBB113_12:
	s_or_b32 exec_lo, exec_lo, s7
	v_add_nc_u32_e32 v21, 1, v19
	v_add_nc_u32_e32 v23, 1, v20
	s_waitcnt lgkmcnt(0)
	v_and_b32_e32 v24, 0xff, v15
	v_and_b32_e32 v25, 0xff, v16
	v_cndmask_b32_e64 v22, v21, v19, s6
	v_cndmask_b32_e64 v21, v20, v23, s6
                                        ; implicit-def: $vgpr23
	s_delay_alu instid0(VALU_DEP_3) | instskip(NEXT) | instid1(VALU_DEP_3)
	v_cmp_lt_u16_e64 s8, v25, v24
	v_cmp_ge_i32_e64 s7, v22, v8
	s_delay_alu instid0(VALU_DEP_3) | instskip(NEXT) | instid1(VALU_DEP_2)
	v_cmp_lt_i32_e64 s9, v21, v7
	s_or_b32 s7, s7, s8
	s_delay_alu instid0(VALU_DEP_1) | instid1(SALU_CYCLE_1)
	s_and_b32 s7, s9, s7
	s_delay_alu instid0(SALU_CYCLE_1) | instskip(NEXT) | instid1(SALU_CYCLE_1)
	s_xor_b32 s8, s7, -1
	s_and_saveexec_b32 s9, s8
	s_delay_alu instid0(SALU_CYCLE_1)
	s_xor_b32 s8, exec_lo, s9
	s_cbranch_execz .LBB113_14
; %bb.13:
	v_add_nc_u32_e32 v23, v0, v22
	ds_load_u8 v23, v23 offset:1
.LBB113_14:
	s_or_saveexec_b32 s8, s8
	v_mov_b32_e32 v24, v16
	s_xor_b32 exec_lo, exec_lo, s8
	s_cbranch_execz .LBB113_16
; %bb.15:
	s_waitcnt lgkmcnt(0)
	v_add_nc_u32_e32 v23, v0, v21
	ds_load_u8 v24, v23 offset:1
	v_mov_b32_e32 v23, v15
.LBB113_16:
	s_or_b32 exec_lo, exec_lo, s8
	v_add_nc_u16 v18, v18, 1
	v_add_nc_u16 v6, v6, 1
	v_add_nc_u16 v5, v5, 1
	v_lshlrev_b16 v17, 8, v17
	v_cndmask_b32_e64 v19, v19, v20, s6
	v_and_b32_e32 v18, 0xff, v18
	v_lshlrev_b16 v25, 8, v6
	v_and_b32_e32 v26, 0xff, v5
	v_lshlrev_b16 v5, 8, v5
	v_and_b32_e32 v6, 0xff, v6
	v_or_b32_e32 v17, v17, v18
	v_cndmask_b32_e64 v11, v11, v12, s5
	v_or_b32_e32 v18, v26, v25
	v_add_nc_u32_e32 v25, 1, v21
	v_or_b32_e32 v5, v6, v5
	v_add_nc_u16 v6, v17, 0x100
	v_cndmask_b32_e64 v26, v22, v21, s7
	v_and_b32_e32 v17, 0xffff, v18
	v_cndmask_b32_e64 v21, v21, v25, s7
	v_and_b32_e32 v5, 0xffff, v5
	v_lshlrev_b32_e32 v18, 16, v6
	v_perm_b32 v6, 0, v6, 0xc0c0001
	s_waitcnt lgkmcnt(0)
	v_and_b32_e32 v12, 0xff, v23
	v_and_b32_e32 v20, 0xff, v24
	v_cndmask_b32_e64 v5, v17, v5, s0
	v_add_nc_u32_e32 v17, 1, v22
	v_lshlrev_b32_e32 v6, 16, v6
	s_delay_alu instid0(VALU_DEP_4) | instskip(NEXT) | instid1(VALU_DEP_4)
	v_cmp_lt_u16_e64 s0, v20, v12
	v_or_b32_e32 v5, v5, v18
	s_delay_alu instid0(VALU_DEP_4) | instskip(SKIP_2) | instid1(VALU_DEP_4)
	v_cndmask_b32_e64 v22, v17, v22, s7
	v_and_b32_e32 v18, 48, v4
	; wave barrier
	v_and_b32_e32 v17, 12, v4
	v_and_or_b32 v6, 0xffff, v5, v6
	v_cndmask_b32_e64 v9, v9, v10, s5
	s_delay_alu instid0(VALU_DEP_4) | instskip(SKIP_1) | instid1(VALU_DEP_4)
	v_add_nc_u32_e32 v12, 16, v18
	v_cndmask_b32_e64 v10, v14, v13, s6
	v_cndmask_b32_e64 v5, v5, v6, s1
	v_cmp_ge_i32_e64 s1, v22, v8
	s_delay_alu instid0(VALU_DEP_2) | instskip(NEXT) | instid1(VALU_DEP_2)
	v_perm_b32 v6, v5, v5, 0x7050604
	s_or_b32 s0, s1, s0
	s_mov_b32 s1, 0
	s_delay_alu instid0(VALU_DEP_1) | instskip(NEXT) | instid1(VALU_DEP_1)
	v_cndmask_b32_e64 v5, v5, v6, s2
	v_perm_b32 v6, 0, v5, 0xc0c0001
	s_delay_alu instid0(VALU_DEP_1) | instskip(NEXT) | instid1(VALU_DEP_1)
	v_and_or_b32 v6, 0xffff0000, v5, v6
	v_cndmask_b32_e64 v5, v5, v6, s3
	s_delay_alu instid0(VALU_DEP_1) | instskip(NEXT) | instid1(VALU_DEP_1)
	v_lshrrev_b32_e32 v6, 16, v5
	v_perm_b32 v6, 0, v6, 0xc0c0001
	s_delay_alu instid0(VALU_DEP_1) | instskip(NEXT) | instid1(VALU_DEP_1)
	v_lshlrev_b32_e32 v6, 16, v6
	v_and_or_b32 v6, 0xffff, v5, v6
	s_delay_alu instid0(VALU_DEP_1) | instskip(SKIP_3) | instid1(VALU_DEP_4)
	v_cndmask_b32_e32 v5, v5, v6, vcc_lo
	v_cmp_lt_i32_e32 vcc_lo, v21, v7
	v_add_nc_u32_e32 v6, v0, v11
	v_or_b32_e32 v11, 8, v18
	v_perm_b32 v7, v5, v5, 0x7050604
	s_and_b32 vcc_lo, vcc_lo, s0
	s_mov_b32 s0, exec_lo
	v_cndmask_b32_e32 v8, v22, v21, vcc_lo
	v_sub_nc_u32_e32 v21, v12, v11
	v_cndmask_b32_e64 v5, v5, v7, s4
	v_add_nc_u32_e32 v7, v0, v19
	v_add_nc_u32_e32 v19, v0, v26
	;; [unrolled: 1-line block ×3, first 2 shown]
	v_cndmask_b32_e32 v20, v23, v24, vcc_lo
	ds_store_b32 v2, v5
	; wave barrier
	ds_load_u8 v5, v6
	ds_load_u8 v6, v7
	;; [unrolled: 1-line block ×4, first 2 shown]
	v_sub_nc_u32_e32 v19, v17, v21
	v_sub_nc_u32_e32 v22, v11, v18
	v_cmp_ge_i32_e32 vcc_lo, v17, v21
	v_cndmask_b32_e64 v23, v15, v16, s7
	; wave barrier
	s_delay_alu instid0(VALU_DEP_3)
	v_min_i32_e32 v16, v17, v22
	v_cndmask_b32_e32 v15, 0, v19, vcc_lo
	ds_store_b8 v2, v9
	ds_store_b8 v2, v10 offset:1
	ds_store_b8 v2, v23 offset:2
	;; [unrolled: 1-line block ×3, first 2 shown]
	; wave barrier
	v_cmpx_lt_i32_e64 v15, v16
	s_cbranch_execz .LBB113_20
; %bb.17:
	v_add_nc_u32_e32 v9, v0, v18
	s_delay_alu instid0(VALU_DEP_1)
	v_add3_u32 v10, v9, v17, 8
	.p2align	6
.LBB113_18:                             ; =>This Inner Loop Header: Depth=1
	v_sub_nc_u32_e32 v13, v16, v15
	s_delay_alu instid0(VALU_DEP_1) | instskip(NEXT) | instid1(VALU_DEP_1)
	v_lshrrev_b32_e32 v14, 31, v13
	v_add_nc_u32_e32 v13, v13, v14
	s_delay_alu instid0(VALU_DEP_1) | instskip(NEXT) | instid1(VALU_DEP_1)
	v_ashrrev_i32_e32 v13, 1, v13
	v_add_nc_u32_e32 v13, v13, v15
	s_delay_alu instid0(VALU_DEP_1)
	v_add_nc_u32_e32 v20, 1, v13
	v_add_nc_u32_e32 v14, v9, v13
	v_xad_u32 v19, v13, -1, v10
	ds_load_u8 v14, v14
	ds_load_u8 v19, v19
	s_waitcnt lgkmcnt(0)
	v_cmp_lt_u16_e32 vcc_lo, v19, v14
	v_cndmask_b32_e32 v15, v20, v15, vcc_lo
	v_cndmask_b32_e32 v16, v16, v13, vcc_lo
	s_delay_alu instid0(VALU_DEP_1) | instskip(SKIP_1) | instid1(SALU_CYCLE_1)
	v_cmp_ge_i32_e32 vcc_lo, v15, v16
	s_or_b32 s1, vcc_lo, s1
	s_and_not1_b32 exec_lo, exec_lo, s1
	s_cbranch_execnz .LBB113_18
; %bb.19:
	s_or_b32 exec_lo, exec_lo, s1
.LBB113_20:
	s_delay_alu instid0(SALU_CYCLE_1) | instskip(SKIP_4) | instid1(VALU_DEP_4)
	s_or_b32 exec_lo, exec_lo, s0
	v_add_nc_u32_e32 v10, v18, v17
	v_add_nc_u32_e32 v9, v15, v18
	;; [unrolled: 1-line block ×3, first 2 shown]
	v_cmp_lt_i32_e32 vcc_lo, 7, v15
	v_sub_nc_u32_e32 v10, v10, v15
	s_delay_alu instid0(VALU_DEP_4) | instskip(NEXT) | instid1(VALU_DEP_4)
	v_add_nc_u32_e32 v19, v0, v9
	v_sub_nc_u32_e32 v16, v14, v15
                                        ; implicit-def: $vgpr14
                                        ; implicit-def: $vgpr15
	s_delay_alu instid0(VALU_DEP_3)
	v_add_nc_u32_e32 v18, v0, v10
	ds_load_u8 v10, v19
	ds_load_u8 v13, v18 offset:8
	v_cmp_gt_i32_e64 s1, v12, v16
	s_waitcnt lgkmcnt(1)
	v_and_b32_e32 v17, 0xff, v10
	s_waitcnt lgkmcnt(0)
	v_and_b32_e32 v20, 0xff, v13
	s_delay_alu instid0(VALU_DEP_1) | instskip(NEXT) | instid1(VALU_DEP_1)
	v_cmp_lt_u16_e64 s0, v20, v17
	s_or_b32 s0, vcc_lo, s0
	s_delay_alu instid0(SALU_CYCLE_1) | instskip(NEXT) | instid1(SALU_CYCLE_1)
	s_and_b32 vcc_lo, s1, s0
	s_xor_b32 s0, vcc_lo, -1
	s_delay_alu instid0(SALU_CYCLE_1) | instskip(NEXT) | instid1(SALU_CYCLE_1)
	s_and_saveexec_b32 s1, s0
	s_xor_b32 s0, exec_lo, s1
	s_cbranch_execz .LBB113_22
; %bb.21:
	ds_load_u8 v15, v19 offset:1
	v_mov_b32_e32 v14, v13
                                        ; implicit-def: $vgpr18
.LBB113_22:
	s_and_not1_saveexec_b32 s0, s0
	s_cbranch_execz .LBB113_24
; %bb.23:
	ds_load_u8 v14, v18 offset:9
	s_waitcnt lgkmcnt(1)
	v_mov_b32_e32 v15, v10
.LBB113_24:
	s_or_b32 exec_lo, exec_lo, s0
	v_add_nc_u32_e32 v18, 1, v16
	v_add_nc_u32_e32 v17, 1, v9
	s_waitcnt lgkmcnt(0)
	s_delay_alu instid0(VALU_DEP_2) | instskip(NEXT) | instid1(VALU_DEP_2)
	v_dual_cndmask_b32 v20, v16, v18 :: v_dual_and_b32 v21, 0xff, v15
	v_cndmask_b32_e32 v19, v17, v9, vcc_lo
	v_and_b32_e32 v17, 0xff, v14
	s_delay_alu instid0(VALU_DEP_3) | instskip(NEXT) | instid1(VALU_DEP_3)
	v_cmp_lt_i32_e64 s2, v20, v12
	v_cmp_ge_i32_e64 s0, v19, v11
	s_delay_alu instid0(VALU_DEP_3) | instskip(NEXT) | instid1(VALU_DEP_1)
	v_cmp_lt_u16_e64 s1, v17, v21
                                        ; implicit-def: $vgpr17
	s_or_b32 s0, s0, s1
	s_delay_alu instid0(VALU_DEP_3) | instid1(SALU_CYCLE_1)
	s_and_b32 s0, s2, s0
	s_delay_alu instid0(SALU_CYCLE_1) | instskip(NEXT) | instid1(SALU_CYCLE_1)
	s_xor_b32 s1, s0, -1
	s_and_saveexec_b32 s2, s1
	s_delay_alu instid0(SALU_CYCLE_1)
	s_xor_b32 s1, exec_lo, s2
	s_cbranch_execz .LBB113_26
; %bb.25:
	v_add_nc_u32_e32 v17, v0, v19
	ds_load_u8 v17, v17 offset:1
.LBB113_26:
	s_or_saveexec_b32 s1, s1
	v_mov_b32_e32 v18, v14
	s_xor_b32 exec_lo, exec_lo, s1
	s_cbranch_execz .LBB113_28
; %bb.27:
	s_waitcnt lgkmcnt(0)
	v_add_nc_u32_e32 v17, v0, v20
	ds_load_u8 v18, v17 offset:1
	v_mov_b32_e32 v17, v15
.LBB113_28:
	s_or_b32 exec_lo, exec_lo, s1
	v_add_nc_u32_e32 v21, 1, v19
	v_add_nc_u32_e32 v22, 1, v20
	s_waitcnt lgkmcnt(0)
	v_and_b32_e32 v25, 0xff, v17
	s_delay_alu instid0(VALU_DEP_3) | instskip(SKIP_2) | instid1(VALU_DEP_3)
	v_cndmask_b32_e64 v23, v21, v19, s0
	v_and_b32_e32 v21, 0xff, v18
	v_cndmask_b32_e64 v24, v20, v22, s0
	v_cmp_ge_i32_e64 s1, v23, v11
	s_delay_alu instid0(VALU_DEP_3) | instskip(NEXT) | instid1(VALU_DEP_3)
	v_cmp_lt_u16_e64 s2, v21, v25
	v_cmp_lt_i32_e64 s3, v24, v12
                                        ; implicit-def: $vgpr21
	s_delay_alu instid0(VALU_DEP_2)
	s_or_b32 s1, s1, s2
	s_delay_alu instid0(VALU_DEP_1) | instid1(SALU_CYCLE_1)
	s_and_b32 s1, s3, s1
	s_delay_alu instid0(SALU_CYCLE_1) | instskip(NEXT) | instid1(SALU_CYCLE_1)
	s_xor_b32 s2, s1, -1
	s_and_saveexec_b32 s3, s2
	s_delay_alu instid0(SALU_CYCLE_1)
	s_xor_b32 s2, exec_lo, s3
	s_cbranch_execz .LBB113_30
; %bb.29:
	v_add_nc_u32_e32 v21, v0, v23
	ds_load_u8 v21, v21 offset:1
.LBB113_30:
	s_or_saveexec_b32 s2, s2
	v_mov_b32_e32 v22, v18
	s_xor_b32 exec_lo, exec_lo, s2
	s_cbranch_execz .LBB113_32
; %bb.31:
	s_waitcnt lgkmcnt(0)
	v_add_nc_u32_e32 v21, v0, v24
	ds_load_u8 v22, v21 offset:1
	v_mov_b32_e32 v21, v17
.LBB113_32:
	s_or_b32 exec_lo, exec_lo, s2
	v_dual_cndmask_b32 v10, v10, v13 :: v_dual_add_nc_u32 v25, 1, v23
	v_add_nc_u32_e32 v26, 1, v24
	s_waitcnt lgkmcnt(0)
	v_and_b32_e32 v27, 0xff, v21
	v_dual_cndmask_b32 v9, v9, v16 :: v_dual_and_b32 v28, 0xff, v22
	v_cndmask_b32_e64 v25, v25, v23, s1
	v_cndmask_b32_e64 v23, v23, v24, s1
	;; [unrolled: 1-line block ×3, first 2 shown]
	s_delay_alu instid0(VALU_DEP_4) | instskip(SKIP_2) | instid1(VALU_DEP_4)
	v_cmp_lt_u16_e64 s2, v28, v27
	v_cndmask_b32_e64 v19, v19, v20, s0
	v_cmp_ge_i32_e64 s3, v25, v11
	v_cmp_lt_i32_e64 s4, v24, v12
	; wave barrier
	ds_store_b8 v2, v5
	ds_store_b8 v2, v6 offset:1
	ds_store_b8 v2, v7 offset:2
	;; [unrolled: 1-line block ×3, first 2 shown]
	s_or_b32 s2, s3, s2
	v_add_nc_u32_e32 v5, v0, v9
	s_and_b32 s2, s4, s2
	v_add_nc_u32_e32 v6, v0, v19
	v_cndmask_b32_e64 v12, v25, v24, s2
	v_and_b32_e32 v11, 32, v4
	v_add_nc_u32_e32 v7, v0, v23
	; wave barrier
	s_delay_alu instid0(VALU_DEP_3)
	v_add_nc_u32_e32 v16, v0, v12
	v_and_b32_e32 v12, 28, v4
	ds_load_u8 v4, v5
	ds_load_u8 v5, v6
	ds_load_u8 v6, v7
	ds_load_u8 v7, v16
	v_or_b32_e32 v9, 16, v11
	v_add_nc_u32_e32 v8, 32, v11
	v_cndmask_b32_e64 v20, v21, v22, s2
	v_cndmask_b32_e64 v18, v17, v18, s1
	;; [unrolled: 1-line block ×3, first 2 shown]
	v_sub_nc_u32_e32 v21, v9, v11
	v_sub_nc_u32_e32 v19, v8, v9
	s_mov_b32 s0, exec_lo
	; wave barrier
	s_delay_alu instid0(VALU_DEP_2) | instskip(NEXT) | instid1(VALU_DEP_2)
	v_min_i32_e32 v17, v12, v21
	v_sub_nc_u32_e32 v16, v12, v19
	v_cmp_ge_i32_e64 s1, v12, v19
	ds_store_b8 v2, v10
	ds_store_b8 v2, v13 offset:1
	ds_store_b8 v2, v18 offset:2
	;; [unrolled: 1-line block ×3, first 2 shown]
	; wave barrier
	v_cndmask_b32_e64 v16, 0, v16, s1
	s_mov_b32 s1, 0
	s_delay_alu instid0(VALU_DEP_1)
	v_cmpx_lt_i32_e64 v16, v17
	s_cbranch_execz .LBB113_36
; %bb.33:
	v_add_nc_u32_e32 v10, v0, v11
	s_delay_alu instid0(VALU_DEP_1)
	v_add3_u32 v13, v10, v12, 16
	.p2align	6
.LBB113_34:                             ; =>This Inner Loop Header: Depth=1
	v_sub_nc_u32_e32 v14, v17, v16
	s_delay_alu instid0(VALU_DEP_1) | instskip(NEXT) | instid1(VALU_DEP_1)
	v_lshrrev_b32_e32 v15, 31, v14
	v_add_nc_u32_e32 v14, v14, v15
	s_delay_alu instid0(VALU_DEP_1) | instskip(NEXT) | instid1(VALU_DEP_1)
	v_ashrrev_i32_e32 v14, 1, v14
	v_add_nc_u32_e32 v14, v14, v16
	s_delay_alu instid0(VALU_DEP_1)
	v_add_nc_u32_e32 v19, 1, v14
	v_add_nc_u32_e32 v15, v10, v14
	v_xad_u32 v18, v14, -1, v13
	ds_load_u8 v15, v15
	ds_load_u8 v18, v18
	s_waitcnt lgkmcnt(0)
	v_cmp_lt_u16_e32 vcc_lo, v18, v15
	v_dual_cndmask_b32 v16, v19, v16 :: v_dual_cndmask_b32 v17, v17, v14
	s_delay_alu instid0(VALU_DEP_1) | instskip(SKIP_1) | instid1(SALU_CYCLE_1)
	v_cmp_ge_i32_e32 vcc_lo, v16, v17
	s_or_b32 s1, vcc_lo, s1
	s_and_not1_b32 exec_lo, exec_lo, s1
	s_cbranch_execnz .LBB113_34
; %bb.35:
	s_or_b32 exec_lo, exec_lo, s1
.LBB113_36:
	s_delay_alu instid0(SALU_CYCLE_1) | instskip(SKIP_4) | instid1(VALU_DEP_4)
	s_or_b32 exec_lo, exec_lo, s0
	v_add_nc_u32_e32 v10, v11, v12
	v_add_nc_u32_e32 v14, v16, v11
	;; [unrolled: 1-line block ×3, first 2 shown]
	v_cmp_lt_i32_e32 vcc_lo, 15, v16
	v_sub_nc_u32_e32 v10, v10, v16
	s_delay_alu instid0(VALU_DEP_4) | instskip(NEXT) | instid1(VALU_DEP_4)
	v_add_nc_u32_e32 v18, v0, v14
	v_sub_nc_u32_e32 v15, v12, v16
                                        ; implicit-def: $vgpr12
	s_delay_alu instid0(VALU_DEP_3)
	v_add_nc_u32_e32 v17, v0, v10
	ds_load_u8 v10, v18
	ds_load_u8 v11, v17 offset:16
	v_cmp_gt_i32_e64 s1, v8, v15
	s_waitcnt lgkmcnt(1)
	v_and_b32_e32 v13, 0xff, v10
	s_waitcnt lgkmcnt(0)
	v_and_b32_e32 v19, 0xff, v11
	s_delay_alu instid0(VALU_DEP_1) | instskip(NEXT) | instid1(VALU_DEP_1)
	v_cmp_lt_u16_e64 s0, v19, v13
                                        ; implicit-def: $vgpr13
	s_or_b32 s0, vcc_lo, s0
	s_delay_alu instid0(SALU_CYCLE_1) | instskip(NEXT) | instid1(SALU_CYCLE_1)
	s_and_b32 vcc_lo, s1, s0
	s_xor_b32 s0, vcc_lo, -1
	s_delay_alu instid0(SALU_CYCLE_1) | instskip(NEXT) | instid1(SALU_CYCLE_1)
	s_and_saveexec_b32 s1, s0
	s_xor_b32 s0, exec_lo, s1
	s_cbranch_execz .LBB113_38
; %bb.37:
	ds_load_u8 v13, v18 offset:1
	v_mov_b32_e32 v12, v11
                                        ; implicit-def: $vgpr17
.LBB113_38:
	s_and_not1_saveexec_b32 s0, s0
	s_cbranch_execz .LBB113_40
; %bb.39:
	ds_load_u8 v12, v17 offset:17
	s_waitcnt lgkmcnt(1)
	v_mov_b32_e32 v13, v10
.LBB113_40:
	s_or_b32 exec_lo, exec_lo, s0
	v_add_nc_u32_e32 v17, 1, v15
	v_add_nc_u32_e32 v16, 1, v14
	s_waitcnt lgkmcnt(0)
	v_and_b32_e32 v20, 0xff, v13
	s_delay_alu instid0(VALU_DEP_2) | instskip(SKIP_1) | instid1(VALU_DEP_2)
	v_dual_cndmask_b32 v19, v15, v17 :: v_dual_cndmask_b32 v18, v16, v14
	v_and_b32_e32 v16, 0xff, v12
	v_cmp_lt_i32_e64 s2, v19, v8
	s_delay_alu instid0(VALU_DEP_3) | instskip(NEXT) | instid1(VALU_DEP_3)
	v_cmp_ge_i32_e64 s0, v18, v9
	v_cmp_lt_u16_e64 s1, v16, v20
                                        ; implicit-def: $vgpr16
	s_delay_alu instid0(VALU_DEP_1)
	s_or_b32 s0, s0, s1
	s_delay_alu instid0(VALU_DEP_3) | instid1(SALU_CYCLE_1)
	s_and_b32 s0, s2, s0
	s_delay_alu instid0(SALU_CYCLE_1) | instskip(NEXT) | instid1(SALU_CYCLE_1)
	s_xor_b32 s1, s0, -1
	s_and_saveexec_b32 s2, s1
	s_delay_alu instid0(SALU_CYCLE_1)
	s_xor_b32 s1, exec_lo, s2
	s_cbranch_execz .LBB113_42
; %bb.41:
	v_add_nc_u32_e32 v16, v0, v18
	ds_load_u8 v16, v16 offset:1
.LBB113_42:
	s_or_saveexec_b32 s1, s1
	v_mov_b32_e32 v17, v12
	s_xor_b32 exec_lo, exec_lo, s1
	s_cbranch_execz .LBB113_44
; %bb.43:
	s_waitcnt lgkmcnt(0)
	v_add_nc_u32_e32 v16, v0, v19
	ds_load_u8 v17, v16 offset:1
	v_mov_b32_e32 v16, v13
.LBB113_44:
	s_or_b32 exec_lo, exec_lo, s1
	v_add_nc_u32_e32 v20, 1, v18
	v_add_nc_u32_e32 v22, 1, v19
	s_waitcnt lgkmcnt(0)
	v_and_b32_e32 v23, 0xff, v16
	s_delay_alu instid0(VALU_DEP_3) | instskip(SKIP_2) | instid1(VALU_DEP_3)
	v_cndmask_b32_e64 v21, v20, v18, s0
	v_and_b32_e32 v20, 0xff, v17
	v_cndmask_b32_e64 v22, v19, v22, s0
	v_cmp_ge_i32_e64 s1, v21, v9
	s_delay_alu instid0(VALU_DEP_3) | instskip(NEXT) | instid1(VALU_DEP_3)
	v_cmp_lt_u16_e64 s2, v20, v23
	v_cmp_lt_i32_e64 s3, v22, v8
                                        ; implicit-def: $vgpr20
	s_delay_alu instid0(VALU_DEP_2)
	s_or_b32 s1, s1, s2
	s_delay_alu instid0(VALU_DEP_1) | instid1(SALU_CYCLE_1)
	s_and_b32 s1, s3, s1
	s_delay_alu instid0(SALU_CYCLE_1) | instskip(NEXT) | instid1(SALU_CYCLE_1)
	s_xor_b32 s2, s1, -1
	s_and_saveexec_b32 s3, s2
	s_delay_alu instid0(SALU_CYCLE_1)
	s_xor_b32 s2, exec_lo, s3
	s_cbranch_execz .LBB113_46
; %bb.45:
	v_add_nc_u32_e32 v20, v0, v21
	ds_load_u8 v20, v20 offset:1
.LBB113_46:
	s_or_saveexec_b32 s2, s2
	v_mov_b32_e32 v23, v17
	s_xor_b32 exec_lo, exec_lo, s2
	s_cbranch_execz .LBB113_48
; %bb.47:
	s_waitcnt lgkmcnt(0)
	v_add_nc_u32_e32 v20, v0, v22
	ds_load_u8 v23, v20 offset:1
	v_mov_b32_e32 v20, v16
.LBB113_48:
	s_or_b32 exec_lo, exec_lo, s2
	v_add_nc_u32_e32 v24, 1, v21
	v_dual_cndmask_b32 v10, v10, v11 :: v_dual_add_nc_u32 v25, 1, v22
	s_waitcnt lgkmcnt(0)
	v_and_b32_e32 v26, 0xff, v20
	v_and_b32_e32 v27, 0xff, v23
	v_cndmask_b32_e64 v24, v24, v21, s1
	v_cndmask_b32_e64 v21, v21, v22, s1
	;; [unrolled: 1-line block ×4, first 2 shown]
	v_cmp_lt_u16_e64 s2, v27, v26
	v_cmp_ge_i32_e64 s3, v24, v9
	v_cndmask_b32_e32 v9, v14, v15, vcc_lo
	v_cmp_lt_i32_e64 s4, v22, v8
	v_add_nc_u32_e32 v14, v0, v3
	s_delay_alu instid0(VALU_DEP_4)
	s_or_b32 s2, s3, s2
	; wave barrier
	s_delay_alu instid0(VALU_DEP_2) | instid1(SALU_CYCLE_1)
	s_and_b32 s2, s4, s2
	ds_store_b8 v14, v4
	ds_store_b8 v14, v5 offset:1
	ds_store_b8 v14, v6 offset:2
	;; [unrolled: 1-line block ×3, first 2 shown]
	v_cndmask_b32_e64 v8, v24, v22, s2
	v_add_nc_u32_e32 v4, v0, v9
	v_add_nc_u32_e32 v5, v0, v18
	v_add_nc_u32_e32 v6, v0, v21
	s_delay_alu instid0(VALU_DEP_4)
	v_add_nc_u32_e32 v7, v0, v8
	; wave barrier
	ds_load_u8 v4, v4
	ds_load_u8 v5, v5
	;; [unrolled: 1-line block ×4, first 2 shown]
	v_sub_nc_u32_e64 v8, v3, 32 clamp
	v_min_i32_e32 v9, 32, v3
	v_cndmask_b32_e64 v11, v13, v12, s0
	v_cndmask_b32_e64 v16, v16, v17, s1
	;; [unrolled: 1-line block ×3, first 2 shown]
	s_mov_b32 s0, exec_lo
	; wave barrier
	ds_store_b8 v14, v10
	ds_store_b8 v14, v11 offset:1
	ds_store_b8 v14, v16 offset:2
	;; [unrolled: 1-line block ×3, first 2 shown]
	; wave barrier
	v_cmpx_lt_u32_e64 v8, v9
	s_cbranch_execz .LBB113_52
; %bb.49:
	s_mov_b32 s1, 0
	.p2align	6
.LBB113_50:                             ; =>This Inner Loop Header: Depth=1
	v_sub_nc_u32_e32 v10, v9, v8
	s_delay_alu instid0(VALU_DEP_1) | instskip(NEXT) | instid1(VALU_DEP_1)
	v_lshrrev_b32_e32 v11, 31, v10
	v_add_nc_u32_e32 v10, v10, v11
	s_delay_alu instid0(VALU_DEP_1) | instskip(NEXT) | instid1(VALU_DEP_1)
	v_ashrrev_i32_e32 v10, 1, v10
	v_add_nc_u32_e32 v10, v10, v8
	s_delay_alu instid0(VALU_DEP_1)
	v_add_nc_u32_e32 v13, 1, v10
	v_add_nc_u32_e32 v11, v0, v10
	v_xad_u32 v12, v10, -1, v2
	ds_load_u8 v11, v11
	ds_load_u8 v12, v12 offset:32
	s_waitcnt lgkmcnt(0)
	v_cmp_lt_u16_e32 vcc_lo, v12, v11
	v_cndmask_b32_e32 v8, v13, v8, vcc_lo
	v_cndmask_b32_e32 v9, v9, v10, vcc_lo
	s_delay_alu instid0(VALU_DEP_1) | instskip(SKIP_1) | instid1(SALU_CYCLE_1)
	v_cmp_ge_i32_e32 vcc_lo, v8, v9
	s_or_b32 s1, vcc_lo, s1
	s_and_not1_b32 exec_lo, exec_lo, s1
	s_cbranch_execnz .LBB113_50
; %bb.51:
	s_or_b32 exec_lo, exec_lo, s1
.LBB113_52:
	s_delay_alu instid0(SALU_CYCLE_1) | instskip(SKIP_3) | instid1(VALU_DEP_3)
	s_or_b32 exec_lo, exec_lo, s0
	v_sub_nc_u32_e32 v10, v3, v8
	v_add_nc_u32_e32 v14, v0, v8
	v_cmp_lt_i32_e32 vcc_lo, 31, v8
	v_add_nc_u32_e32 v13, v0, v10
	v_add_nc_u32_e32 v12, 32, v10
                                        ; implicit-def: $vgpr10
	ds_load_u8 v3, v14
	ds_load_u8 v9, v13 offset:32
	v_cmp_gt_i32_e64 s1, 64, v12
	s_waitcnt lgkmcnt(1)
	v_and_b32_e32 v11, 0xff, v3
	s_waitcnt lgkmcnt(0)
	v_and_b32_e32 v15, 0xff, v9
	s_delay_alu instid0(VALU_DEP_1) | instskip(NEXT) | instid1(VALU_DEP_1)
	v_cmp_lt_u16_e64 s0, v15, v11
                                        ; implicit-def: $vgpr11
	s_or_b32 s0, vcc_lo, s0
	s_delay_alu instid0(SALU_CYCLE_1) | instskip(NEXT) | instid1(SALU_CYCLE_1)
	s_and_b32 vcc_lo, s1, s0
	s_xor_b32 s0, vcc_lo, -1
	s_delay_alu instid0(SALU_CYCLE_1) | instskip(NEXT) | instid1(SALU_CYCLE_1)
	s_and_saveexec_b32 s1, s0
	s_xor_b32 s0, exec_lo, s1
	s_cbranch_execz .LBB113_54
; %bb.53:
	ds_load_u8 v11, v14 offset:1
	v_mov_b32_e32 v10, v9
                                        ; implicit-def: $vgpr13
.LBB113_54:
	s_and_not1_saveexec_b32 s0, s0
	s_cbranch_execz .LBB113_56
; %bb.55:
	ds_load_u8 v10, v13 offset:33
	s_waitcnt lgkmcnt(1)
	v_mov_b32_e32 v11, v3
.LBB113_56:
	s_or_b32 exec_lo, exec_lo, s0
	v_add_nc_u32_e32 v14, 1, v12
	v_add_nc_u32_e32 v13, 1, v8
	s_waitcnt lgkmcnt(0)
	v_and_b32_e32 v15, 0xff, v11
	v_and_b32_e32 v16, 0xff, v10
	s_delay_alu instid0(VALU_DEP_3) | instskip(NEXT) | instid1(VALU_DEP_2)
	v_dual_cndmask_b32 v14, v12, v14 :: v_dual_cndmask_b32 v13, v13, v8
	v_cmp_lt_u16_e64 s1, v16, v15
                                        ; implicit-def: $vgpr16
	s_delay_alu instid0(VALU_DEP_2) | instskip(NEXT) | instid1(VALU_DEP_3)
	v_cmp_gt_i32_e64 s2, 64, v14
	v_cmp_lt_i32_e64 s0, 31, v13
	s_delay_alu instid0(VALU_DEP_1)
	s_or_b32 s0, s0, s1
	s_delay_alu instid0(VALU_DEP_2) | instid1(SALU_CYCLE_1)
	s_and_b32 s0, s2, s0
	s_delay_alu instid0(SALU_CYCLE_1) | instskip(NEXT) | instid1(SALU_CYCLE_1)
	s_xor_b32 s1, s0, -1
	s_and_saveexec_b32 s2, s1
	s_delay_alu instid0(SALU_CYCLE_1)
	s_xor_b32 s1, exec_lo, s2
	s_cbranch_execz .LBB113_58
; %bb.57:
	v_add_nc_u32_e32 v15, v0, v13
	ds_load_u8 v16, v15 offset:1
.LBB113_58:
	s_or_saveexec_b32 s1, s1
	v_mov_b32_e32 v15, v10
	s_xor_b32 exec_lo, exec_lo, s1
	s_cbranch_execz .LBB113_60
; %bb.59:
	s_waitcnt lgkmcnt(0)
	v_dual_mov_b32 v16, v11 :: v_dual_add_nc_u32 v15, v0, v14
	ds_load_u8 v15, v15 offset:1
.LBB113_60:
	s_or_b32 exec_lo, exec_lo, s1
	v_add_nc_u32_e32 v17, 1, v13
	v_add_nc_u32_e32 v18, 1, v14
	s_waitcnt lgkmcnt(0)
	v_and_b32_e32 v19, 0xff, v16
	v_and_b32_e32 v20, 0xff, v15
	v_cndmask_b32_e64 v22, v17, v13, s0
	v_cndmask_b32_e64 v17, v14, v18, s0
	s_delay_alu instid0(VALU_DEP_3) | instskip(NEXT) | instid1(VALU_DEP_3)
	v_cmp_ge_u16_e64 s2, v20, v19
                                        ; implicit-def: $vgpr20
                                        ; implicit-def: $vgpr19
	v_cmp_gt_i32_e64 s1, 32, v22
	s_delay_alu instid0(VALU_DEP_3) | instskip(NEXT) | instid1(VALU_DEP_2)
	v_cmp_lt_i32_e64 s3, 63, v17
	s_and_b32 s1, s1, s2
	s_delay_alu instid0(VALU_DEP_1) | instid1(SALU_CYCLE_1)
	s_or_b32 s1, s3, s1
	s_delay_alu instid0(SALU_CYCLE_1) | instskip(NEXT) | instid1(SALU_CYCLE_1)
	s_and_saveexec_b32 s2, s1
	s_xor_b32 s1, exec_lo, s2
	s_cbranch_execz .LBB113_62
; %bb.61:
	v_add_nc_u32_e32 v18, v0, v22
	v_add_nc_u32_e32 v19, 1, v22
	ds_load_u8 v20, v18 offset:1
.LBB113_62:
	s_or_saveexec_b32 s1, s1
	v_dual_mov_b32 v18, v16 :: v_dual_mov_b32 v21, v22
	s_xor_b32 exec_lo, exec_lo, s1
	s_cbranch_execz .LBB113_64
; %bb.63:
	v_dual_mov_b32 v21, v17 :: v_dual_add_nc_u32 v18, v0, v17
	s_waitcnt lgkmcnt(0)
	v_dual_mov_b32 v19, v22 :: v_dual_add_nc_u32 v20, 1, v17
	ds_load_u8 v23, v18 offset:1
	v_dual_mov_b32 v18, v15 :: v_dual_mov_b32 v17, v20
	s_waitcnt lgkmcnt(0)
	v_dual_mov_b32 v20, v16 :: v_dual_mov_b32 v15, v23
.LBB113_64:
	s_or_b32 exec_lo, exec_lo, s1
	s_waitcnt lgkmcnt(0)
	s_delay_alu instid0(VALU_DEP_1) | instskip(NEXT) | instid1(VALU_DEP_2)
	v_dual_cndmask_b32 v3, v3, v9 :: v_dual_and_b32 v16, 0xff, v20
	v_and_b32_e32 v22, 0xff, v15
	v_cmp_lt_i32_e64 s1, 31, v19
	v_cmp_gt_i32_e64 s3, 64, v17
	v_cndmask_b32_e64 v13, v13, v14, s0
	v_cndmask_b32_e32 v8, v8, v12, vcc_lo
	v_cmp_lt_u16_e64 s2, v22, v16
	; wave barrier
	ds_store_b8 v2, v4
	ds_store_b8 v2, v5 offset:1
	ds_store_b8 v2, v6 offset:2
	ds_store_b8 v2, v7 offset:3
	v_add_nc_u32_e32 v2, v0, v13
	s_or_b32 s1, s1, s2
	v_add_nc_u32_e32 v4, v0, v8
	s_and_b32 s1, s3, s1
	s_delay_alu instid0(SALU_CYCLE_1) | instskip(SKIP_3) | instid1(VALU_DEP_3)
	v_cndmask_b32_e64 v14, v19, v17, s1
	; wave barrier
	v_cndmask_b32_e64 v12, v20, v15, s1
	v_cndmask_b32_e64 v6, v11, v10, s0
	s_add_u32 s0, s10, s12
	v_add_nc_u32_e32 v5, v0, v14
	v_add_nc_u32_e32 v0, v0, v21
	ds_load_u8 v2, v2
	ds_load_u8 v4, v4
	;; [unrolled: 1-line block ×4, first 2 shown]
	s_addc_u32 s1, s11, 0
	s_waitcnt lgkmcnt(3)
	v_add_nc_u16 v2, v2, v6
	s_waitcnt lgkmcnt(2)
	v_add_nc_u16 v3, v4, v3
	;; [unrolled: 2-line block ×4, first 2 shown]
	v_lshlrev_b16 v2, 8, v2
	v_and_b32_e32 v3, 0xff, v3
	v_lshlrev_b16 v4, 8, v4
	s_delay_alu instid0(VALU_DEP_4) | instskip(NEXT) | instid1(VALU_DEP_3)
	v_and_b32_e32 v0, 0xff, v0
	v_or_b32_e32 v2, v3, v2
	s_delay_alu instid0(VALU_DEP_2) | instskip(NEXT) | instid1(VALU_DEP_2)
	v_or_b32_e32 v0, v0, v4
	v_and_b32_e32 v2, 0xffff, v2
	s_delay_alu instid0(VALU_DEP_2) | instskip(SKIP_1) | instid1(VALU_DEP_1)
	v_lshlrev_b32_e32 v3, 16, v0
	v_add_co_u32 v0, s0, s0, v1
	v_add_co_ci_u32_e64 v1, null, s1, 0, s0
	s_delay_alu instid0(VALU_DEP_3)
	v_or_b32_e32 v2, v2, v3
	global_store_b32 v[0:1], v2, off
	s_nop 0
	s_sendmsg sendmsg(MSG_DEALLOC_VGPRS)
	s_endpgm
	.section	.rodata,"a",@progbits
	.p2align	6, 0x0
	.amdhsa_kernel _Z10sort_pairsILj256ELj16ELj4EhN10test_utils4lessEEvPKT2_PS2_T3_
		.amdhsa_group_segment_fixed_size 1040
		.amdhsa_private_segment_fixed_size 0
		.amdhsa_kernarg_size 20
		.amdhsa_user_sgpr_count 15
		.amdhsa_user_sgpr_dispatch_ptr 0
		.amdhsa_user_sgpr_queue_ptr 0
		.amdhsa_user_sgpr_kernarg_segment_ptr 1
		.amdhsa_user_sgpr_dispatch_id 0
		.amdhsa_user_sgpr_private_segment_size 0
		.amdhsa_wavefront_size32 1
		.amdhsa_uses_dynamic_stack 0
		.amdhsa_enable_private_segment 0
		.amdhsa_system_sgpr_workgroup_id_x 1
		.amdhsa_system_sgpr_workgroup_id_y 0
		.amdhsa_system_sgpr_workgroup_id_z 0
		.amdhsa_system_sgpr_workgroup_info 0
		.amdhsa_system_vgpr_workitem_id 0
		.amdhsa_next_free_vgpr 29
		.amdhsa_next_free_sgpr 16
		.amdhsa_reserve_vcc 1
		.amdhsa_float_round_mode_32 0
		.amdhsa_float_round_mode_16_64 0
		.amdhsa_float_denorm_mode_32 3
		.amdhsa_float_denorm_mode_16_64 3
		.amdhsa_dx10_clamp 1
		.amdhsa_ieee_mode 1
		.amdhsa_fp16_overflow 0
		.amdhsa_workgroup_processor_mode 1
		.amdhsa_memory_ordered 1
		.amdhsa_forward_progress 0
		.amdhsa_shared_vgpr_count 0
		.amdhsa_exception_fp_ieee_invalid_op 0
		.amdhsa_exception_fp_denorm_src 0
		.amdhsa_exception_fp_ieee_div_zero 0
		.amdhsa_exception_fp_ieee_overflow 0
		.amdhsa_exception_fp_ieee_underflow 0
		.amdhsa_exception_fp_ieee_inexact 0
		.amdhsa_exception_int_div_zero 0
	.end_amdhsa_kernel
	.section	.text._Z10sort_pairsILj256ELj16ELj4EhN10test_utils4lessEEvPKT2_PS2_T3_,"axG",@progbits,_Z10sort_pairsILj256ELj16ELj4EhN10test_utils4lessEEvPKT2_PS2_T3_,comdat
.Lfunc_end113:
	.size	_Z10sort_pairsILj256ELj16ELj4EhN10test_utils4lessEEvPKT2_PS2_T3_, .Lfunc_end113-_Z10sort_pairsILj256ELj16ELj4EhN10test_utils4lessEEvPKT2_PS2_T3_
                                        ; -- End function
	.section	.AMDGPU.csdata,"",@progbits
; Kernel info:
; codeLenInByte = 4732
; NumSgprs: 18
; NumVgprs: 29
; ScratchSize: 0
; MemoryBound: 0
; FloatMode: 240
; IeeeMode: 1
; LDSByteSize: 1040 bytes/workgroup (compile time only)
; SGPRBlocks: 2
; VGPRBlocks: 3
; NumSGPRsForWavesPerEU: 18
; NumVGPRsForWavesPerEU: 29
; Occupancy: 16
; WaveLimiterHint : 0
; COMPUTE_PGM_RSRC2:SCRATCH_EN: 0
; COMPUTE_PGM_RSRC2:USER_SGPR: 15
; COMPUTE_PGM_RSRC2:TRAP_HANDLER: 0
; COMPUTE_PGM_RSRC2:TGID_X_EN: 1
; COMPUTE_PGM_RSRC2:TGID_Y_EN: 0
; COMPUTE_PGM_RSRC2:TGID_Z_EN: 0
; COMPUTE_PGM_RSRC2:TIDIG_COMP_CNT: 0
	.section	.text._Z19sort_keys_segmentedILj256ELj16ELj4EhN10test_utils4lessEEvPKT2_PS2_PKjT3_,"axG",@progbits,_Z19sort_keys_segmentedILj256ELj16ELj4EhN10test_utils4lessEEvPKT2_PS2_PKjT3_,comdat
	.protected	_Z19sort_keys_segmentedILj256ELj16ELj4EhN10test_utils4lessEEvPKT2_PS2_PKjT3_ ; -- Begin function _Z19sort_keys_segmentedILj256ELj16ELj4EhN10test_utils4lessEEvPKT2_PS2_PKjT3_
	.globl	_Z19sort_keys_segmentedILj256ELj16ELj4EhN10test_utils4lessEEvPKT2_PS2_PKjT3_
	.p2align	8
	.type	_Z19sort_keys_segmentedILj256ELj16ELj4EhN10test_utils4lessEEvPKT2_PS2_PKjT3_,@function
_Z19sort_keys_segmentedILj256ELj16ELj4EhN10test_utils4lessEEvPKT2_PS2_PKjT3_: ; @_Z19sort_keys_segmentedILj256ELj16ELj4EhN10test_utils4lessEEvPKT2_PS2_PKjT3_
; %bb.0:
	s_clause 0x1
	s_load_b64 s[2:3], s[0:1], 0x10
	s_load_b128 s[8:11], s[0:1], 0x0
	v_lshrrev_b32_e32 v6, 4, v0
	v_mov_b32_e32 v1, 0
                                        ; implicit-def: $vgpr8
	s_delay_alu instid0(VALU_DEP_2) | instskip(NEXT) | instid1(VALU_DEP_1)
	v_lshl_or_b32 v0, s15, 4, v6
	v_lshlrev_b64 v[1:2], 2, v[0:1]
	v_lshlrev_b32_e32 v3, 6, v0
	s_waitcnt lgkmcnt(0)
	s_delay_alu instid0(VALU_DEP_2) | instskip(NEXT) | instid1(VALU_DEP_3)
	v_add_co_u32 v1, vcc_lo, s2, v1
	v_add_co_ci_u32_e32 v2, vcc_lo, s3, v2, vcc_lo
	s_delay_alu instid0(VALU_DEP_3) | instskip(SKIP_2) | instid1(VALU_DEP_1)
	v_add_co_u32 v0, s0, s8, v3
	global_load_b32 v4, v[1:2], off
	v_mbcnt_lo_u32_b32 v1, -1, 0
	v_lshlrev_b32_e32 v5, 2, v1
	v_add_co_ci_u32_e64 v1, null, s9, 0, s0
	s_delay_alu instid0(VALU_DEP_2) | instskip(NEXT) | instid1(VALU_DEP_1)
	v_and_b32_e32 v2, 60, v5
	v_add_co_u32 v0, vcc_lo, v0, v2
	s_delay_alu instid0(VALU_DEP_3)
	v_add_co_ci_u32_e32 v1, vcc_lo, 0, v1, vcc_lo
	s_waitcnt vmcnt(0)
	v_cmp_lt_u32_e32 vcc_lo, v2, v4
	s_and_saveexec_b32 s0, vcc_lo
	s_cbranch_execz .LBB114_2
; %bb.1:
	global_load_u8 v8, v[0:1], off
.LBB114_2:
	s_or_b32 exec_lo, exec_lo, s0
	v_or_b32_e32 v7, 1, v2
                                        ; implicit-def: $vgpr10
	s_delay_alu instid0(VALU_DEP_1) | instskip(NEXT) | instid1(VALU_DEP_1)
	v_cmp_lt_u32_e64 s0, v7, v4
	s_and_saveexec_b32 s1, s0
	s_cbranch_execz .LBB114_4
; %bb.3:
	global_load_u8 v10, v[0:1], off offset:1
.LBB114_4:
	s_or_b32 exec_lo, exec_lo, s1
	v_or_b32_e32 v9, 2, v2
                                        ; implicit-def: $vgpr12
	s_delay_alu instid0(VALU_DEP_1) | instskip(NEXT) | instid1(VALU_DEP_1)
	v_cmp_lt_u32_e64 s1, v9, v4
	s_and_saveexec_b32 s2, s1
	s_cbranch_execz .LBB114_6
; %bb.5:
	global_load_u8 v12, v[0:1], off offset:2
.LBB114_6:
	s_or_b32 exec_lo, exec_lo, s2
	v_or_b32_e32 v11, 3, v2
                                        ; implicit-def: $vgpr13
	s_delay_alu instid0(VALU_DEP_1) | instskip(NEXT) | instid1(VALU_DEP_1)
	v_cmp_lt_u32_e64 s2, v11, v4
	s_and_saveexec_b32 s3, s2
	s_cbranch_execz .LBB114_8
; %bb.7:
	global_load_u8 v13, v[0:1], off offset:3
.LBB114_8:
	s_or_b32 exec_lo, exec_lo, s3
	s_waitcnt vmcnt(0)
	v_and_b32_e32 v0, 0xff, v8
	v_lshlrev_b16 v1, 8, v10
	v_and_b32_e32 v8, 0xff, v12
	v_lshlrev_b16 v10, 8, v13
	v_cmp_lt_i32_e64 s3, v7, v4
	s_mov_b32 s5, exec_lo
	v_or_b32_e32 v1, v0, v1
	v_or_b32_e32 v0, 0xffffff00, v0
	;; [unrolled: 1-line block ×3, first 2 shown]
	s_delay_alu instid0(VALU_DEP_3) | instskip(NEXT) | instid1(VALU_DEP_3)
	v_and_b32_e32 v1, 0xffff, v1
	v_and_b32_e32 v0, 0xffff, v0
	s_delay_alu instid0(VALU_DEP_3) | instskip(NEXT) | instid1(VALU_DEP_1)
	v_lshlrev_b32_e32 v8, 16, v8
	v_or_b32_e32 v1, v1, v8
	s_delay_alu instid0(VALU_DEP_3) | instskip(NEXT) | instid1(VALU_DEP_1)
	v_or_b32_e32 v0, v0, v8
	v_cndmask_b32_e64 v0, v0, v1, s3
	v_cmp_lt_i32_e64 s3, v9, v4
	s_delay_alu instid0(VALU_DEP_2) | instskip(NEXT) | instid1(VALU_DEP_1)
	v_lshrrev_b32_e32 v7, 16, v0
	v_or_b32_e32 v7, 0xff, v7
	s_delay_alu instid0(VALU_DEP_1) | instskip(NEXT) | instid1(VALU_DEP_1)
	v_lshlrev_b32_e32 v7, 16, v7
	v_and_or_b32 v0, 0xffff, v0, v7
	s_delay_alu instid0(VALU_DEP_1) | instskip(SKIP_1) | instid1(VALU_DEP_2)
	v_cndmask_b32_e64 v0, v0, v1, s3
	v_cmp_lt_i32_e64 s3, v11, v4
	v_lshrrev_b32_e32 v7, 16, v0
	s_delay_alu instid0(VALU_DEP_1) | instskip(NEXT) | instid1(VALU_DEP_1)
	v_or_b32_e32 v7, 0xffffff00, v7
	v_lshlrev_b32_e32 v7, 16, v7
	s_delay_alu instid0(VALU_DEP_1) | instskip(NEXT) | instid1(VALU_DEP_1)
	v_and_or_b32 v0, 0xffff, v0, v7
	v_cndmask_b32_e64 v11, v0, v1, s3
	v_cmpx_lt_i32_e64 v2, v4
	s_cbranch_execz .LBB114_10
; %bb.9:
	s_delay_alu instid0(VALU_DEP_2) | instskip(SKIP_2) | instid1(VALU_DEP_3)
	v_lshrrev_b32_e32 v0, 8, v11
	v_and_b32_e32 v1, 0xff, v11
	v_perm_b32 v7, v11, v11, 0x7060405
	v_and_b32_e32 v0, 0xff, v0
	s_delay_alu instid0(VALU_DEP_1) | instskip(SKIP_2) | instid1(VALU_DEP_3)
	v_cmp_lt_u16_e64 s3, v0, v1
	v_max_u16 v12, v0, v1
	v_min_u16 v0, v0, v1
	v_cndmask_b32_e64 v7, v11, v7, s3
	s_delay_alu instid0(VALU_DEP_1) | instskip(SKIP_1) | instid1(VALU_DEP_2)
	v_lshrrev_b32_e32 v8, 16, v7
	v_lshrrev_b32_e32 v10, 24, v7
	v_perm_b32 v9, 0, v8, 0xc0c0001
	v_and_b32_e32 v8, 0xff, v8
	s_delay_alu instid0(VALU_DEP_2) | instskip(NEXT) | instid1(VALU_DEP_2)
	v_lshlrev_b32_e32 v9, 16, v9
	v_cmp_lt_u16_e64 s3, v10, v8
	s_delay_alu instid0(VALU_DEP_2) | instskip(NEXT) | instid1(VALU_DEP_1)
	v_and_or_b32 v9, 0xffff, v7, v9
	v_cndmask_b32_e64 v7, v7, v9, s3
	v_min_u16 v9, v10, v8
	v_max_u16 v8, v10, v8
	s_delay_alu instid0(VALU_DEP_3) | instskip(NEXT) | instid1(VALU_DEP_3)
	v_lshrrev_b32_e32 v11, 16, v7
	v_lshlrev_b16 v13, 8, v9
	v_and_b32_e32 v14, 0xff, v7
	v_cmp_lt_u16_e64 s3, v9, v12
	v_cmp_gt_u16_e64 s4, v12, v8
	v_and_b32_e32 v11, 0xffffff00, v11
	s_delay_alu instid0(VALU_DEP_4) | instskip(SKIP_2) | instid1(VALU_DEP_4)
	v_or_b32_e32 v1, v14, v13
	v_lshlrev_b16 v13, 8, v0
	v_min_u16 v14, v9, v12
	v_or_b32_e32 v11, v12, v11
	s_delay_alu instid0(VALU_DEP_4) | instskip(NEXT) | instid1(VALU_DEP_3)
	v_and_b32_e32 v1, 0xffff, v1
	v_or_b32_e32 v13, v14, v13
	s_delay_alu instid0(VALU_DEP_3) | instskip(NEXT) | instid1(VALU_DEP_2)
	v_lshlrev_b32_e32 v11, 16, v11
	v_and_b32_e32 v10, 0xffff, v13
	s_delay_alu instid0(VALU_DEP_2) | instskip(SKIP_1) | instid1(VALU_DEP_2)
	v_or_b32_e32 v1, v1, v11
	v_max_u16 v11, v9, v12
	v_cndmask_b32_e64 v1, v7, v1, s3
	s_delay_alu instid0(VALU_DEP_2) | instskip(SKIP_1) | instid1(VALU_DEP_3)
	v_lshlrev_b16 v7, 8, v11
	v_cmp_lt_u16_e64 s3, v9, v0
	v_and_or_b32 v10, 0xffff0000, v1, v10
	s_delay_alu instid0(VALU_DEP_3) | instskip(NEXT) | instid1(VALU_DEP_3)
	v_or_b32_e32 v7, v8, v7
	v_cndmask_b32_e64 v0, v14, v0, s3
	s_delay_alu instid0(VALU_DEP_3) | instskip(NEXT) | instid1(VALU_DEP_3)
	v_cndmask_b32_e64 v1, v1, v10, s3
	v_lshlrev_b32_e32 v7, 16, v7
	s_delay_alu instid0(VALU_DEP_1) | instskip(NEXT) | instid1(VALU_DEP_1)
	v_and_or_b32 v7, 0xffff, v1, v7
	v_cndmask_b32_e64 v1, v1, v7, s4
	v_cndmask_b32_e64 v7, v11, v8, s4
	s_delay_alu instid0(VALU_DEP_2) | instskip(SKIP_1) | instid1(VALU_DEP_3)
	v_lshrrev_b32_e32 v8, 16, v1
	v_and_b32_e32 v9, 0xff, v1
	v_lshlrev_b16 v10, 8, v7
	v_cmp_lt_u16_e64 s3, v7, v0
	s_delay_alu instid0(VALU_DEP_4) | instskip(NEXT) | instid1(VALU_DEP_3)
	v_and_b32_e32 v8, 0xffffff00, v8
	v_or_b32_e32 v9, v9, v10
	s_delay_alu instid0(VALU_DEP_2) | instskip(NEXT) | instid1(VALU_DEP_2)
	v_or_b32_e32 v8, v0, v8
	v_and_b32_e32 v9, 0xffff, v9
	s_delay_alu instid0(VALU_DEP_2) | instskip(NEXT) | instid1(VALU_DEP_1)
	v_lshlrev_b32_e32 v8, 16, v8
	v_or_b32_e32 v8, v9, v8
	s_delay_alu instid0(VALU_DEP_1)
	v_cndmask_b32_e64 v11, v1, v8, s3
.LBB114_10:
	s_or_b32 exec_lo, exec_lo, s5
	v_and_b32_e32 v0, 56, v5
	v_and_b32_e32 v8, 4, v5
	v_mad_u32_u24 v13, 0x41, v6, v2
	s_mov_b32 s5, 0
	s_mov_b32 s4, exec_lo
	v_min_i32_e32 v1, v4, v0
	v_min_i32_e32 v8, v4, v8
	; wave barrier
	ds_store_b32 v13, v11
	v_add_nc_u32_e32 v0, 4, v1
	; wave barrier
	s_delay_alu instid0(VALU_DEP_1) | instskip(NEXT) | instid1(VALU_DEP_1)
	v_min_i32_e32 v7, v4, v0
	v_add_nc_u32_e32 v0, 4, v7
	v_sub_nc_u32_e32 v12, v7, v1
	s_delay_alu instid0(VALU_DEP_2) | instskip(NEXT) | instid1(VALU_DEP_2)
	v_min_i32_e32 v9, v4, v0
	v_min_i32_e32 v12, v8, v12
	s_delay_alu instid0(VALU_DEP_2) | instskip(NEXT) | instid1(VALU_DEP_1)
	v_sub_nc_u32_e32 v0, v9, v7
	v_sub_nc_u32_e32 v10, v8, v0
	v_cmp_ge_i32_e64 s3, v8, v0
	v_mul_u32_u24_e32 v0, 0x41, v6
	s_delay_alu instid0(VALU_DEP_2) | instskip(NEXT) | instid1(VALU_DEP_1)
	v_cndmask_b32_e64 v10, 0, v10, s3
	v_cmpx_lt_i32_e64 v10, v12
	s_cbranch_execz .LBB114_14
; %bb.11:
	s_delay_alu instid0(VALU_DEP_3)
	v_add_nc_u32_e32 v6, v0, v1
	v_add3_u32 v11, v0, v7, v8
	.p2align	6
.LBB114_12:                             ; =>This Inner Loop Header: Depth=1
	v_sub_nc_u32_e32 v13, v12, v10
	s_delay_alu instid0(VALU_DEP_1) | instskip(NEXT) | instid1(VALU_DEP_1)
	v_lshrrev_b32_e32 v14, 31, v13
	v_add_nc_u32_e32 v13, v13, v14
	s_delay_alu instid0(VALU_DEP_1) | instskip(NEXT) | instid1(VALU_DEP_1)
	v_ashrrev_i32_e32 v13, 1, v13
	v_add_nc_u32_e32 v13, v13, v10
	s_delay_alu instid0(VALU_DEP_1)
	v_add_nc_u32_e32 v14, v6, v13
	v_xad_u32 v15, v13, -1, v11
	v_add_nc_u32_e32 v16, 1, v13
	ds_load_u8 v14, v14
	ds_load_u8 v15, v15
	s_waitcnt lgkmcnt(0)
	v_cmp_lt_u16_e64 s3, v15, v14
	s_delay_alu instid0(VALU_DEP_1) | instskip(SKIP_1) | instid1(VALU_DEP_1)
	v_cndmask_b32_e64 v12, v12, v13, s3
	v_cndmask_b32_e64 v10, v16, v10, s3
	v_cmp_ge_i32_e64 s3, v10, v12
	s_delay_alu instid0(VALU_DEP_1) | instskip(NEXT) | instid1(SALU_CYCLE_1)
	s_or_b32 s5, s3, s5
	s_and_not1_b32 exec_lo, exec_lo, s5
	s_cbranch_execnz .LBB114_12
; %bb.13:
	s_or_b32 exec_lo, exec_lo, s5
.LBB114_14:
	s_delay_alu instid0(SALU_CYCLE_1) | instskip(SKIP_2) | instid1(VALU_DEP_2)
	s_or_b32 exec_lo, exec_lo, s4
	v_add_nc_u32_e32 v6, v7, v8
	v_add_nc_u32_e32 v12, v10, v1
	v_sub_nc_u32_e32 v6, v6, v10
	s_delay_alu instid0(VALU_DEP_2) | instskip(SKIP_1) | instid1(VALU_DEP_3)
	v_add_nc_u32_e32 v14, v0, v12
	v_cmp_le_i32_e64 s3, v7, v12
	v_add_nc_u32_e32 v13, v0, v6
	v_cmp_gt_i32_e64 s5, v9, v6
	ds_load_u8 v1, v14
	ds_load_u8 v8, v13
	s_waitcnt lgkmcnt(1)
	v_and_b32_e32 v10, 0xff, v1
	s_waitcnt lgkmcnt(0)
	v_and_b32_e32 v11, 0xff, v8
	s_delay_alu instid0(VALU_DEP_1) | instskip(NEXT) | instid1(VALU_DEP_1)
	v_cmp_lt_u16_e64 s4, v11, v10
                                        ; implicit-def: $vgpr10
                                        ; implicit-def: $vgpr11
	s_or_b32 s3, s3, s4
	s_delay_alu instid0(SALU_CYCLE_1) | instskip(NEXT) | instid1(SALU_CYCLE_1)
	s_and_b32 s3, s5, s3
	s_xor_b32 s4, s3, -1
	s_delay_alu instid0(SALU_CYCLE_1) | instskip(NEXT) | instid1(SALU_CYCLE_1)
	s_and_saveexec_b32 s5, s4
	s_xor_b32 s4, exec_lo, s5
	s_cbranch_execz .LBB114_16
; %bb.15:
	ds_load_u8 v11, v14 offset:1
	v_mov_b32_e32 v10, v8
                                        ; implicit-def: $vgpr13
.LBB114_16:
	s_and_not1_saveexec_b32 s4, s4
	s_cbranch_execz .LBB114_18
; %bb.17:
	ds_load_u8 v10, v13 offset:1
	s_waitcnt lgkmcnt(1)
	v_mov_b32_e32 v11, v1
.LBB114_18:
	s_or_b32 exec_lo, exec_lo, s4
	v_add_nc_u32_e32 v13, 1, v12
	v_add_nc_u32_e32 v14, 1, v6
	s_waitcnt lgkmcnt(0)
	v_and_b32_e32 v15, 0xff, v11
	s_delay_alu instid0(VALU_DEP_3) | instskip(SKIP_2) | instid1(VALU_DEP_3)
	v_cndmask_b32_e64 v13, v13, v12, s3
	v_and_b32_e32 v12, 0xff, v10
	v_cndmask_b32_e64 v6, v6, v14, s3
	v_cmp_ge_i32_e64 s4, v13, v7
	s_delay_alu instid0(VALU_DEP_3) | instskip(NEXT) | instid1(VALU_DEP_3)
	v_cmp_lt_u16_e64 s5, v12, v15
	v_cmp_lt_i32_e64 s6, v6, v9
                                        ; implicit-def: $vgpr12
	s_delay_alu instid0(VALU_DEP_2)
	s_or_b32 s4, s4, s5
	s_delay_alu instid0(VALU_DEP_1) | instid1(SALU_CYCLE_1)
	s_and_b32 s4, s6, s4
	s_delay_alu instid0(SALU_CYCLE_1) | instskip(NEXT) | instid1(SALU_CYCLE_1)
	s_xor_b32 s5, s4, -1
	s_and_saveexec_b32 s6, s5
	s_delay_alu instid0(SALU_CYCLE_1)
	s_xor_b32 s5, exec_lo, s6
	s_cbranch_execz .LBB114_20
; %bb.19:
	v_add_nc_u32_e32 v12, v0, v13
	ds_load_u8 v12, v12 offset:1
.LBB114_20:
	s_or_saveexec_b32 s5, s5
	v_mov_b32_e32 v14, v10
	s_xor_b32 exec_lo, exec_lo, s5
	s_cbranch_execz .LBB114_22
; %bb.21:
	s_waitcnt lgkmcnt(0)
	v_add_nc_u32_e32 v12, v0, v6
	ds_load_u8 v14, v12 offset:1
	v_mov_b32_e32 v12, v11
.LBB114_22:
	s_or_b32 exec_lo, exec_lo, s5
	v_add_nc_u32_e32 v15, 1, v13
	v_add_nc_u32_e32 v17, 1, v6
	s_waitcnt lgkmcnt(0)
	v_and_b32_e32 v18, 0xff, v12
	s_delay_alu instid0(VALU_DEP_3) | instskip(SKIP_2) | instid1(VALU_DEP_3)
	v_cndmask_b32_e64 v16, v15, v13, s4
	v_and_b32_e32 v13, 0xff, v14
	v_cndmask_b32_e64 v17, v6, v17, s4
                                        ; implicit-def: $vgpr15
	v_cmp_ge_i32_e64 s5, v16, v7
	s_delay_alu instid0(VALU_DEP_3) | instskip(NEXT) | instid1(VALU_DEP_3)
	v_cmp_lt_u16_e64 s6, v13, v18
	v_cmp_lt_i32_e64 s7, v17, v9
	s_delay_alu instid0(VALU_DEP_2)
	s_or_b32 s5, s5, s6
	s_delay_alu instid0(VALU_DEP_1) | instid1(SALU_CYCLE_1)
	s_and_b32 s5, s7, s5
	s_delay_alu instid0(SALU_CYCLE_1) | instskip(NEXT) | instid1(SALU_CYCLE_1)
	s_xor_b32 s6, s5, -1
	s_and_saveexec_b32 s7, s6
	s_delay_alu instid0(SALU_CYCLE_1)
	s_xor_b32 s6, exec_lo, s7
	s_cbranch_execz .LBB114_24
; %bb.23:
	v_add_nc_u32_e32 v6, v0, v16
	ds_load_u8 v15, v6 offset:1
.LBB114_24:
	s_or_saveexec_b32 s6, s6
	v_mov_b32_e32 v18, v14
	s_xor_b32 exec_lo, exec_lo, s6
	s_cbranch_execz .LBB114_26
; %bb.25:
	v_add_nc_u32_e32 v6, v0, v17
	s_waitcnt lgkmcnt(0)
	v_mov_b32_e32 v15, v12
	ds_load_u8 v18, v6 offset:1
.LBB114_26:
	s_or_b32 exec_lo, exec_lo, s6
	v_and_b32_e32 v6, 48, v5
	v_add_nc_u32_e32 v19, 1, v16
	v_cndmask_b32_e64 v11, v11, v10, s4
	v_cndmask_b32_e64 v21, v1, v8, s3
	v_and_b32_e32 v10, 12, v5
	v_min_i32_e32 v13, v4, v6
	v_cndmask_b32_e64 v12, v12, v14, s5
	v_add_nc_u32_e32 v14, 1, v17
	s_waitcnt lgkmcnt(0)
	v_and_b32_e32 v22, 0xff, v15
	v_cndmask_b32_e64 v16, v19, v16, s5
	v_add_nc_u32_e32 v6, 8, v13
	v_min_i32_e32 v10, v4, v10
	v_cndmask_b32_e64 v14, v17, v14, s5
	v_add_nc_u32_e32 v1, v0, v2
	v_cmp_ge_i32_e64 s4, v16, v7
	v_min_i32_e32 v6, v4, v6
	s_delay_alu instid0(VALU_DEP_4) | instskip(NEXT) | instid1(VALU_DEP_2)
	v_cmp_lt_i32_e64 s5, v14, v9
	; wave barrier
	v_add_nc_u32_e32 v20, 8, v6
	v_sub_nc_u32_e32 v17, v6, v13
	s_delay_alu instid0(VALU_DEP_2) | instskip(SKIP_1) | instid1(VALU_DEP_3)
	v_min_i32_e32 v8, v4, v20
	v_and_b32_e32 v20, 0xff, v18
	v_min_i32_e32 v9, v10, v17
	s_delay_alu instid0(VALU_DEP_3) | instskip(NEXT) | instid1(VALU_DEP_3)
	v_sub_nc_u32_e32 v23, v8, v6
	v_cmp_lt_u16_e64 s3, v20, v22
	s_delay_alu instid0(VALU_DEP_2) | instskip(SKIP_1) | instid1(VALU_DEP_3)
	v_sub_nc_u32_e32 v19, v10, v23
	v_cmp_ge_i32_e64 s6, v10, v23
	s_or_b32 s3, s4, s3
	s_mov_b32 s4, exec_lo
	s_and_b32 s3, s5, s3
	s_mov_b32 s5, 0
	v_cndmask_b32_e64 v7, 0, v19, s6
	v_cndmask_b32_e64 v14, v15, v18, s3
	ds_store_b8 v1, v21
	ds_store_b8 v1, v11 offset:1
	ds_store_b8 v1, v12 offset:2
	;; [unrolled: 1-line block ×3, first 2 shown]
	; wave barrier
	v_cmpx_lt_i32_e64 v7, v9
	s_cbranch_execz .LBB114_30
; %bb.27:
	v_add_nc_u32_e32 v11, v0, v13
	v_add3_u32 v12, v0, v6, v10
	.p2align	6
.LBB114_28:                             ; =>This Inner Loop Header: Depth=1
	v_sub_nc_u32_e32 v14, v9, v7
	s_delay_alu instid0(VALU_DEP_1) | instskip(NEXT) | instid1(VALU_DEP_1)
	v_lshrrev_b32_e32 v15, 31, v14
	v_add_nc_u32_e32 v14, v14, v15
	s_delay_alu instid0(VALU_DEP_1) | instskip(NEXT) | instid1(VALU_DEP_1)
	v_ashrrev_i32_e32 v14, 1, v14
	v_add_nc_u32_e32 v14, v14, v7
	s_delay_alu instid0(VALU_DEP_1)
	v_add_nc_u32_e32 v15, v11, v14
	v_xad_u32 v16, v14, -1, v12
	v_add_nc_u32_e32 v17, 1, v14
	ds_load_u8 v15, v15
	ds_load_u8 v16, v16
	s_waitcnt lgkmcnt(0)
	v_cmp_lt_u16_e64 s3, v16, v15
	s_delay_alu instid0(VALU_DEP_1) | instskip(SKIP_1) | instid1(VALU_DEP_1)
	v_cndmask_b32_e64 v9, v9, v14, s3
	v_cndmask_b32_e64 v7, v17, v7, s3
	v_cmp_ge_i32_e64 s3, v7, v9
	s_delay_alu instid0(VALU_DEP_1) | instskip(NEXT) | instid1(SALU_CYCLE_1)
	s_or_b32 s5, s3, s5
	s_and_not1_b32 exec_lo, exec_lo, s5
	s_cbranch_execnz .LBB114_28
; %bb.29:
	s_or_b32 exec_lo, exec_lo, s5
.LBB114_30:
	s_delay_alu instid0(SALU_CYCLE_1) | instskip(SKIP_2) | instid1(VALU_DEP_2)
	s_or_b32 exec_lo, exec_lo, s4
	v_add_nc_u32_e32 v9, v6, v10
	v_add_nc_u32_e32 v13, v7, v13
	v_sub_nc_u32_e32 v7, v9, v7
	s_delay_alu instid0(VALU_DEP_2) | instskip(SKIP_1) | instid1(VALU_DEP_3)
	v_add_nc_u32_e32 v15, v0, v13
	v_cmp_le_i32_e64 s3, v6, v13
	v_add_nc_u32_e32 v14, v0, v7
	v_cmp_gt_i32_e64 s5, v8, v7
	ds_load_u8 v9, v15
	ds_load_u8 v10, v14
	s_waitcnt lgkmcnt(1)
	v_and_b32_e32 v11, 0xff, v9
	s_waitcnt lgkmcnt(0)
	v_and_b32_e32 v12, 0xff, v10
	s_delay_alu instid0(VALU_DEP_1) | instskip(NEXT) | instid1(VALU_DEP_1)
	v_cmp_lt_u16_e64 s4, v12, v11
                                        ; implicit-def: $vgpr11
                                        ; implicit-def: $vgpr12
	s_or_b32 s3, s3, s4
	s_delay_alu instid0(SALU_CYCLE_1) | instskip(NEXT) | instid1(SALU_CYCLE_1)
	s_and_b32 s3, s5, s3
	s_xor_b32 s4, s3, -1
	s_delay_alu instid0(SALU_CYCLE_1) | instskip(NEXT) | instid1(SALU_CYCLE_1)
	s_and_saveexec_b32 s5, s4
	s_xor_b32 s4, exec_lo, s5
	s_cbranch_execz .LBB114_32
; %bb.31:
	ds_load_u8 v12, v15 offset:1
	v_mov_b32_e32 v11, v10
                                        ; implicit-def: $vgpr14
.LBB114_32:
	s_and_not1_saveexec_b32 s4, s4
	s_cbranch_execz .LBB114_34
; %bb.33:
	ds_load_u8 v11, v14 offset:1
	s_waitcnt lgkmcnt(1)
	v_mov_b32_e32 v12, v9
.LBB114_34:
	s_or_b32 exec_lo, exec_lo, s4
	v_add_nc_u32_e32 v14, 1, v13
	v_add_nc_u32_e32 v15, 1, v7
	s_waitcnt lgkmcnt(0)
	v_and_b32_e32 v16, 0xff, v12
	s_delay_alu instid0(VALU_DEP_3) | instskip(SKIP_2) | instid1(VALU_DEP_3)
	v_cndmask_b32_e64 v14, v14, v13, s3
	v_and_b32_e32 v13, 0xff, v11
	v_cndmask_b32_e64 v7, v7, v15, s3
	v_cmp_ge_i32_e64 s4, v14, v6
	s_delay_alu instid0(VALU_DEP_3) | instskip(NEXT) | instid1(VALU_DEP_3)
	v_cmp_lt_u16_e64 s5, v13, v16
	v_cmp_lt_i32_e64 s6, v7, v8
                                        ; implicit-def: $vgpr13
	s_delay_alu instid0(VALU_DEP_2)
	s_or_b32 s4, s4, s5
	s_delay_alu instid0(VALU_DEP_1) | instid1(SALU_CYCLE_1)
	s_and_b32 s4, s6, s4
	s_delay_alu instid0(SALU_CYCLE_1) | instskip(NEXT) | instid1(SALU_CYCLE_1)
	s_xor_b32 s5, s4, -1
	s_and_saveexec_b32 s6, s5
	s_delay_alu instid0(SALU_CYCLE_1)
	s_xor_b32 s5, exec_lo, s6
	s_cbranch_execz .LBB114_36
; %bb.35:
	v_add_nc_u32_e32 v13, v0, v14
	ds_load_u8 v13, v13 offset:1
.LBB114_36:
	s_or_saveexec_b32 s5, s5
	v_mov_b32_e32 v15, v11
	s_xor_b32 exec_lo, exec_lo, s5
	s_cbranch_execz .LBB114_38
; %bb.37:
	s_waitcnt lgkmcnt(0)
	v_add_nc_u32_e32 v13, v0, v7
	ds_load_u8 v15, v13 offset:1
	v_mov_b32_e32 v13, v12
.LBB114_38:
	s_or_b32 exec_lo, exec_lo, s5
	v_add_nc_u32_e32 v16, 1, v14
	v_add_nc_u32_e32 v18, 1, v7
	s_waitcnt lgkmcnt(0)
	v_and_b32_e32 v19, 0xff, v13
	s_delay_alu instid0(VALU_DEP_3) | instskip(SKIP_2) | instid1(VALU_DEP_3)
	v_cndmask_b32_e64 v17, v16, v14, s4
	v_and_b32_e32 v14, 0xff, v15
	v_cndmask_b32_e64 v18, v7, v18, s4
                                        ; implicit-def: $vgpr16
	v_cmp_ge_i32_e64 s5, v17, v6
	s_delay_alu instid0(VALU_DEP_3) | instskip(NEXT) | instid1(VALU_DEP_3)
	v_cmp_lt_u16_e64 s6, v14, v19
	v_cmp_lt_i32_e64 s7, v18, v8
	s_delay_alu instid0(VALU_DEP_2)
	s_or_b32 s5, s5, s6
	s_delay_alu instid0(VALU_DEP_1) | instid1(SALU_CYCLE_1)
	s_and_b32 s5, s7, s5
	s_delay_alu instid0(SALU_CYCLE_1) | instskip(NEXT) | instid1(SALU_CYCLE_1)
	s_xor_b32 s6, s5, -1
	s_and_saveexec_b32 s7, s6
	s_delay_alu instid0(SALU_CYCLE_1)
	s_xor_b32 s6, exec_lo, s7
	s_cbranch_execz .LBB114_40
; %bb.39:
	v_add_nc_u32_e32 v7, v0, v17
	ds_load_u8 v16, v7 offset:1
.LBB114_40:
	s_or_saveexec_b32 s6, s6
	v_mov_b32_e32 v19, v15
	s_xor_b32 exec_lo, exec_lo, s6
	s_cbranch_execz .LBB114_42
; %bb.41:
	s_waitcnt lgkmcnt(0)
	v_dual_mov_b32 v16, v13 :: v_dual_add_nc_u32 v7, v0, v18
	ds_load_u8 v19, v7 offset:1
.LBB114_42:
	s_or_b32 exec_lo, exec_lo, s6
	v_and_b32_e32 v7, 32, v5
	v_add_nc_u32_e32 v21, 1, v17
	v_cndmask_b32_e64 v10, v9, v10, s3
	v_and_b32_e32 v5, 28, v5
	v_cndmask_b32_e64 v13, v13, v15, s5
	v_min_i32_e32 v14, v4, v7
	v_add_nc_u32_e32 v15, 1, v18
	v_cndmask_b32_e64 v11, v12, v11, s4
	s_waitcnt lgkmcnt(0)
	v_and_b32_e32 v12, 0xff, v16
	v_cndmask_b32_e64 v17, v21, v17, s5
	v_add_nc_u32_e32 v7, 16, v14
	v_min_i32_e32 v5, v4, v5
	v_cndmask_b32_e64 v15, v18, v15, s5
	s_delay_alu instid0(VALU_DEP_4) | instskip(NEXT) | instid1(VALU_DEP_4)
	v_cmp_ge_i32_e64 s4, v17, v6
	v_min_i32_e32 v7, v4, v7
	; wave barrier
	s_delay_alu instid0(VALU_DEP_3) | instskip(NEXT) | instid1(VALU_DEP_2)
	v_cmp_lt_i32_e64 s5, v15, v8
	v_add_nc_u32_e32 v20, 16, v7
	v_sub_nc_u32_e32 v18, v7, v14
	s_delay_alu instid0(VALU_DEP_2) | instskip(SKIP_1) | instid1(VALU_DEP_3)
	v_min_i32_e32 v9, v4, v20
	v_and_b32_e32 v20, 0xff, v19
	v_min_i32_e32 v8, v5, v18
	s_delay_alu instid0(VALU_DEP_3) | instskip(NEXT) | instid1(VALU_DEP_3)
	v_sub_nc_u32_e32 v22, v9, v7
	v_cmp_lt_u16_e64 s3, v20, v12
	s_delay_alu instid0(VALU_DEP_2) | instskip(SKIP_1) | instid1(VALU_DEP_3)
	v_sub_nc_u32_e32 v12, v5, v22
	v_cmp_ge_i32_e64 s6, v5, v22
	s_or_b32 s3, s4, s3
	s_mov_b32 s4, exec_lo
	s_and_b32 s3, s5, s3
	s_mov_b32 s5, 0
	v_cndmask_b32_e64 v6, 0, v12, s6
	v_cndmask_b32_e64 v12, v16, v19, s3
	ds_store_b8 v1, v10
	ds_store_b8 v1, v11 offset:1
	ds_store_b8 v1, v13 offset:2
	;; [unrolled: 1-line block ×3, first 2 shown]
	; wave barrier
	v_cmpx_lt_i32_e64 v6, v8
	s_cbranch_execz .LBB114_46
; %bb.43:
	v_add_nc_u32_e32 v10, v0, v14
	v_add3_u32 v11, v0, v7, v5
	.p2align	6
.LBB114_44:                             ; =>This Inner Loop Header: Depth=1
	v_sub_nc_u32_e32 v12, v8, v6
	s_delay_alu instid0(VALU_DEP_1) | instskip(NEXT) | instid1(VALU_DEP_1)
	v_lshrrev_b32_e32 v13, 31, v12
	v_add_nc_u32_e32 v12, v12, v13
	s_delay_alu instid0(VALU_DEP_1) | instskip(NEXT) | instid1(VALU_DEP_1)
	v_ashrrev_i32_e32 v12, 1, v12
	v_add_nc_u32_e32 v12, v12, v6
	s_delay_alu instid0(VALU_DEP_1)
	v_add_nc_u32_e32 v13, v10, v12
	v_xad_u32 v15, v12, -1, v11
	v_add_nc_u32_e32 v16, 1, v12
	ds_load_u8 v13, v13
	ds_load_u8 v15, v15
	s_waitcnt lgkmcnt(0)
	v_cmp_lt_u16_e64 s3, v15, v13
	s_delay_alu instid0(VALU_DEP_1) | instskip(SKIP_1) | instid1(VALU_DEP_1)
	v_cndmask_b32_e64 v8, v8, v12, s3
	v_cndmask_b32_e64 v6, v16, v6, s3
	v_cmp_ge_i32_e64 s3, v6, v8
	s_delay_alu instid0(VALU_DEP_1) | instskip(NEXT) | instid1(SALU_CYCLE_1)
	s_or_b32 s5, s3, s5
	s_and_not1_b32 exec_lo, exec_lo, s5
	s_cbranch_execnz .LBB114_44
; %bb.45:
	s_or_b32 exec_lo, exec_lo, s5
.LBB114_46:
	s_delay_alu instid0(SALU_CYCLE_1) | instskip(SKIP_2) | instid1(VALU_DEP_2)
	s_or_b32 exec_lo, exec_lo, s4
	v_add_nc_u32_e32 v5, v7, v5
	v_add_nc_u32_e32 v12, v6, v14
	v_sub_nc_u32_e32 v5, v5, v6
	s_delay_alu instid0(VALU_DEP_2) | instskip(SKIP_1) | instid1(VALU_DEP_3)
	v_add_nc_u32_e32 v14, v0, v12
	v_cmp_le_i32_e64 s3, v7, v12
	v_add_nc_u32_e32 v13, v0, v5
	v_cmp_gt_i32_e64 s5, v9, v5
	ds_load_u8 v6, v14
	ds_load_u8 v8, v13
	s_waitcnt lgkmcnt(1)
	v_and_b32_e32 v10, 0xff, v6
	s_waitcnt lgkmcnt(0)
	v_and_b32_e32 v11, 0xff, v8
	s_delay_alu instid0(VALU_DEP_1) | instskip(NEXT) | instid1(VALU_DEP_1)
	v_cmp_lt_u16_e64 s4, v11, v10
                                        ; implicit-def: $vgpr10
                                        ; implicit-def: $vgpr11
	s_or_b32 s3, s3, s4
	s_delay_alu instid0(SALU_CYCLE_1) | instskip(NEXT) | instid1(SALU_CYCLE_1)
	s_and_b32 s3, s5, s3
	s_xor_b32 s4, s3, -1
	s_delay_alu instid0(SALU_CYCLE_1) | instskip(NEXT) | instid1(SALU_CYCLE_1)
	s_and_saveexec_b32 s5, s4
	s_xor_b32 s4, exec_lo, s5
	s_cbranch_execz .LBB114_48
; %bb.47:
	ds_load_u8 v11, v14 offset:1
	v_mov_b32_e32 v10, v8
                                        ; implicit-def: $vgpr13
.LBB114_48:
	s_and_not1_saveexec_b32 s4, s4
	s_cbranch_execz .LBB114_50
; %bb.49:
	ds_load_u8 v10, v13 offset:1
	s_waitcnt lgkmcnt(1)
	v_mov_b32_e32 v11, v6
.LBB114_50:
	s_or_b32 exec_lo, exec_lo, s4
	v_add_nc_u32_e32 v13, 1, v12
	v_add_nc_u32_e32 v14, 1, v5
	s_waitcnt lgkmcnt(0)
	v_and_b32_e32 v15, 0xff, v11
	s_delay_alu instid0(VALU_DEP_3) | instskip(SKIP_2) | instid1(VALU_DEP_3)
	v_cndmask_b32_e64 v13, v13, v12, s3
	v_and_b32_e32 v12, 0xff, v10
	v_cndmask_b32_e64 v5, v5, v14, s3
	v_cmp_ge_i32_e64 s4, v13, v7
	s_delay_alu instid0(VALU_DEP_3) | instskip(NEXT) | instid1(VALU_DEP_3)
	v_cmp_lt_u16_e64 s5, v12, v15
	v_cmp_lt_i32_e64 s6, v5, v9
                                        ; implicit-def: $vgpr12
	s_delay_alu instid0(VALU_DEP_2)
	s_or_b32 s4, s4, s5
	s_delay_alu instid0(VALU_DEP_1) | instid1(SALU_CYCLE_1)
	s_and_b32 s4, s6, s4
	s_delay_alu instid0(SALU_CYCLE_1) | instskip(NEXT) | instid1(SALU_CYCLE_1)
	s_xor_b32 s5, s4, -1
	s_and_saveexec_b32 s6, s5
	s_delay_alu instid0(SALU_CYCLE_1)
	s_xor_b32 s5, exec_lo, s6
	s_cbranch_execz .LBB114_52
; %bb.51:
	v_add_nc_u32_e32 v12, v0, v13
	ds_load_u8 v12, v12 offset:1
.LBB114_52:
	s_or_saveexec_b32 s5, s5
	v_mov_b32_e32 v14, v10
	s_xor_b32 exec_lo, exec_lo, s5
	s_cbranch_execz .LBB114_54
; %bb.53:
	s_waitcnt lgkmcnt(0)
	v_add_nc_u32_e32 v12, v0, v5
	ds_load_u8 v14, v12 offset:1
	v_mov_b32_e32 v12, v11
.LBB114_54:
	s_or_b32 exec_lo, exec_lo, s5
	v_add_nc_u32_e32 v15, 1, v13
	v_add_nc_u32_e32 v16, 1, v5
	s_waitcnt lgkmcnt(0)
	v_and_b32_e32 v18, 0xff, v12
	s_delay_alu instid0(VALU_DEP_3) | instskip(SKIP_2) | instid1(VALU_DEP_3)
	v_cndmask_b32_e64 v15, v15, v13, s4
	v_and_b32_e32 v13, 0xff, v14
	v_cndmask_b32_e64 v17, v5, v16, s4
                                        ; implicit-def: $vgpr16
	v_cmp_ge_i32_e64 s5, v15, v7
	s_delay_alu instid0(VALU_DEP_3) | instskip(NEXT) | instid1(VALU_DEP_3)
	v_cmp_lt_u16_e64 s6, v13, v18
	v_cmp_lt_i32_e64 s7, v17, v9
	s_delay_alu instid0(VALU_DEP_2)
	s_or_b32 s5, s5, s6
	s_delay_alu instid0(VALU_DEP_1) | instid1(SALU_CYCLE_1)
	s_and_b32 s5, s7, s5
	s_delay_alu instid0(SALU_CYCLE_1) | instskip(NEXT) | instid1(SALU_CYCLE_1)
	s_xor_b32 s6, s5, -1
	s_and_saveexec_b32 s7, s6
	s_delay_alu instid0(SALU_CYCLE_1)
	s_xor_b32 s6, exec_lo, s7
	s_cbranch_execz .LBB114_56
; %bb.55:
	v_add_nc_u32_e32 v5, v0, v15
	ds_load_u8 v16, v5 offset:1
.LBB114_56:
	s_or_saveexec_b32 s6, s6
	v_mov_b32_e32 v18, v14
	s_xor_b32 exec_lo, exec_lo, s6
	s_cbranch_execz .LBB114_58
; %bb.57:
	v_add_nc_u32_e32 v5, v0, v17
	s_waitcnt lgkmcnt(0)
	v_mov_b32_e32 v16, v12
	ds_load_u8 v18, v5 offset:1
.LBB114_58:
	s_or_b32 exec_lo, exec_lo, s6
	v_min_i32_e32 v13, 0, v4
	v_cndmask_b32_e64 v12, v12, v14, s5
	v_add_nc_u32_e32 v20, 1, v15
	v_cndmask_b32_e64 v10, v11, v10, s4
	v_cndmask_b32_e64 v11, v6, v8, s3
	v_add_nc_u32_e32 v5, 32, v13
	v_add_nc_u32_e32 v19, 1, v17
	s_waitcnt lgkmcnt(0)
	v_and_b32_e32 v8, 0xff, v16
	v_cndmask_b32_e64 v15, v20, v15, s5
	v_min_i32_e32 v5, v4, v5
	v_cndmask_b32_e64 v17, v17, v19, s5
	; wave barrier
	s_delay_alu instid0(VALU_DEP_3) | instskip(NEXT) | instid1(VALU_DEP_3)
	v_cmp_ge_i32_e64 s4, v15, v7
	v_add_nc_u32_e32 v14, 32, v5
	v_sub_nc_u32_e32 v19, v5, v13
	s_delay_alu instid0(VALU_DEP_4) | instskip(NEXT) | instid1(VALU_DEP_3)
	v_cmp_lt_i32_e64 s5, v17, v9
	v_min_i32_e32 v6, v4, v14
	v_and_b32_e32 v14, 0xff, v18
	v_min_i32_e32 v4, v4, v2
	s_delay_alu instid0(VALU_DEP_3) | instskip(NEXT) | instid1(VALU_DEP_3)
	v_sub_nc_u32_e32 v21, v6, v5
	v_cmp_lt_u16_e64 s3, v14, v8
	s_delay_alu instid0(VALU_DEP_3) | instskip(NEXT) | instid1(VALU_DEP_3)
	v_min_i32_e32 v8, v4, v19
	v_sub_nc_u32_e32 v14, v4, v21
	v_cmp_ge_i32_e64 s6, v4, v21
	s_delay_alu instid0(VALU_DEP_4)
	s_or_b32 s3, s4, s3
	s_mov_b32 s4, exec_lo
	s_and_b32 s3, s5, s3
	s_mov_b32 s5, 0
	v_cndmask_b32_e64 v7, 0, v14, s6
	v_cndmask_b32_e64 v9, v16, v18, s3
	ds_store_b8 v1, v11
	ds_store_b8 v1, v10 offset:1
	ds_store_b8 v1, v12 offset:2
	;; [unrolled: 1-line block ×3, first 2 shown]
	; wave barrier
	v_cmpx_lt_i32_e64 v7, v8
	s_cbranch_execz .LBB114_62
; %bb.59:
	v_add_nc_u32_e32 v1, v0, v13
	v_add3_u32 v9, v0, v5, v4
	.p2align	6
.LBB114_60:                             ; =>This Inner Loop Header: Depth=1
	v_sub_nc_u32_e32 v10, v8, v7
	s_delay_alu instid0(VALU_DEP_1) | instskip(NEXT) | instid1(VALU_DEP_1)
	v_lshrrev_b32_e32 v11, 31, v10
	v_add_nc_u32_e32 v10, v10, v11
	s_delay_alu instid0(VALU_DEP_1) | instskip(NEXT) | instid1(VALU_DEP_1)
	v_ashrrev_i32_e32 v10, 1, v10
	v_add_nc_u32_e32 v10, v10, v7
	s_delay_alu instid0(VALU_DEP_1)
	v_add_nc_u32_e32 v11, v1, v10
	v_xad_u32 v12, v10, -1, v9
	v_add_nc_u32_e32 v14, 1, v10
	ds_load_u8 v11, v11
	ds_load_u8 v12, v12
	s_waitcnt lgkmcnt(0)
	v_cmp_lt_u16_e64 s3, v12, v11
	s_delay_alu instid0(VALU_DEP_1) | instskip(SKIP_1) | instid1(VALU_DEP_1)
	v_cndmask_b32_e64 v8, v8, v10, s3
	v_cndmask_b32_e64 v7, v14, v7, s3
	v_cmp_ge_i32_e64 s3, v7, v8
	s_delay_alu instid0(VALU_DEP_1) | instskip(NEXT) | instid1(SALU_CYCLE_1)
	s_or_b32 s5, s3, s5
	s_and_not1_b32 exec_lo, exec_lo, s5
	s_cbranch_execnz .LBB114_60
; %bb.61:
	s_or_b32 exec_lo, exec_lo, s5
.LBB114_62:
	s_delay_alu instid0(SALU_CYCLE_1) | instskip(SKIP_2) | instid1(VALU_DEP_2)
	s_or_b32 exec_lo, exec_lo, s4
	v_add_nc_u32_e32 v1, v5, v4
	v_add_nc_u32_e32 v10, v7, v13
	v_sub_nc_u32_e32 v1, v1, v7
	s_delay_alu instid0(VALU_DEP_2) | instskip(SKIP_1) | instid1(VALU_DEP_3)
	v_add_nc_u32_e32 v12, v0, v10
	v_cmp_le_i32_e64 s3, v5, v10
	v_add_nc_u32_e32 v11, v0, v1
	v_cmp_gt_i32_e64 s5, v6, v1
	ds_load_u8 v4, v12
	ds_load_u8 v7, v11
	s_waitcnt lgkmcnt(1)
	v_and_b32_e32 v8, 0xff, v4
	s_waitcnt lgkmcnt(0)
	v_and_b32_e32 v9, 0xff, v7
	s_delay_alu instid0(VALU_DEP_1) | instskip(NEXT) | instid1(VALU_DEP_1)
	v_cmp_lt_u16_e64 s4, v9, v8
                                        ; implicit-def: $vgpr8
                                        ; implicit-def: $vgpr9
	s_or_b32 s3, s3, s4
	s_delay_alu instid0(SALU_CYCLE_1) | instskip(NEXT) | instid1(SALU_CYCLE_1)
	s_and_b32 s3, s5, s3
	s_xor_b32 s4, s3, -1
	s_delay_alu instid0(SALU_CYCLE_1) | instskip(NEXT) | instid1(SALU_CYCLE_1)
	s_and_saveexec_b32 s5, s4
	s_xor_b32 s4, exec_lo, s5
	s_cbranch_execz .LBB114_64
; %bb.63:
	ds_load_u8 v9, v12 offset:1
	v_mov_b32_e32 v8, v7
                                        ; implicit-def: $vgpr11
.LBB114_64:
	s_and_not1_saveexec_b32 s4, s4
	s_cbranch_execz .LBB114_66
; %bb.65:
	ds_load_u8 v8, v11 offset:1
	s_waitcnt lgkmcnt(1)
	v_mov_b32_e32 v9, v4
.LBB114_66:
	s_or_b32 exec_lo, exec_lo, s4
	v_add_nc_u32_e32 v11, 1, v10
	v_add_nc_u32_e32 v13, 1, v1
	s_waitcnt lgkmcnt(0)
	v_and_b32_e32 v14, 0xff, v9
	s_delay_alu instid0(VALU_DEP_3) | instskip(SKIP_2) | instid1(VALU_DEP_3)
	v_cndmask_b32_e64 v12, v11, v10, s3
	v_and_b32_e32 v10, 0xff, v8
	v_cndmask_b32_e64 v1, v1, v13, s3
	v_cmp_ge_i32_e64 s4, v12, v5
	s_delay_alu instid0(VALU_DEP_3) | instskip(NEXT) | instid1(VALU_DEP_3)
	v_cmp_lt_u16_e64 s5, v10, v14
	v_cmp_lt_i32_e64 s6, v1, v6
                                        ; implicit-def: $vgpr10
	s_delay_alu instid0(VALU_DEP_2)
	s_or_b32 s4, s4, s5
	s_delay_alu instid0(VALU_DEP_1) | instid1(SALU_CYCLE_1)
	s_and_b32 s4, s6, s4
	s_delay_alu instid0(SALU_CYCLE_1) | instskip(NEXT) | instid1(SALU_CYCLE_1)
	s_xor_b32 s5, s4, -1
	s_and_saveexec_b32 s6, s5
	s_delay_alu instid0(SALU_CYCLE_1)
	s_xor_b32 s5, exec_lo, s6
	s_cbranch_execz .LBB114_68
; %bb.67:
	v_add_nc_u32_e32 v10, v0, v12
	ds_load_u8 v10, v10 offset:1
.LBB114_68:
	s_or_saveexec_b32 s5, s5
	v_mov_b32_e32 v11, v8
	s_xor_b32 exec_lo, exec_lo, s5
	s_cbranch_execz .LBB114_70
; %bb.69:
	s_waitcnt lgkmcnt(0)
	v_add_nc_u32_e32 v10, v0, v1
	ds_load_u8 v11, v10 offset:1
	v_mov_b32_e32 v10, v9
.LBB114_70:
	s_or_b32 exec_lo, exec_lo, s5
	v_add_nc_u32_e32 v13, 1, v12
	v_add_nc_u32_e32 v14, 1, v1
	s_waitcnt lgkmcnt(0)
	v_and_b32_e32 v15, 0xff, v10
	s_delay_alu instid0(VALU_DEP_3) | instskip(SKIP_2) | instid1(VALU_DEP_3)
	v_cndmask_b32_e64 v16, v13, v12, s4
	v_and_b32_e32 v13, 0xff, v11
	v_cndmask_b32_e64 v12, v1, v14, s4
                                        ; implicit-def: $vgpr14
	v_cmp_ge_i32_e64 s5, v16, v5
	s_delay_alu instid0(VALU_DEP_3) | instskip(NEXT) | instid1(VALU_DEP_3)
	v_cmp_lt_u16_e64 s6, v13, v15
	v_cmp_lt_i32_e64 s7, v12, v6
                                        ; implicit-def: $vgpr13
	s_delay_alu instid0(VALU_DEP_2)
	s_or_b32 s5, s5, s6
	s_delay_alu instid0(VALU_DEP_1) | instid1(SALU_CYCLE_1)
	s_and_b32 s5, s7, s5
	s_delay_alu instid0(SALU_CYCLE_1) | instskip(NEXT) | instid1(SALU_CYCLE_1)
	s_xor_b32 s6, s5, -1
	s_and_saveexec_b32 s7, s6
	s_delay_alu instid0(SALU_CYCLE_1)
	s_xor_b32 s6, exec_lo, s7
	s_cbranch_execz .LBB114_72
; %bb.71:
	v_add_nc_u32_e32 v0, v0, v16
	v_add_nc_u32_e32 v14, 1, v16
                                        ; implicit-def: $vgpr16
	ds_load_u8 v13, v0 offset:1
                                        ; implicit-def: $vgpr0
.LBB114_72:
	s_or_saveexec_b32 s6, s6
	v_mov_b32_e32 v15, v11
	s_xor_b32 exec_lo, exec_lo, s6
	s_cbranch_execz .LBB114_74
; %bb.73:
	s_waitcnt lgkmcnt(0)
	v_dual_mov_b32 v13, v10 :: v_dual_add_nc_u32 v0, v0, v12
	v_add_nc_u32_e32 v12, 1, v12
	v_mov_b32_e32 v14, v16
	ds_load_u8 v15, v0 offset:1
.LBB114_74:
	s_or_b32 exec_lo, exec_lo, s6
	v_add_co_u32 v0, s6, s10, v3
	s_delay_alu instid0(VALU_DEP_1) | instskip(NEXT) | instid1(VALU_DEP_2)
	v_add_co_ci_u32_e64 v1, null, s11, 0, s6
	v_add_co_u32 v0, s6, v0, v2
	s_delay_alu instid0(VALU_DEP_1)
	v_add_co_ci_u32_e64 v1, s6, 0, v1, s6
	s_and_saveexec_b32 s6, vcc_lo
	s_cbranch_execnz .LBB114_79
; %bb.75:
	s_or_b32 exec_lo, exec_lo, s6
	s_and_saveexec_b32 s3, s0
	s_cbranch_execnz .LBB114_80
.LBB114_76:
	s_or_b32 exec_lo, exec_lo, s3
	s_and_saveexec_b32 s0, s1
	s_cbranch_execnz .LBB114_81
.LBB114_77:
	s_or_b32 exec_lo, exec_lo, s0
	s_and_saveexec_b32 s0, s2
	s_cbranch_execnz .LBB114_82
.LBB114_78:
	s_nop 0
	s_sendmsg sendmsg(MSG_DEALLOC_VGPRS)
	s_endpgm
.LBB114_79:
	v_cndmask_b32_e64 v2, v4, v7, s3
	global_store_b8 v[0:1], v2, off
	s_or_b32 exec_lo, exec_lo, s6
	s_and_saveexec_b32 s3, s0
	s_cbranch_execz .LBB114_76
.LBB114_80:
	v_cndmask_b32_e64 v2, v9, v8, s4
	global_store_b8 v[0:1], v2, off offset:1
	s_or_b32 exec_lo, exec_lo, s3
	s_and_saveexec_b32 s0, s1
	s_cbranch_execz .LBB114_77
.LBB114_81:
	v_cndmask_b32_e64 v2, v10, v11, s5
	global_store_b8 v[0:1], v2, off offset:2
	s_or_b32 exec_lo, exec_lo, s0
	s_and_saveexec_b32 s0, s2
	s_cbranch_execz .LBB114_78
.LBB114_82:
	s_waitcnt lgkmcnt(0)
	v_and_b32_e32 v2, 0xff, v13
	v_and_b32_e32 v3, 0xff, v15
	v_cmp_ge_i32_e32 vcc_lo, v14, v5
	v_cmp_lt_i32_e64 s1, v12, v6
	s_delay_alu instid0(VALU_DEP_3) | instskip(NEXT) | instid1(VALU_DEP_1)
	v_cmp_lt_u16_e64 s0, v3, v2
	s_or_b32 s0, vcc_lo, s0
	s_delay_alu instid0(VALU_DEP_2) | instid1(SALU_CYCLE_1)
	s_and_b32 vcc_lo, s1, s0
	v_cndmask_b32_e32 v2, v13, v15, vcc_lo
	global_store_b8 v[0:1], v2, off offset:3
	s_nop 0
	s_sendmsg sendmsg(MSG_DEALLOC_VGPRS)
	s_endpgm
	.section	.rodata,"a",@progbits
	.p2align	6, 0x0
	.amdhsa_kernel _Z19sort_keys_segmentedILj256ELj16ELj4EhN10test_utils4lessEEvPKT2_PS2_PKjT3_
		.amdhsa_group_segment_fixed_size 1040
		.amdhsa_private_segment_fixed_size 0
		.amdhsa_kernarg_size 28
		.amdhsa_user_sgpr_count 15
		.amdhsa_user_sgpr_dispatch_ptr 0
		.amdhsa_user_sgpr_queue_ptr 0
		.amdhsa_user_sgpr_kernarg_segment_ptr 1
		.amdhsa_user_sgpr_dispatch_id 0
		.amdhsa_user_sgpr_private_segment_size 0
		.amdhsa_wavefront_size32 1
		.amdhsa_uses_dynamic_stack 0
		.amdhsa_enable_private_segment 0
		.amdhsa_system_sgpr_workgroup_id_x 1
		.amdhsa_system_sgpr_workgroup_id_y 0
		.amdhsa_system_sgpr_workgroup_id_z 0
		.amdhsa_system_sgpr_workgroup_info 0
		.amdhsa_system_vgpr_workitem_id 0
		.amdhsa_next_free_vgpr 24
		.amdhsa_next_free_sgpr 16
		.amdhsa_reserve_vcc 1
		.amdhsa_float_round_mode_32 0
		.amdhsa_float_round_mode_16_64 0
		.amdhsa_float_denorm_mode_32 3
		.amdhsa_float_denorm_mode_16_64 3
		.amdhsa_dx10_clamp 1
		.amdhsa_ieee_mode 1
		.amdhsa_fp16_overflow 0
		.amdhsa_workgroup_processor_mode 1
		.amdhsa_memory_ordered 1
		.amdhsa_forward_progress 0
		.amdhsa_shared_vgpr_count 0
		.amdhsa_exception_fp_ieee_invalid_op 0
		.amdhsa_exception_fp_denorm_src 0
		.amdhsa_exception_fp_ieee_div_zero 0
		.amdhsa_exception_fp_ieee_overflow 0
		.amdhsa_exception_fp_ieee_underflow 0
		.amdhsa_exception_fp_ieee_inexact 0
		.amdhsa_exception_int_div_zero 0
	.end_amdhsa_kernel
	.section	.text._Z19sort_keys_segmentedILj256ELj16ELj4EhN10test_utils4lessEEvPKT2_PS2_PKjT3_,"axG",@progbits,_Z19sort_keys_segmentedILj256ELj16ELj4EhN10test_utils4lessEEvPKT2_PS2_PKjT3_,comdat
.Lfunc_end114:
	.size	_Z19sort_keys_segmentedILj256ELj16ELj4EhN10test_utils4lessEEvPKT2_PS2_PKjT3_, .Lfunc_end114-_Z19sort_keys_segmentedILj256ELj16ELj4EhN10test_utils4lessEEvPKT2_PS2_PKjT3_
                                        ; -- End function
	.section	.AMDGPU.csdata,"",@progbits
; Kernel info:
; codeLenInByte = 4688
; NumSgprs: 18
; NumVgprs: 24
; ScratchSize: 0
; MemoryBound: 0
; FloatMode: 240
; IeeeMode: 1
; LDSByteSize: 1040 bytes/workgroup (compile time only)
; SGPRBlocks: 2
; VGPRBlocks: 2
; NumSGPRsForWavesPerEU: 18
; NumVGPRsForWavesPerEU: 24
; Occupancy: 16
; WaveLimiterHint : 0
; COMPUTE_PGM_RSRC2:SCRATCH_EN: 0
; COMPUTE_PGM_RSRC2:USER_SGPR: 15
; COMPUTE_PGM_RSRC2:TRAP_HANDLER: 0
; COMPUTE_PGM_RSRC2:TGID_X_EN: 1
; COMPUTE_PGM_RSRC2:TGID_Y_EN: 0
; COMPUTE_PGM_RSRC2:TGID_Z_EN: 0
; COMPUTE_PGM_RSRC2:TIDIG_COMP_CNT: 0
	.section	.text._Z20sort_pairs_segmentedILj256ELj16ELj4EhN10test_utils4lessEEvPKT2_PS2_PKjT3_,"axG",@progbits,_Z20sort_pairs_segmentedILj256ELj16ELj4EhN10test_utils4lessEEvPKT2_PS2_PKjT3_,comdat
	.protected	_Z20sort_pairs_segmentedILj256ELj16ELj4EhN10test_utils4lessEEvPKT2_PS2_PKjT3_ ; -- Begin function _Z20sort_pairs_segmentedILj256ELj16ELj4EhN10test_utils4lessEEvPKT2_PS2_PKjT3_
	.globl	_Z20sort_pairs_segmentedILj256ELj16ELj4EhN10test_utils4lessEEvPKT2_PS2_PKjT3_
	.p2align	8
	.type	_Z20sort_pairs_segmentedILj256ELj16ELj4EhN10test_utils4lessEEvPKT2_PS2_PKjT3_,@function
_Z20sort_pairs_segmentedILj256ELj16ELj4EhN10test_utils4lessEEvPKT2_PS2_PKjT3_: ; @_Z20sort_pairs_segmentedILj256ELj16ELj4EhN10test_utils4lessEEvPKT2_PS2_PKjT3_
; %bb.0:
	s_clause 0x1
	s_load_b64 s[2:3], s[0:1], 0x10
	s_load_b128 s[8:11], s[0:1], 0x0
	v_lshrrev_b32_e32 v6, 4, v0
	v_mov_b32_e32 v1, 0
                                        ; implicit-def: $vgpr10
	s_delay_alu instid0(VALU_DEP_2) | instskip(NEXT) | instid1(VALU_DEP_1)
	v_lshl_or_b32 v0, s15, 4, v6
	v_lshlrev_b64 v[1:2], 2, v[0:1]
	v_lshlrev_b32_e32 v3, 6, v0
	s_waitcnt lgkmcnt(0)
	s_delay_alu instid0(VALU_DEP_2) | instskip(NEXT) | instid1(VALU_DEP_3)
	v_add_co_u32 v1, vcc_lo, s2, v1
	v_add_co_ci_u32_e32 v2, vcc_lo, s3, v2, vcc_lo
	s_delay_alu instid0(VALU_DEP_3) | instskip(SKIP_2) | instid1(VALU_DEP_1)
	v_add_co_u32 v0, s0, s8, v3
	global_load_b32 v4, v[1:2], off
	v_mbcnt_lo_u32_b32 v1, -1, 0
	v_lshlrev_b32_e32 v5, 2, v1
	v_add_co_ci_u32_e64 v1, null, s9, 0, s0
	s_delay_alu instid0(VALU_DEP_2) | instskip(NEXT) | instid1(VALU_DEP_1)
	v_and_b32_e32 v2, 60, v5
	v_add_co_u32 v0, vcc_lo, v0, v2
	s_delay_alu instid0(VALU_DEP_3)
	v_add_co_ci_u32_e32 v1, vcc_lo, 0, v1, vcc_lo
	s_waitcnt vmcnt(0)
	v_cmp_lt_u32_e32 vcc_lo, v2, v4
	s_and_saveexec_b32 s0, vcc_lo
	s_cbranch_execz .LBB115_2
; %bb.1:
	global_load_u8 v10, v[0:1], off
.LBB115_2:
	s_or_b32 exec_lo, exec_lo, s0
	v_or_b32_e32 v7, 1, v2
                                        ; implicit-def: $vgpr12
	s_delay_alu instid0(VALU_DEP_1) | instskip(NEXT) | instid1(VALU_DEP_1)
	v_cmp_lt_u32_e64 s0, v7, v4
	s_and_saveexec_b32 s1, s0
	s_cbranch_execz .LBB115_4
; %bb.3:
	global_load_u8 v12, v[0:1], off offset:1
.LBB115_4:
	s_or_b32 exec_lo, exec_lo, s1
	v_or_b32_e32 v8, 2, v2
                                        ; implicit-def: $vgpr11
	s_delay_alu instid0(VALU_DEP_1) | instskip(NEXT) | instid1(VALU_DEP_1)
	v_cmp_lt_u32_e64 s1, v8, v4
	s_and_saveexec_b32 s2, s1
	s_cbranch_execz .LBB115_6
; %bb.5:
	global_load_u8 v11, v[0:1], off offset:2
.LBB115_6:
	s_or_b32 exec_lo, exec_lo, s2
	v_or_b32_e32 v9, 3, v2
                                        ; implicit-def: $vgpr13
	s_delay_alu instid0(VALU_DEP_1) | instskip(NEXT) | instid1(VALU_DEP_1)
	v_cmp_lt_u32_e64 s2, v9, v4
	s_and_saveexec_b32 s3, s2
	s_cbranch_execz .LBB115_8
; %bb.7:
	global_load_u8 v13, v[0:1], off offset:3
.LBB115_8:
	s_or_b32 exec_lo, exec_lo, s3
	s_waitcnt vmcnt(0)
	v_and_b32_e32 v0, 0xff, v10
	v_lshlrev_b16 v1, 8, v12
	v_and_b32_e32 v12, 0xff, v11
	v_add_nc_u16 v10, v10, 1
	v_lshlrev_b16 v13, 8, v13
	v_add_nc_u16 v11, v11, 1
	v_or_b32_e32 v14, v0, v1
	v_or_b32_e32 v0, 0xffffff00, v0
	v_and_b32_e32 v10, 0xff, v10
	v_or_b32_e32 v12, v12, v13
	v_cmp_lt_i32_e64 s3, v7, v4
	v_and_b32_e32 v14, 0xffff, v14
	v_and_b32_e32 v0, 0xffff, v0
	v_or_b32_e32 v1, v1, v10
	v_lshlrev_b32_e32 v12, 16, v12
	v_and_b32_e32 v11, 0xff, v11
	v_and_b32_e32 v10, 0xffff, v10
	s_mov_b32 s4, exec_lo
	v_add_nc_u16 v1, v1, 0x100
	v_or_b32_e32 v14, v14, v12
	v_or_b32_e32 v0, v0, v12
	v_lshlrev_b32_e32 v7, 16, v11
	s_delay_alu instid0(VALU_DEP_4) | instskip(NEXT) | instid1(VALU_DEP_3)
	v_and_b32_e32 v1, 0xffff, v1
	v_cndmask_b32_e64 v0, v0, v14, s3
	v_cmp_lt_i32_e64 s3, v8, v4
	s_delay_alu instid0(VALU_DEP_3) | instskip(NEXT) | instid1(VALU_DEP_3)
	v_cndmask_b32_e64 v1, v10, v1, s0
	v_lshrrev_b32_e32 v10, 16, v0
	s_delay_alu instid0(VALU_DEP_2) | instskip(NEXT) | instid1(VALU_DEP_2)
	v_or_b32_e32 v7, v1, v7
	v_or_b32_e32 v10, 0xff, v10
	s_delay_alu instid0(VALU_DEP_2) | instskip(NEXT) | instid1(VALU_DEP_2)
	v_cndmask_b32_e64 v1, v1, v7, s1
	v_lshlrev_b32_e32 v7, 16, v10
	s_delay_alu instid0(VALU_DEP_2) | instskip(NEXT) | instid1(VALU_DEP_2)
	v_lshrrev_b32_e32 v10, 16, v1
	v_and_or_b32 v0, 0xffff, v0, v7
	s_delay_alu instid0(VALU_DEP_2) | instskip(NEXT) | instid1(VALU_DEP_2)
	v_and_b32_e32 v7, 0xff, v10
	v_cndmask_b32_e64 v0, v0, v14, s3
	v_cmp_lt_i32_e64 s3, v9, v4
	s_delay_alu instid0(VALU_DEP_3) | instskip(NEXT) | instid1(VALU_DEP_3)
	v_or_b32_e32 v7, v13, v7
	v_lshrrev_b32_e32 v8, 16, v0
	s_delay_alu instid0(VALU_DEP_2) | instskip(NEXT) | instid1(VALU_DEP_2)
	v_add_nc_u16 v7, v7, 0x100
	v_or_b32_e32 v8, 0xffffff00, v8
	s_delay_alu instid0(VALU_DEP_2) | instskip(NEXT) | instid1(VALU_DEP_2)
	v_lshlrev_b32_e32 v7, 16, v7
	v_lshlrev_b32_e32 v8, 16, v8
	s_delay_alu instid0(VALU_DEP_2) | instskip(NEXT) | instid1(VALU_DEP_2)
	v_and_or_b32 v7, 0xffff, v1, v7
	v_and_or_b32 v0, 0xffff, v0, v8
	s_delay_alu instid0(VALU_DEP_2) | instskip(NEXT) | instid1(VALU_DEP_2)
	v_cndmask_b32_e64 v7, v1, v7, s2
	v_cndmask_b32_e64 v12, v0, v14, s3
	v_cmpx_lt_i32_e64 v2, v4
	s_cbranch_execz .LBB115_10
; %bb.9:
	s_delay_alu instid0(VALU_DEP_2) | instskip(SKIP_3) | instid1(VALU_DEP_4)
	v_lshrrev_b32_e32 v0, 8, v12
	v_and_b32_e32 v1, 0xff, v12
	v_perm_b32 v9, v12, v12, 0x7060405
	v_perm_b32 v8, v7, v7, 0x7060405
	v_and_b32_e32 v0, 0xff, v0
	s_delay_alu instid0(VALU_DEP_1) | instskip(NEXT) | instid1(VALU_DEP_1)
	v_cmp_lt_u16_e64 s3, v0, v1
	v_cndmask_b32_e64 v1, v12, v9, s3
	s_delay_alu instid0(VALU_DEP_4) | instskip(NEXT) | instid1(VALU_DEP_2)
	v_cndmask_b32_e64 v0, v7, v8, s3
	v_lshrrev_b32_e32 v8, 16, v1
	s_delay_alu instid0(VALU_DEP_2) | instskip(SKIP_1) | instid1(VALU_DEP_3)
	v_lshrrev_b32_e32 v7, 16, v0
	v_lshrrev_b32_e32 v10, 24, v1
	v_perm_b32 v9, 0, v8, 0xc0c0001
	s_delay_alu instid0(VALU_DEP_3) | instskip(SKIP_1) | instid1(VALU_DEP_3)
	v_perm_b32 v7, 0, v7, 0xc0c0001
	v_and_b32_e32 v8, 0xff, v8
	v_lshlrev_b32_e32 v9, 16, v9
	s_delay_alu instid0(VALU_DEP_3) | instskip(NEXT) | instid1(VALU_DEP_3)
	v_lshlrev_b32_e32 v7, 16, v7
	v_cmp_lt_u16_e64 s3, v10, v8
	s_delay_alu instid0(VALU_DEP_3) | instskip(NEXT) | instid1(VALU_DEP_3)
	v_and_or_b32 v9, 0xffff, v1, v9
	v_and_or_b32 v7, 0xffff, v0, v7
	s_delay_alu instid0(VALU_DEP_2) | instskip(NEXT) | instid1(VALU_DEP_2)
	v_cndmask_b32_e64 v1, v1, v9, s3
	v_cndmask_b32_e64 v0, v0, v7, s3
	v_min_u16 v7, v10, v8
	s_delay_alu instid0(VALU_DEP_3) | instskip(SKIP_1) | instid1(VALU_DEP_3)
	v_lshrrev_b32_e32 v8, 16, v1
	v_lshrrev_b16 v10, 8, v1
	v_lshlrev_b16 v9, 8, v7
	v_and_b32_e32 v11, 0xff, v1
	s_delay_alu instid0(VALU_DEP_4) | instskip(NEXT) | instid1(VALU_DEP_2)
	v_and_b32_e32 v8, 0xffffff00, v8
	v_or_b32_e32 v9, v11, v9
	v_perm_b32 v11, v0, v0, 0x7050604
	s_delay_alu instid0(VALU_DEP_3) | instskip(SKIP_1) | instid1(VALU_DEP_4)
	v_or_b32_e32 v8, v10, v8
	v_lshrrev_b32_e32 v10, 8, v1
	v_and_b32_e32 v9, 0xffff, v9
	s_delay_alu instid0(VALU_DEP_3) | instskip(NEXT) | instid1(VALU_DEP_3)
	v_lshlrev_b32_e32 v8, 16, v8
	v_and_b32_e32 v10, 0xff, v10
	s_delay_alu instid0(VALU_DEP_2) | instskip(NEXT) | instid1(VALU_DEP_2)
	v_or_b32_e32 v8, v9, v8
	v_cmp_lt_u16_e64 s3, v7, v10
	v_min_u16 v7, v7, v10
	s_delay_alu instid0(VALU_DEP_2) | instskip(SKIP_1) | instid1(VALU_DEP_2)
	v_cndmask_b32_e64 v1, v1, v8, s3
	v_cndmask_b32_e64 v0, v0, v11, s3
	v_lshlrev_b16 v8, 8, v1
	v_and_b32_e32 v10, 0xff, v1
	s_delay_alu instid0(VALU_DEP_3) | instskip(NEXT) | instid1(VALU_DEP_3)
	v_perm_b32 v9, 0, v0, 0xc0c0001
	v_or_b32_e32 v8, v7, v8
	s_delay_alu instid0(VALU_DEP_3) | instskip(NEXT) | instid1(VALU_DEP_3)
	v_cmp_lt_u16_e64 s3, v7, v10
	v_and_or_b32 v9, 0xffff0000, v0, v9
	s_delay_alu instid0(VALU_DEP_3) | instskip(NEXT) | instid1(VALU_DEP_2)
	v_and_b32_e32 v8, 0xffff, v8
	v_cndmask_b32_e64 v0, v0, v9, s3
	s_delay_alu instid0(VALU_DEP_2) | instskip(NEXT) | instid1(VALU_DEP_2)
	v_and_or_b32 v8, 0xffff0000, v1, v8
	v_lshrrev_b32_e32 v7, 16, v0
	s_delay_alu instid0(VALU_DEP_2) | instskip(NEXT) | instid1(VALU_DEP_2)
	v_cndmask_b32_e64 v1, v1, v8, s3
	v_perm_b32 v7, 0, v7, 0xc0c0001
	s_delay_alu instid0(VALU_DEP_2) | instskip(SKIP_1) | instid1(VALU_DEP_3)
	v_lshrrev_b32_e32 v8, 16, v1
	v_lshrrev_b32_e32 v10, 24, v1
	v_lshlrev_b32_e32 v7, 16, v7
	s_delay_alu instid0(VALU_DEP_3) | instskip(SKIP_1) | instid1(VALU_DEP_3)
	v_perm_b32 v9, 0, v8, 0xc0c0001
	v_and_b32_e32 v8, 0xff, v8
	v_and_or_b32 v7, 0xffff, v0, v7
	s_delay_alu instid0(VALU_DEP_3) | instskip(NEXT) | instid1(VALU_DEP_3)
	v_lshlrev_b32_e32 v9, 16, v9
	v_cmp_lt_u16_e64 s3, v10, v8
	s_delay_alu instid0(VALU_DEP_2) | instskip(NEXT) | instid1(VALU_DEP_2)
	v_and_or_b32 v9, 0xffff, v1, v9
	v_cndmask_b32_e64 v0, v0, v7, s3
	v_min_u16 v7, v10, v8
	s_delay_alu instid0(VALU_DEP_3) | instskip(NEXT) | instid1(VALU_DEP_2)
	v_cndmask_b32_e64 v1, v1, v9, s3
	v_lshlrev_b16 v9, 8, v7
	s_delay_alu instid0(VALU_DEP_2) | instskip(SKIP_2) | instid1(VALU_DEP_3)
	v_lshrrev_b32_e32 v8, 16, v1
	v_lshrrev_b16 v10, 8, v1
	v_and_b32_e32 v11, 0xff, v1
	v_and_b32_e32 v8, 0xffffff00, v8
	s_delay_alu instid0(VALU_DEP_2) | instskip(SKIP_1) | instid1(VALU_DEP_3)
	v_or_b32_e32 v9, v11, v9
	v_perm_b32 v11, v0, v0, 0x7050604
	v_or_b32_e32 v8, v10, v8
	v_lshrrev_b32_e32 v10, 8, v1
	s_delay_alu instid0(VALU_DEP_4) | instskip(NEXT) | instid1(VALU_DEP_3)
	v_and_b32_e32 v9, 0xffff, v9
	v_lshlrev_b32_e32 v8, 16, v8
	s_delay_alu instid0(VALU_DEP_3) | instskip(NEXT) | instid1(VALU_DEP_2)
	v_and_b32_e32 v10, 0xff, v10
	v_or_b32_e32 v8, v9, v8
	s_delay_alu instid0(VALU_DEP_2) | instskip(NEXT) | instid1(VALU_DEP_1)
	v_cmp_lt_u16_e64 s3, v7, v10
	v_cndmask_b32_e64 v7, v0, v11, s3
	s_delay_alu instid0(VALU_DEP_3)
	v_cndmask_b32_e64 v12, v1, v8, s3
.LBB115_10:
	s_or_b32 exec_lo, exec_lo, s4
	v_and_b32_e32 v0, 56, v5
	v_and_b32_e32 v10, 4, v5
	v_mad_u32_u24 v14, 0x41, v6, v2
	s_mov_b32 s5, 0
	s_mov_b32 s4, exec_lo
	v_min_i32_e32 v9, v4, v0
	v_min_i32_e32 v10, v4, v10
	; wave barrier
	ds_store_b32 v14, v12
	v_add_nc_u32_e32 v0, 4, v9
	; wave barrier
	s_delay_alu instid0(VALU_DEP_1) | instskip(NEXT) | instid1(VALU_DEP_1)
	v_min_i32_e32 v1, v4, v0
	v_add_nc_u32_e32 v0, 4, v1
	v_sub_nc_u32_e32 v13, v1, v9
	s_delay_alu instid0(VALU_DEP_2) | instskip(NEXT) | instid1(VALU_DEP_2)
	v_min_i32_e32 v8, v4, v0
	v_min_i32_e32 v13, v10, v13
	s_delay_alu instid0(VALU_DEP_2) | instskip(NEXT) | instid1(VALU_DEP_1)
	v_sub_nc_u32_e32 v0, v8, v1
	v_sub_nc_u32_e32 v11, v10, v0
	v_cmp_ge_i32_e64 s3, v10, v0
	v_mul_u32_u24_e32 v0, 0x41, v6
	s_delay_alu instid0(VALU_DEP_2) | instskip(NEXT) | instid1(VALU_DEP_1)
	v_cndmask_b32_e64 v11, 0, v11, s3
	v_cmpx_lt_i32_e64 v11, v13
	s_cbranch_execz .LBB115_14
; %bb.11:
	s_delay_alu instid0(VALU_DEP_3)
	v_add_nc_u32_e32 v6, v0, v9
	v_add3_u32 v12, v0, v1, v10
	.p2align	6
.LBB115_12:                             ; =>This Inner Loop Header: Depth=1
	v_sub_nc_u32_e32 v14, v13, v11
	s_delay_alu instid0(VALU_DEP_1) | instskip(NEXT) | instid1(VALU_DEP_1)
	v_lshrrev_b32_e32 v15, 31, v14
	v_add_nc_u32_e32 v14, v14, v15
	s_delay_alu instid0(VALU_DEP_1) | instskip(NEXT) | instid1(VALU_DEP_1)
	v_ashrrev_i32_e32 v14, 1, v14
	v_add_nc_u32_e32 v14, v14, v11
	s_delay_alu instid0(VALU_DEP_1)
	v_add_nc_u32_e32 v15, v6, v14
	v_xad_u32 v16, v14, -1, v12
	v_add_nc_u32_e32 v17, 1, v14
	ds_load_u8 v15, v15
	ds_load_u8 v16, v16
	s_waitcnt lgkmcnt(0)
	v_cmp_lt_u16_e64 s3, v16, v15
	s_delay_alu instid0(VALU_DEP_1) | instskip(SKIP_1) | instid1(VALU_DEP_1)
	v_cndmask_b32_e64 v13, v13, v14, s3
	v_cndmask_b32_e64 v11, v17, v11, s3
	v_cmp_ge_i32_e64 s3, v11, v13
	s_delay_alu instid0(VALU_DEP_1) | instskip(NEXT) | instid1(SALU_CYCLE_1)
	s_or_b32 s5, s3, s5
	s_and_not1_b32 exec_lo, exec_lo, s5
	s_cbranch_execnz .LBB115_12
; %bb.13:
	s_or_b32 exec_lo, exec_lo, s5
.LBB115_14:
	s_delay_alu instid0(SALU_CYCLE_1) | instskip(SKIP_2) | instid1(VALU_DEP_2)
	s_or_b32 exec_lo, exec_lo, s4
	v_add_nc_u32_e32 v10, v1, v10
	v_add_nc_u32_e32 v6, v11, v9
	v_sub_nc_u32_e32 v9, v10, v11
	s_delay_alu instid0(VALU_DEP_2) | instskip(SKIP_1) | instid1(VALU_DEP_3)
	v_add_nc_u32_e32 v11, v0, v6
	v_cmp_le_i32_e64 s3, v1, v6
	v_add_nc_u32_e32 v10, v0, v9
	v_cmp_gt_i32_e64 s5, v8, v9
	ds_load_u8 v12, v11
	ds_load_u8 v13, v10
	s_waitcnt lgkmcnt(1)
	v_and_b32_e32 v14, 0xff, v12
	s_waitcnt lgkmcnt(0)
	v_and_b32_e32 v15, 0xff, v13
	s_delay_alu instid0(VALU_DEP_1) | instskip(NEXT) | instid1(VALU_DEP_1)
	v_cmp_lt_u16_e64 s4, v15, v14
                                        ; implicit-def: $vgpr14
                                        ; implicit-def: $vgpr15
	s_or_b32 s3, s3, s4
	s_delay_alu instid0(SALU_CYCLE_1) | instskip(NEXT) | instid1(SALU_CYCLE_1)
	s_and_b32 s3, s5, s3
	s_xor_b32 s4, s3, -1
	s_delay_alu instid0(SALU_CYCLE_1) | instskip(NEXT) | instid1(SALU_CYCLE_1)
	s_and_saveexec_b32 s5, s4
	s_xor_b32 s4, exec_lo, s5
	s_cbranch_execz .LBB115_16
; %bb.15:
	ds_load_u8 v15, v11 offset:1
	v_mov_b32_e32 v14, v13
                                        ; implicit-def: $vgpr10
.LBB115_16:
	s_and_not1_saveexec_b32 s4, s4
	s_cbranch_execz .LBB115_18
; %bb.17:
	ds_load_u8 v14, v10 offset:1
	s_waitcnt lgkmcnt(1)
	v_mov_b32_e32 v15, v12
.LBB115_18:
	s_or_b32 exec_lo, exec_lo, s4
	v_add_nc_u32_e32 v10, 1, v6
	v_add_nc_u32_e32 v11, 1, v9
	s_waitcnt lgkmcnt(0)
	v_and_b32_e32 v16, 0xff, v15
	v_and_b32_e32 v17, 0xff, v14
	v_cndmask_b32_e64 v10, v10, v6, s3
	v_cndmask_b32_e64 v11, v9, v11, s3
	s_delay_alu instid0(VALU_DEP_3) | instskip(NEXT) | instid1(VALU_DEP_3)
	v_cmp_lt_u16_e64 s5, v17, v16
                                        ; implicit-def: $vgpr16
	v_cmp_ge_i32_e64 s4, v10, v1
	s_delay_alu instid0(VALU_DEP_3) | instskip(NEXT) | instid1(VALU_DEP_2)
	v_cmp_lt_i32_e64 s6, v11, v8
	s_or_b32 s4, s4, s5
	s_delay_alu instid0(VALU_DEP_1) | instid1(SALU_CYCLE_1)
	s_and_b32 s4, s6, s4
	s_delay_alu instid0(SALU_CYCLE_1) | instskip(NEXT) | instid1(SALU_CYCLE_1)
	s_xor_b32 s5, s4, -1
	s_and_saveexec_b32 s6, s5
	s_delay_alu instid0(SALU_CYCLE_1)
	s_xor_b32 s5, exec_lo, s6
	s_cbranch_execz .LBB115_20
; %bb.19:
	v_add_nc_u32_e32 v16, v0, v10
	ds_load_u8 v16, v16 offset:1
.LBB115_20:
	s_or_saveexec_b32 s5, s5
	v_mov_b32_e32 v17, v14
	s_xor_b32 exec_lo, exec_lo, s5
	s_cbranch_execz .LBB115_22
; %bb.21:
	s_waitcnt lgkmcnt(0)
	v_add_nc_u32_e32 v16, v0, v11
	ds_load_u8 v17, v16 offset:1
	v_mov_b32_e32 v16, v15
.LBB115_22:
	s_or_b32 exec_lo, exec_lo, s5
	v_add_nc_u32_e32 v18, 1, v10
	v_add_nc_u32_e32 v20, 1, v11
	s_waitcnt lgkmcnt(0)
	v_and_b32_e32 v21, 0xff, v16
	s_delay_alu instid0(VALU_DEP_3) | instskip(SKIP_2) | instid1(VALU_DEP_3)
	v_cndmask_b32_e64 v19, v18, v10, s4
	v_and_b32_e32 v18, 0xff, v17
	v_cndmask_b32_e64 v20, v11, v20, s4
	v_cmp_ge_i32_e64 s5, v19, v1
	s_delay_alu instid0(VALU_DEP_3) | instskip(NEXT) | instid1(VALU_DEP_3)
	v_cmp_lt_u16_e64 s6, v18, v21
	v_cmp_lt_i32_e64 s7, v20, v8
                                        ; implicit-def: $vgpr21
	s_delay_alu instid0(VALU_DEP_2)
	s_or_b32 s5, s5, s6
	s_delay_alu instid0(VALU_DEP_1) | instid1(SALU_CYCLE_1)
	s_and_b32 s5, s7, s5
	s_delay_alu instid0(SALU_CYCLE_1) | instskip(NEXT) | instid1(SALU_CYCLE_1)
	s_xor_b32 s6, s5, -1
	s_and_saveexec_b32 s7, s6
	s_delay_alu instid0(SALU_CYCLE_1)
	s_xor_b32 s6, exec_lo, s7
	s_cbranch_execz .LBB115_24
; %bb.23:
	v_add_nc_u32_e32 v18, v0, v19
	ds_load_u8 v21, v18 offset:1
.LBB115_24:
	s_or_saveexec_b32 s6, s6
	v_mov_b32_e32 v22, v17
	s_xor_b32 exec_lo, exec_lo, s6
	s_cbranch_execz .LBB115_26
; %bb.25:
	v_add_nc_u32_e32 v18, v0, v20
	s_waitcnt lgkmcnt(0)
	v_mov_b32_e32 v21, v16
	ds_load_u8 v22, v18 offset:1
.LBB115_26:
	s_or_b32 exec_lo, exec_lo, s6
	v_add_nc_u32_e32 v18, 1, v19
	v_add_nc_u32_e32 v23, 1, v20
	v_and_b32_e32 v26, 48, v5
	s_waitcnt lgkmcnt(0)
	v_and_b32_e32 v24, 0xff, v21
	v_and_b32_e32 v25, 0xff, v22
	v_cndmask_b32_e64 v27, v18, v19, s5
	v_cndmask_b32_e64 v23, v20, v23, s5
	v_min_i32_e32 v18, v4, v26
	v_cndmask_b32_e64 v9, v6, v9, s3
	v_cmp_lt_u16_e64 s6, v25, v24
	v_cmp_ge_i32_e64 s7, v27, v1
	v_cmp_lt_i32_e64 s8, v23, v8
	v_cndmask_b32_e64 v8, v10, v11, s4
	v_add_nc_u32_e32 v10, 8, v18
	v_add_nc_u32_e32 v1, v0, v2
	s_or_b32 s6, s7, s6
	v_cndmask_b32_e64 v19, v19, v20, s5
	s_and_b32 s6, s8, s6
	v_min_i32_e32 v6, v4, v10
	v_cndmask_b32_e64 v10, v27, v23, s6
	; wave barrier
	ds_store_b32 v1, v7
	v_add_nc_u32_e32 v7, 8, v6
	v_add_nc_u32_e32 v9, v0, v9
	;; [unrolled: 1-line block ×3, first 2 shown]
	v_cndmask_b32_e64 v20, v21, v22, s6
	v_add_nc_u32_e32 v22, v0, v19
	v_add_nc_u32_e32 v10, v0, v10
	; wave barrier
	v_min_i32_e32 v11, v4, v7
	ds_load_u8 v7, v9
	ds_load_u8 v8, v8
	ds_load_u8 v9, v22
	ds_load_u8 v10, v10
	v_and_b32_e32 v21, 12, v5
	v_sub_nc_u32_e32 v23, v6, v18
	v_cndmask_b32_e64 v24, v16, v17, s5
	v_cndmask_b32_e64 v12, v12, v13, s3
	;; [unrolled: 1-line block ×3, first 2 shown]
	v_min_i32_e32 v19, v4, v21
	v_sub_nc_u32_e32 v21, v11, v6
	s_mov_b32 s4, exec_lo
	; wave barrier
	s_delay_alu instid0(VALU_DEP_2) | instskip(NEXT) | instid1(VALU_DEP_2)
	v_min_i32_e32 v16, v19, v23
	v_sub_nc_u32_e32 v22, v19, v21
	v_cmp_ge_i32_e64 s5, v19, v21
	ds_store_b8 v1, v12
	ds_store_b8 v1, v13 offset:1
	ds_store_b8 v1, v24 offset:2
	;; [unrolled: 1-line block ×3, first 2 shown]
	; wave barrier
	v_cndmask_b32_e64 v17, 0, v22, s5
	s_mov_b32 s5, 0
	s_delay_alu instid0(VALU_DEP_1)
	v_cmpx_lt_i32_e64 v17, v16
	s_cbranch_execz .LBB115_30
; %bb.27:
	v_add_nc_u32_e32 v12, v0, v18
	v_add3_u32 v13, v0, v6, v19
	.p2align	6
.LBB115_28:                             ; =>This Inner Loop Header: Depth=1
	v_sub_nc_u32_e32 v14, v16, v17
	s_delay_alu instid0(VALU_DEP_1) | instskip(NEXT) | instid1(VALU_DEP_1)
	v_lshrrev_b32_e32 v15, 31, v14
	v_add_nc_u32_e32 v14, v14, v15
	s_delay_alu instid0(VALU_DEP_1) | instskip(NEXT) | instid1(VALU_DEP_1)
	v_ashrrev_i32_e32 v14, 1, v14
	v_add_nc_u32_e32 v14, v14, v17
	s_delay_alu instid0(VALU_DEP_1)
	v_add_nc_u32_e32 v15, v12, v14
	v_xad_u32 v20, v14, -1, v13
	v_add_nc_u32_e32 v21, 1, v14
	ds_load_u8 v15, v15
	ds_load_u8 v20, v20
	s_waitcnt lgkmcnt(0)
	v_cmp_lt_u16_e64 s3, v20, v15
	s_delay_alu instid0(VALU_DEP_1) | instskip(SKIP_1) | instid1(VALU_DEP_1)
	v_cndmask_b32_e64 v16, v16, v14, s3
	v_cndmask_b32_e64 v17, v21, v17, s3
	v_cmp_ge_i32_e64 s3, v17, v16
	s_delay_alu instid0(VALU_DEP_1) | instskip(NEXT) | instid1(SALU_CYCLE_1)
	s_or_b32 s5, s3, s5
	s_and_not1_b32 exec_lo, exec_lo, s5
	s_cbranch_execnz .LBB115_28
; %bb.29:
	s_or_b32 exec_lo, exec_lo, s5
.LBB115_30:
	s_delay_alu instid0(SALU_CYCLE_1) | instskip(SKIP_2) | instid1(VALU_DEP_2)
	s_or_b32 exec_lo, exec_lo, s4
	v_add_nc_u32_e32 v12, v6, v19
	v_add_nc_u32_e32 v16, v17, v18
	v_sub_nc_u32_e32 v17, v12, v17
	s_delay_alu instid0(VALU_DEP_2) | instskip(SKIP_1) | instid1(VALU_DEP_3)
	v_add_nc_u32_e32 v19, v0, v16
	v_cmp_le_i32_e64 s3, v6, v16
	v_add_nc_u32_e32 v18, v0, v17
	v_cmp_gt_i32_e64 s5, v11, v17
	ds_load_u8 v12, v19
	ds_load_u8 v13, v18
	s_waitcnt lgkmcnt(1)
	v_and_b32_e32 v14, 0xff, v12
	s_waitcnt lgkmcnt(0)
	v_and_b32_e32 v15, 0xff, v13
	s_delay_alu instid0(VALU_DEP_1) | instskip(NEXT) | instid1(VALU_DEP_1)
	v_cmp_lt_u16_e64 s4, v15, v14
                                        ; implicit-def: $vgpr14
                                        ; implicit-def: $vgpr15
	s_or_b32 s3, s3, s4
	s_delay_alu instid0(SALU_CYCLE_1) | instskip(NEXT) | instid1(SALU_CYCLE_1)
	s_and_b32 s3, s5, s3
	s_xor_b32 s4, s3, -1
	s_delay_alu instid0(SALU_CYCLE_1) | instskip(NEXT) | instid1(SALU_CYCLE_1)
	s_and_saveexec_b32 s5, s4
	s_xor_b32 s4, exec_lo, s5
	s_cbranch_execz .LBB115_32
; %bb.31:
	ds_load_u8 v15, v19 offset:1
	v_mov_b32_e32 v14, v13
                                        ; implicit-def: $vgpr18
.LBB115_32:
	s_and_not1_saveexec_b32 s4, s4
	s_cbranch_execz .LBB115_34
; %bb.33:
	ds_load_u8 v14, v18 offset:1
	s_waitcnt lgkmcnt(1)
	v_mov_b32_e32 v15, v12
.LBB115_34:
	s_or_b32 exec_lo, exec_lo, s4
	v_add_nc_u32_e32 v18, 1, v16
	v_add_nc_u32_e32 v19, 1, v17
	s_waitcnt lgkmcnt(0)
	v_and_b32_e32 v22, 0xff, v15
	s_delay_alu instid0(VALU_DEP_3) | instskip(SKIP_2) | instid1(VALU_DEP_3)
	v_cndmask_b32_e64 v20, v18, v16, s3
	v_and_b32_e32 v18, 0xff, v14
	v_cndmask_b32_e64 v21, v17, v19, s3
	v_cmp_ge_i32_e64 s4, v20, v6
	s_delay_alu instid0(VALU_DEP_3) | instskip(NEXT) | instid1(VALU_DEP_3)
	v_cmp_lt_u16_e64 s5, v18, v22
	v_cmp_lt_i32_e64 s6, v21, v11
                                        ; implicit-def: $vgpr18
	s_delay_alu instid0(VALU_DEP_2)
	s_or_b32 s4, s4, s5
	s_delay_alu instid0(VALU_DEP_1) | instid1(SALU_CYCLE_1)
	s_and_b32 s4, s6, s4
	s_delay_alu instid0(SALU_CYCLE_1) | instskip(NEXT) | instid1(SALU_CYCLE_1)
	s_xor_b32 s5, s4, -1
	s_and_saveexec_b32 s6, s5
	s_delay_alu instid0(SALU_CYCLE_1)
	s_xor_b32 s5, exec_lo, s6
	s_cbranch_execz .LBB115_36
; %bb.35:
	v_add_nc_u32_e32 v18, v0, v20
	ds_load_u8 v18, v18 offset:1
.LBB115_36:
	s_or_saveexec_b32 s5, s5
	v_mov_b32_e32 v19, v14
	s_xor_b32 exec_lo, exec_lo, s5
	s_cbranch_execz .LBB115_38
; %bb.37:
	s_waitcnt lgkmcnt(0)
	v_add_nc_u32_e32 v18, v0, v21
	ds_load_u8 v19, v18 offset:1
	v_mov_b32_e32 v18, v15
.LBB115_38:
	s_or_b32 exec_lo, exec_lo, s5
	v_add_nc_u32_e32 v22, 1, v20
	v_add_nc_u32_e32 v23, 1, v21
	s_waitcnt lgkmcnt(0)
	v_and_b32_e32 v24, 0xff, v18
	s_delay_alu instid0(VALU_DEP_3) | instskip(SKIP_2) | instid1(VALU_DEP_3)
	v_cndmask_b32_e64 v25, v22, v20, s4
	v_and_b32_e32 v22, 0xff, v19
	v_cndmask_b32_e64 v23, v21, v23, s4
	v_cmp_ge_i32_e64 s5, v25, v6
	s_delay_alu instid0(VALU_DEP_3) | instskip(NEXT) | instid1(VALU_DEP_3)
	v_cmp_lt_u16_e64 s6, v22, v24
	v_cmp_lt_i32_e64 s7, v23, v11
                                        ; implicit-def: $vgpr22
	s_delay_alu instid0(VALU_DEP_2)
	s_or_b32 s5, s5, s6
	s_delay_alu instid0(VALU_DEP_1) | instid1(SALU_CYCLE_1)
	s_and_b32 s5, s7, s5
	s_delay_alu instid0(SALU_CYCLE_1) | instskip(NEXT) | instid1(SALU_CYCLE_1)
	s_xor_b32 s6, s5, -1
	s_and_saveexec_b32 s7, s6
	s_delay_alu instid0(SALU_CYCLE_1)
	s_xor_b32 s6, exec_lo, s7
	s_cbranch_execz .LBB115_40
; %bb.39:
	v_add_nc_u32_e32 v22, v0, v25
	ds_load_u8 v22, v22 offset:1
.LBB115_40:
	s_or_saveexec_b32 s6, s6
	v_mov_b32_e32 v24, v19
	s_xor_b32 exec_lo, exec_lo, s6
	s_cbranch_execz .LBB115_42
; %bb.41:
	s_waitcnt lgkmcnt(0)
	v_add_nc_u32_e32 v22, v0, v23
	ds_load_u8 v24, v22 offset:1
	v_mov_b32_e32 v22, v18
.LBB115_42:
	s_or_b32 exec_lo, exec_lo, s6
	v_add_nc_u32_e32 v26, 1, v25
	v_cndmask_b32_e64 v28, v25, v23, s5
	v_add_nc_u32_e32 v27, 1, v23
	v_cndmask_b32_e64 v21, v20, v21, s4
	s_waitcnt lgkmcnt(0)
	v_and_b32_e32 v29, 0xff, v22
	v_cndmask_b32_e64 v25, v26, v25, s5
	v_and_b32_e32 v26, 32, v5
	v_and_b32_e32 v30, 0xff, v24
	v_cndmask_b32_e64 v23, v23, v27, s5
	s_delay_alu instid0(VALU_DEP_4) | instskip(NEXT) | instid1(VALU_DEP_4)
	v_cmp_ge_i32_e64 s7, v25, v6
	v_min_i32_e32 v20, v4, v26
	s_delay_alu instid0(VALU_DEP_4) | instskip(NEXT) | instid1(VALU_DEP_4)
	v_cmp_lt_u16_e64 s6, v30, v29
	v_cmp_lt_i32_e64 s8, v23, v11
	v_cndmask_b32_e64 v11, v16, v17, s3
	; wave barrier
	s_delay_alu instid0(VALU_DEP_4) | instskip(NEXT) | instid1(VALU_DEP_4)
	v_add_nc_u32_e32 v6, 16, v20
	s_or_b32 s6, s7, s6
	ds_store_b8 v1, v7
	ds_store_b8 v1, v8 offset:1
	ds_store_b8 v1, v9 offset:2
	;; [unrolled: 1-line block ×3, first 2 shown]
	s_and_b32 s6, s8, s6
	v_add_nc_u32_e32 v8, v0, v11
	v_min_i32_e32 v6, v4, v6
	v_cndmask_b32_e64 v16, v25, v23, s6
	v_and_b32_e32 v5, 28, v5
	v_add_nc_u32_e32 v9, v0, v28
	s_delay_alu instid0(VALU_DEP_4) | instskip(NEXT) | instid1(VALU_DEP_4)
	v_add_nc_u32_e32 v7, 16, v6
	v_add_nc_u32_e32 v16, v0, v16
	; wave barrier
	s_delay_alu instid0(VALU_DEP_4) | instskip(SKIP_1) | instid1(VALU_DEP_4)
	v_min_i32_e32 v11, v4, v5
	v_cndmask_b32_e64 v18, v18, v19, s5
	v_min_i32_e32 v10, v4, v7
	v_add_nc_u32_e32 v7, v0, v21
	v_sub_nc_u32_e32 v21, v6, v20
	ds_load_u8 v5, v8
	ds_load_u8 v7, v7
	;; [unrolled: 1-line block ×4, first 2 shown]
	v_sub_nc_u32_e32 v17, v10, v6
	v_cndmask_b32_e64 v12, v12, v13, s3
	v_cndmask_b32_e64 v13, v15, v14, s4
	;; [unrolled: 1-line block ×3, first 2 shown]
	s_mov_b32 s4, exec_lo
	v_sub_nc_u32_e32 v16, v11, v17
	v_cmp_ge_i32_e64 s5, v11, v17
	v_min_i32_e32 v17, v11, v21
	; wave barrier
	ds_store_b8 v1, v12
	ds_store_b8 v1, v13 offset:1
	ds_store_b8 v1, v18 offset:2
	;; [unrolled: 1-line block ×3, first 2 shown]
	v_cndmask_b32_e64 v16, 0, v16, s5
	s_mov_b32 s5, 0
	; wave barrier
	s_delay_alu instid0(VALU_DEP_1)
	v_cmpx_lt_i32_e64 v16, v17
	s_cbranch_execz .LBB115_46
; %bb.43:
	v_add_nc_u32_e32 v12, v0, v20
	v_add3_u32 v13, v0, v6, v11
	.p2align	6
.LBB115_44:                             ; =>This Inner Loop Header: Depth=1
	v_sub_nc_u32_e32 v14, v17, v16
	s_delay_alu instid0(VALU_DEP_1) | instskip(NEXT) | instid1(VALU_DEP_1)
	v_lshrrev_b32_e32 v15, 31, v14
	v_add_nc_u32_e32 v14, v14, v15
	s_delay_alu instid0(VALU_DEP_1) | instskip(NEXT) | instid1(VALU_DEP_1)
	v_ashrrev_i32_e32 v14, 1, v14
	v_add_nc_u32_e32 v14, v14, v16
	s_delay_alu instid0(VALU_DEP_1)
	v_add_nc_u32_e32 v15, v12, v14
	v_xad_u32 v18, v14, -1, v13
	v_add_nc_u32_e32 v19, 1, v14
	ds_load_u8 v15, v15
	ds_load_u8 v18, v18
	s_waitcnt lgkmcnt(0)
	v_cmp_lt_u16_e64 s3, v18, v15
	s_delay_alu instid0(VALU_DEP_1) | instskip(SKIP_1) | instid1(VALU_DEP_1)
	v_cndmask_b32_e64 v17, v17, v14, s3
	v_cndmask_b32_e64 v16, v19, v16, s3
	v_cmp_ge_i32_e64 s3, v16, v17
	s_delay_alu instid0(VALU_DEP_1) | instskip(NEXT) | instid1(SALU_CYCLE_1)
	s_or_b32 s5, s3, s5
	s_and_not1_b32 exec_lo, exec_lo, s5
	s_cbranch_execnz .LBB115_44
; %bb.45:
	s_or_b32 exec_lo, exec_lo, s5
.LBB115_46:
	s_delay_alu instid0(SALU_CYCLE_1) | instskip(SKIP_2) | instid1(VALU_DEP_2)
	s_or_b32 exec_lo, exec_lo, s4
	v_add_nc_u32_e32 v11, v6, v11
	v_add_nc_u32_e32 v15, v16, v20
	v_sub_nc_u32_e32 v16, v11, v16
	s_delay_alu instid0(VALU_DEP_2) | instskip(SKIP_1) | instid1(VALU_DEP_3)
	v_add_nc_u32_e32 v18, v0, v15
	v_cmp_le_i32_e64 s3, v6, v15
	v_add_nc_u32_e32 v17, v0, v16
	v_cmp_gt_i32_e64 s5, v10, v16
	ds_load_u8 v11, v18
	ds_load_u8 v12, v17
	s_waitcnt lgkmcnt(1)
	v_and_b32_e32 v13, 0xff, v11
	s_waitcnt lgkmcnt(0)
	v_and_b32_e32 v14, 0xff, v12
	s_delay_alu instid0(VALU_DEP_1) | instskip(NEXT) | instid1(VALU_DEP_1)
	v_cmp_lt_u16_e64 s4, v14, v13
                                        ; implicit-def: $vgpr13
                                        ; implicit-def: $vgpr14
	s_or_b32 s3, s3, s4
	s_delay_alu instid0(SALU_CYCLE_1) | instskip(NEXT) | instid1(SALU_CYCLE_1)
	s_and_b32 s3, s5, s3
	s_xor_b32 s4, s3, -1
	s_delay_alu instid0(SALU_CYCLE_1) | instskip(NEXT) | instid1(SALU_CYCLE_1)
	s_and_saveexec_b32 s5, s4
	s_xor_b32 s4, exec_lo, s5
	s_cbranch_execz .LBB115_48
; %bb.47:
	ds_load_u8 v14, v18 offset:1
	v_mov_b32_e32 v13, v12
                                        ; implicit-def: $vgpr17
.LBB115_48:
	s_and_not1_saveexec_b32 s4, s4
	s_cbranch_execz .LBB115_50
; %bb.49:
	ds_load_u8 v13, v17 offset:1
	s_waitcnt lgkmcnt(1)
	v_mov_b32_e32 v14, v11
.LBB115_50:
	s_or_b32 exec_lo, exec_lo, s4
	v_add_nc_u32_e32 v17, 1, v15
	v_add_nc_u32_e32 v18, 1, v16
	s_waitcnt lgkmcnt(0)
	v_and_b32_e32 v21, 0xff, v14
	s_delay_alu instid0(VALU_DEP_3) | instskip(SKIP_2) | instid1(VALU_DEP_3)
	v_cndmask_b32_e64 v19, v17, v15, s3
	v_and_b32_e32 v17, 0xff, v13
	v_cndmask_b32_e64 v20, v16, v18, s3
	v_cmp_ge_i32_e64 s4, v19, v6
	s_delay_alu instid0(VALU_DEP_3) | instskip(NEXT) | instid1(VALU_DEP_3)
	v_cmp_lt_u16_e64 s5, v17, v21
	v_cmp_lt_i32_e64 s6, v20, v10
                                        ; implicit-def: $vgpr17
	s_delay_alu instid0(VALU_DEP_2)
	s_or_b32 s4, s4, s5
	s_delay_alu instid0(VALU_DEP_1) | instid1(SALU_CYCLE_1)
	s_and_b32 s4, s6, s4
	s_delay_alu instid0(SALU_CYCLE_1) | instskip(NEXT) | instid1(SALU_CYCLE_1)
	s_xor_b32 s5, s4, -1
	s_and_saveexec_b32 s6, s5
	s_delay_alu instid0(SALU_CYCLE_1)
	s_xor_b32 s5, exec_lo, s6
	s_cbranch_execz .LBB115_52
; %bb.51:
	v_add_nc_u32_e32 v17, v0, v19
	ds_load_u8 v17, v17 offset:1
.LBB115_52:
	s_or_saveexec_b32 s5, s5
	v_mov_b32_e32 v18, v13
	s_xor_b32 exec_lo, exec_lo, s5
	s_cbranch_execz .LBB115_54
; %bb.53:
	s_waitcnt lgkmcnt(0)
	v_add_nc_u32_e32 v17, v0, v20
	ds_load_u8 v18, v17 offset:1
	v_mov_b32_e32 v17, v14
.LBB115_54:
	s_or_b32 exec_lo, exec_lo, s5
	v_add_nc_u32_e32 v21, 1, v19
	v_add_nc_u32_e32 v22, 1, v20
	s_waitcnt lgkmcnt(0)
	v_and_b32_e32 v23, 0xff, v17
	v_and_b32_e32 v24, 0xff, v18
	v_cndmask_b32_e64 v21, v21, v19, s4
	v_cndmask_b32_e64 v22, v20, v22, s4
	s_delay_alu instid0(VALU_DEP_3) | instskip(NEXT) | instid1(VALU_DEP_3)
	v_cmp_lt_u16_e64 s6, v24, v23
                                        ; implicit-def: $vgpr23
	v_cmp_ge_i32_e64 s5, v21, v6
	s_delay_alu instid0(VALU_DEP_3) | instskip(NEXT) | instid1(VALU_DEP_2)
	v_cmp_lt_i32_e64 s7, v22, v10
	s_or_b32 s5, s5, s6
	s_delay_alu instid0(VALU_DEP_1) | instid1(SALU_CYCLE_1)
	s_and_b32 s5, s7, s5
	s_delay_alu instid0(SALU_CYCLE_1) | instskip(NEXT) | instid1(SALU_CYCLE_1)
	s_xor_b32 s6, s5, -1
	s_and_saveexec_b32 s7, s6
	s_delay_alu instid0(SALU_CYCLE_1)
	s_xor_b32 s6, exec_lo, s7
	s_cbranch_execz .LBB115_56
; %bb.55:
	v_add_nc_u32_e32 v23, v0, v21
	ds_load_u8 v23, v23 offset:1
.LBB115_56:
	s_or_saveexec_b32 s6, s6
	v_mov_b32_e32 v24, v18
	s_xor_b32 exec_lo, exec_lo, s6
	s_cbranch_execz .LBB115_58
; %bb.57:
	s_waitcnt lgkmcnt(0)
	v_add_nc_u32_e32 v23, v0, v22
	ds_load_u8 v24, v23 offset:1
	v_mov_b32_e32 v23, v17
.LBB115_58:
	s_or_b32 exec_lo, exec_lo, s6
	v_add_nc_u32_e32 v25, 1, v21
	v_add_nc_u32_e32 v26, 1, v22
	v_cndmask_b32_e64 v27, v21, v22, s5
	s_waitcnt lgkmcnt(0)
	v_and_b32_e32 v28, 0xff, v23
	v_and_b32_e32 v29, 0xff, v24
	v_cndmask_b32_e64 v25, v25, v21, s5
	v_min_i32_e32 v21, 0, v4
	v_cndmask_b32_e64 v22, v22, v26, s5
	v_cndmask_b32_e64 v15, v15, v16, s3
	v_cmp_lt_u16_e64 s6, v29, v28
	v_cmp_ge_i32_e64 s7, v25, v6
	v_add_nc_u32_e32 v6, 32, v21
	v_cmp_lt_i32_e64 s8, v22, v10
	v_cndmask_b32_e64 v19, v19, v20, s4
	s_delay_alu instid0(VALU_DEP_4) | instskip(NEXT) | instid1(VALU_DEP_3)
	s_or_b32 s6, s7, s6
	v_min_i32_e32 v10, v4, v6
	s_delay_alu instid0(VALU_DEP_3) | instskip(NEXT) | instid1(SALU_CYCLE_1)
	s_and_b32 s6, s8, s6
	; wave barrier
	v_cndmask_b32_e64 v6, v25, v22, s6
	ds_store_b8 v1, v5
	ds_store_b8 v1, v7 offset:1
	ds_store_b8 v1, v8 offset:2
	;; [unrolled: 1-line block ×3, first 2 shown]
	v_add_nc_u32_e32 v16, 32, v10
	v_add_nc_u32_e32 v7, v0, v15
	;; [unrolled: 1-line block ×4, first 2 shown]
	s_delay_alu instid0(VALU_DEP_4)
	v_min_i32_e32 v5, v4, v16
	v_add_nc_u32_e32 v16, v0, v6
	; wave barrier
	v_min_i32_e32 v9, v4, v2
	ds_load_u8 v4, v7
	ds_load_u8 v6, v8
	;; [unrolled: 1-line block ×4, first 2 shown]
	v_sub_nc_u32_e32 v19, v5, v10
	v_sub_nc_u32_e32 v16, v10, v21
	v_cndmask_b32_e64 v17, v17, v18, s5
	v_cndmask_b32_e64 v11, v11, v12, s3
	;; [unrolled: 1-line block ×3, first 2 shown]
	v_sub_nc_u32_e32 v15, v9, v19
	v_cmp_ge_i32_e64 s5, v9, v19
	v_min_i32_e32 v16, v9, v16
	v_cndmask_b32_e64 v20, v23, v24, s6
	s_mov_b32 s4, exec_lo
	s_delay_alu instid0(VALU_DEP_3)
	v_cndmask_b32_e64 v15, 0, v15, s5
	s_mov_b32 s5, 0
	; wave barrier
	ds_store_b8 v1, v11
	ds_store_b8 v1, v12 offset:1
	ds_store_b8 v1, v17 offset:2
	ds_store_b8 v1, v20 offset:3
	; wave barrier
	v_cmpx_lt_i32_e64 v15, v16
	s_cbranch_execz .LBB115_62
; %bb.59:
	v_add_nc_u32_e32 v11, v0, v21
	v_add3_u32 v12, v0, v10, v9
	.p2align	6
.LBB115_60:                             ; =>This Inner Loop Header: Depth=1
	v_sub_nc_u32_e32 v13, v16, v15
	s_delay_alu instid0(VALU_DEP_1) | instskip(NEXT) | instid1(VALU_DEP_1)
	v_lshrrev_b32_e32 v14, 31, v13
	v_add_nc_u32_e32 v13, v13, v14
	s_delay_alu instid0(VALU_DEP_1) | instskip(NEXT) | instid1(VALU_DEP_1)
	v_ashrrev_i32_e32 v13, 1, v13
	v_add_nc_u32_e32 v13, v13, v15
	s_delay_alu instid0(VALU_DEP_1)
	v_add_nc_u32_e32 v14, v11, v13
	v_xad_u32 v17, v13, -1, v12
	v_add_nc_u32_e32 v18, 1, v13
	ds_load_u8 v14, v14
	ds_load_u8 v17, v17
	s_waitcnt lgkmcnt(0)
	v_cmp_lt_u16_e64 s3, v17, v14
	s_delay_alu instid0(VALU_DEP_1) | instskip(SKIP_1) | instid1(VALU_DEP_1)
	v_cndmask_b32_e64 v16, v16, v13, s3
	v_cndmask_b32_e64 v15, v18, v15, s3
	v_cmp_ge_i32_e64 s3, v15, v16
	s_delay_alu instid0(VALU_DEP_1) | instskip(NEXT) | instid1(SALU_CYCLE_1)
	s_or_b32 s5, s3, s5
	s_and_not1_b32 exec_lo, exec_lo, s5
	s_cbranch_execnz .LBB115_60
; %bb.61:
	s_or_b32 exec_lo, exec_lo, s5
.LBB115_62:
	s_delay_alu instid0(SALU_CYCLE_1) | instskip(SKIP_2) | instid1(VALU_DEP_2)
	s_or_b32 exec_lo, exec_lo, s4
	v_add_nc_u32_e32 v9, v10, v9
	v_add_nc_u32_e32 v14, v15, v21
	v_sub_nc_u32_e32 v15, v9, v15
	s_delay_alu instid0(VALU_DEP_2) | instskip(SKIP_1) | instid1(VALU_DEP_3)
	v_add_nc_u32_e32 v17, v0, v14
	v_cmp_le_i32_e64 s3, v10, v14
	v_add_nc_u32_e32 v16, v0, v15
	v_cmp_gt_i32_e64 s5, v5, v15
	ds_load_u8 v9, v17
	ds_load_u8 v11, v16
	s_waitcnt lgkmcnt(1)
	v_and_b32_e32 v12, 0xff, v9
	s_waitcnt lgkmcnt(0)
	v_and_b32_e32 v13, 0xff, v11
	s_delay_alu instid0(VALU_DEP_1) | instskip(NEXT) | instid1(VALU_DEP_1)
	v_cmp_lt_u16_e64 s4, v13, v12
                                        ; implicit-def: $vgpr12
                                        ; implicit-def: $vgpr13
	s_or_b32 s3, s3, s4
	s_delay_alu instid0(SALU_CYCLE_1) | instskip(NEXT) | instid1(SALU_CYCLE_1)
	s_and_b32 s3, s5, s3
	s_xor_b32 s4, s3, -1
	s_delay_alu instid0(SALU_CYCLE_1) | instskip(NEXT) | instid1(SALU_CYCLE_1)
	s_and_saveexec_b32 s5, s4
	s_xor_b32 s4, exec_lo, s5
	s_cbranch_execz .LBB115_64
; %bb.63:
	ds_load_u8 v13, v17 offset:1
	v_mov_b32_e32 v12, v11
                                        ; implicit-def: $vgpr16
.LBB115_64:
	s_and_not1_saveexec_b32 s4, s4
	s_cbranch_execz .LBB115_66
; %bb.65:
	ds_load_u8 v12, v16 offset:1
	s_waitcnt lgkmcnt(1)
	v_mov_b32_e32 v13, v9
.LBB115_66:
	s_or_b32 exec_lo, exec_lo, s4
	v_add_nc_u32_e32 v16, 1, v14
	v_add_nc_u32_e32 v18, 1, v15
	s_waitcnt lgkmcnt(0)
	v_and_b32_e32 v19, 0xff, v13
	s_delay_alu instid0(VALU_DEP_3) | instskip(SKIP_2) | instid1(VALU_DEP_3)
	v_cndmask_b32_e64 v17, v16, v14, s3
	v_and_b32_e32 v16, 0xff, v12
	v_cndmask_b32_e64 v18, v15, v18, s3
	v_cmp_ge_i32_e64 s4, v17, v10
	s_delay_alu instid0(VALU_DEP_3) | instskip(NEXT) | instid1(VALU_DEP_3)
	v_cmp_lt_u16_e64 s5, v16, v19
	v_cmp_lt_i32_e64 s6, v18, v5
                                        ; implicit-def: $vgpr16
	s_delay_alu instid0(VALU_DEP_2)
	s_or_b32 s4, s4, s5
	s_delay_alu instid0(VALU_DEP_1) | instid1(SALU_CYCLE_1)
	s_and_b32 s4, s6, s4
	s_delay_alu instid0(SALU_CYCLE_1) | instskip(NEXT) | instid1(SALU_CYCLE_1)
	s_xor_b32 s5, s4, -1
	s_and_saveexec_b32 s6, s5
	s_delay_alu instid0(SALU_CYCLE_1)
	s_xor_b32 s5, exec_lo, s6
	s_cbranch_execz .LBB115_68
; %bb.67:
	v_add_nc_u32_e32 v16, v0, v17
	ds_load_u8 v16, v16 offset:1
.LBB115_68:
	s_or_saveexec_b32 s5, s5
	v_mov_b32_e32 v19, v12
	s_xor_b32 exec_lo, exec_lo, s5
	s_cbranch_execz .LBB115_70
; %bb.69:
	s_waitcnt lgkmcnt(0)
	v_add_nc_u32_e32 v16, v0, v18
	ds_load_u8 v19, v16 offset:1
	v_mov_b32_e32 v16, v13
.LBB115_70:
	s_or_b32 exec_lo, exec_lo, s5
	v_add_nc_u32_e32 v20, 1, v17
	v_add_nc_u32_e32 v21, 1, v18
	s_waitcnt lgkmcnt(0)
	v_and_b32_e32 v22, 0xff, v16
	v_and_b32_e32 v23, 0xff, v19
	v_cndmask_b32_e64 v25, v20, v17, s4
	v_cndmask_b32_e64 v20, v18, v21, s4
                                        ; implicit-def: $vgpr21
	s_delay_alu instid0(VALU_DEP_3) | instskip(NEXT) | instid1(VALU_DEP_3)
	v_cmp_lt_u16_e64 s6, v23, v22
                                        ; implicit-def: $vgpr22
	v_cmp_ge_i32_e64 s5, v25, v10
	s_delay_alu instid0(VALU_DEP_3) | instskip(NEXT) | instid1(VALU_DEP_2)
	v_cmp_lt_i32_e64 s7, v20, v5
	s_or_b32 s5, s5, s6
	s_delay_alu instid0(VALU_DEP_1) | instid1(SALU_CYCLE_1)
	s_and_b32 s5, s7, s5
	s_delay_alu instid0(SALU_CYCLE_1) | instskip(NEXT) | instid1(SALU_CYCLE_1)
	s_xor_b32 s6, s5, -1
	s_and_saveexec_b32 s7, s6
	s_delay_alu instid0(SALU_CYCLE_1)
	s_xor_b32 s6, exec_lo, s7
	s_cbranch_execz .LBB115_72
; %bb.71:
	v_add_nc_u32_e32 v21, v0, v25
	ds_load_u8 v22, v21 offset:1
	v_add_nc_u32_e32 v21, 1, v25
.LBB115_72:
	s_or_saveexec_b32 s6, s6
	v_dual_mov_b32 v23, v25 :: v_dual_mov_b32 v24, v19
	s_xor_b32 exec_lo, exec_lo, s6
	s_cbranch_execz .LBB115_74
; %bb.73:
	s_waitcnt lgkmcnt(0)
	v_dual_mov_b32 v23, v20 :: v_dual_add_nc_u32 v22, 1, v20
	s_delay_alu instid0(VALU_DEP_1)
	v_dual_mov_b32 v20, v22 :: v_dual_add_nc_u32 v21, v0, v20
	v_mov_b32_e32 v22, v16
	ds_load_u8 v24, v21 offset:1
	v_mov_b32_e32 v21, v25
.LBB115_74:
	s_or_b32 exec_lo, exec_lo, s6
	v_cndmask_b32_e64 v14, v14, v15, s3
	s_delay_alu instid0(VALU_DEP_2)
	v_cmp_ge_i32_e64 s6, v21, v10
	; wave barrier
	ds_store_b8 v1, v4
	ds_store_b8 v1, v6 offset:1
	ds_store_b8 v1, v7 offset:2
	;; [unrolled: 1-line block ×3, first 2 shown]
	v_add_nc_u32_e32 v10, v0, v14
	; wave barrier
	s_waitcnt lgkmcnt(4)
	v_and_b32_e32 v25, 0xff, v22
	v_and_b32_e32 v26, 0xff, v24
	ds_load_u8 v1, v10
	v_cmp_lt_i32_e64 s8, v20, v5
	v_cndmask_b32_e64 v4, v17, v18, s4
	v_cndmask_b32_e64 v7, v9, v11, s3
	v_cmp_lt_u16_e64 s7, v26, v25
	v_add_nc_u32_e32 v8, v0, v23
	v_cndmask_b32_e64 v9, v16, v19, s5
	v_add_nc_u32_e32 v4, v0, v4
	s_delay_alu instid0(VALU_DEP_4) | instskip(NEXT) | instid1(SALU_CYCLE_1)
	s_or_b32 s6, s6, s7
	s_and_b32 s6, s8, s6
	s_delay_alu instid0(VALU_DEP_2) | instskip(SKIP_2) | instid1(VALU_DEP_2)
	v_and_b32_e32 v9, 0xff, v9
	v_cndmask_b32_e64 v6, v21, v20, s6
	v_cndmask_b32_e64 v5, v22, v24, s6
	v_add_nc_u32_e32 v0, v0, v6
	v_cndmask_b32_e64 v6, v13, v12, s4
	s_waitcnt lgkmcnt(0)
	v_add_nc_u16 v1, v1, v7
	v_and_b32_e32 v7, 0xff, v7
	v_lshlrev_b16 v5, 8, v5
	ds_load_u8 v4, v4
	ds_load_u8 v8, v8
	;; [unrolled: 1-line block ×3, first 2 shown]
	v_lshlrev_b16 v6, 8, v6
	v_and_b32_e32 v1, 0xff, v1
	v_or_b32_e32 v5, v9, v5
	s_delay_alu instid0(VALU_DEP_3) | instskip(NEXT) | instid1(VALU_DEP_3)
	v_or_b32_e32 v7, v7, v6
	v_or_b32_e32 v1, v1, v6
	s_delay_alu instid0(VALU_DEP_3) | instskip(NEXT) | instid1(VALU_DEP_3)
	v_lshlrev_b32_e32 v5, 16, v5
	v_and_b32_e32 v6, 0xffff, v7
	s_delay_alu instid0(VALU_DEP_3) | instskip(NEXT) | instid1(VALU_DEP_2)
	v_and_b32_e32 v1, 0xffff, v1
	v_or_b32_e32 v6, v6, v5
	s_delay_alu instid0(VALU_DEP_2) | instskip(NEXT) | instid1(VALU_DEP_1)
	v_or_b32_e32 v1, v1, v5
	v_cndmask_b32_e32 v1, v6, v1, vcc_lo
	s_delay_alu instid0(VALU_DEP_1) | instskip(SKIP_1) | instid1(VALU_DEP_1)
	v_lshrrev_b32_e32 v5, 8, v1
	s_waitcnt lgkmcnt(2)
	v_add_nc_u16 v4, v5, v4
	v_and_b32_e32 v5, 0xff, v1
	s_delay_alu instid0(VALU_DEP_2) | instskip(NEXT) | instid1(VALU_DEP_1)
	v_lshlrev_b16 v4, 8, v4
	v_or_b32_e32 v4, v5, v4
	s_delay_alu instid0(VALU_DEP_1) | instskip(NEXT) | instid1(VALU_DEP_1)
	v_and_b32_e32 v4, 0xffff, v4
	v_and_or_b32 v4, 0xffff0000, v1, v4
	s_delay_alu instid0(VALU_DEP_1) | instskip(NEXT) | instid1(VALU_DEP_1)
	v_cndmask_b32_e64 v1, v1, v4, s0
	v_lshrrev_b32_e32 v4, 16, v1
	s_waitcnt lgkmcnt(1)
	s_delay_alu instid0(VALU_DEP_1) | instskip(SKIP_1) | instid1(VALU_DEP_2)
	v_add_nc_u16 v5, v4, v8
	v_and_b32_e32 v4, 0xffffff00, v4
	v_and_b32_e32 v5, 0xff, v5
	s_delay_alu instid0(VALU_DEP_1) | instskip(NEXT) | instid1(VALU_DEP_1)
	v_or_b32_e32 v4, v5, v4
	v_lshlrev_b32_e32 v4, 16, v4
	s_delay_alu instid0(VALU_DEP_1) | instskip(NEXT) | instid1(VALU_DEP_1)
	v_and_or_b32 v4, 0xffff, v1, v4
	v_cndmask_b32_e64 v1, v1, v4, s1
	s_delay_alu instid0(VALU_DEP_1) | instskip(SKIP_2) | instid1(VALU_DEP_2)
	v_lshrrev_b32_e32 v4, 24, v1
	v_lshrrev_b32_e32 v5, 16, v1
	s_waitcnt lgkmcnt(0)
	v_add_nc_u16 v0, v4, v0
	s_delay_alu instid0(VALU_DEP_2) | instskip(NEXT) | instid1(VALU_DEP_2)
	v_and_b32_e32 v4, 0xff, v5
	v_lshlrev_b16 v0, 8, v0
	s_delay_alu instid0(VALU_DEP_1) | instskip(SKIP_1) | instid1(VALU_DEP_1)
	v_or_b32_e32 v0, v4, v0
	v_add_co_u32 v4, s3, s10, v3
	v_add_co_ci_u32_e64 v5, null, s11, 0, s3
	s_delay_alu instid0(VALU_DEP_3) | instskip(NEXT) | instid1(VALU_DEP_1)
	v_lshlrev_b32_e32 v0, 16, v0
	v_and_or_b32 v0, 0xffff, v1, v0
	s_delay_alu instid0(VALU_DEP_1) | instskip(SKIP_1) | instid1(VALU_DEP_1)
	v_cndmask_b32_e64 v3, v1, v0, s2
	v_add_co_u32 v0, s3, v4, v2
	v_add_co_ci_u32_e64 v1, s3, 0, v5, s3
	s_and_saveexec_b32 s3, vcc_lo
	s_cbranch_execnz .LBB115_79
; %bb.75:
	s_or_b32 exec_lo, exec_lo, s3
	s_and_saveexec_b32 s3, s0
	s_cbranch_execnz .LBB115_80
.LBB115_76:
	s_or_b32 exec_lo, exec_lo, s3
	s_and_saveexec_b32 s0, s1
	s_cbranch_execnz .LBB115_81
.LBB115_77:
	s_or_b32 exec_lo, exec_lo, s0
	s_and_saveexec_b32 s0, s2
	s_cbranch_execnz .LBB115_82
.LBB115_78:
	s_nop 0
	s_sendmsg sendmsg(MSG_DEALLOC_VGPRS)
	s_endpgm
.LBB115_79:
	global_store_b8 v[0:1], v3, off
	s_or_b32 exec_lo, exec_lo, s3
	s_and_saveexec_b32 s3, s0
	s_cbranch_execz .LBB115_76
.LBB115_80:
	v_lshrrev_b32_e32 v2, 8, v3
	global_store_b8 v[0:1], v2, off offset:1
	s_or_b32 exec_lo, exec_lo, s3
	s_and_saveexec_b32 s0, s1
	s_cbranch_execz .LBB115_77
.LBB115_81:
	global_store_d16_hi_b8 v[0:1], v3, off offset:2
	s_or_b32 exec_lo, exec_lo, s0
	s_and_saveexec_b32 s0, s2
	s_cbranch_execz .LBB115_78
.LBB115_82:
	v_lshrrev_b32_e32 v2, 24, v3
	global_store_b8 v[0:1], v2, off offset:3
	s_nop 0
	s_sendmsg sendmsg(MSG_DEALLOC_VGPRS)
	s_endpgm
	.section	.rodata,"a",@progbits
	.p2align	6, 0x0
	.amdhsa_kernel _Z20sort_pairs_segmentedILj256ELj16ELj4EhN10test_utils4lessEEvPKT2_PS2_PKjT3_
		.amdhsa_group_segment_fixed_size 1040
		.amdhsa_private_segment_fixed_size 0
		.amdhsa_kernarg_size 28
		.amdhsa_user_sgpr_count 15
		.amdhsa_user_sgpr_dispatch_ptr 0
		.amdhsa_user_sgpr_queue_ptr 0
		.amdhsa_user_sgpr_kernarg_segment_ptr 1
		.amdhsa_user_sgpr_dispatch_id 0
		.amdhsa_user_sgpr_private_segment_size 0
		.amdhsa_wavefront_size32 1
		.amdhsa_uses_dynamic_stack 0
		.amdhsa_enable_private_segment 0
		.amdhsa_system_sgpr_workgroup_id_x 1
		.amdhsa_system_sgpr_workgroup_id_y 0
		.amdhsa_system_sgpr_workgroup_id_z 0
		.amdhsa_system_sgpr_workgroup_info 0
		.amdhsa_system_vgpr_workitem_id 0
		.amdhsa_next_free_vgpr 31
		.amdhsa_next_free_sgpr 16
		.amdhsa_reserve_vcc 1
		.amdhsa_float_round_mode_32 0
		.amdhsa_float_round_mode_16_64 0
		.amdhsa_float_denorm_mode_32 3
		.amdhsa_float_denorm_mode_16_64 3
		.amdhsa_dx10_clamp 1
		.amdhsa_ieee_mode 1
		.amdhsa_fp16_overflow 0
		.amdhsa_workgroup_processor_mode 1
		.amdhsa_memory_ordered 1
		.amdhsa_forward_progress 0
		.amdhsa_shared_vgpr_count 0
		.amdhsa_exception_fp_ieee_invalid_op 0
		.amdhsa_exception_fp_denorm_src 0
		.amdhsa_exception_fp_ieee_div_zero 0
		.amdhsa_exception_fp_ieee_overflow 0
		.amdhsa_exception_fp_ieee_underflow 0
		.amdhsa_exception_fp_ieee_inexact 0
		.amdhsa_exception_int_div_zero 0
	.end_amdhsa_kernel
	.section	.text._Z20sort_pairs_segmentedILj256ELj16ELj4EhN10test_utils4lessEEvPKT2_PS2_PKjT3_,"axG",@progbits,_Z20sort_pairs_segmentedILj256ELj16ELj4EhN10test_utils4lessEEvPKT2_PS2_PKjT3_,comdat
.Lfunc_end115:
	.size	_Z20sort_pairs_segmentedILj256ELj16ELj4EhN10test_utils4lessEEvPKT2_PS2_PKjT3_, .Lfunc_end115-_Z20sort_pairs_segmentedILj256ELj16ELj4EhN10test_utils4lessEEvPKT2_PS2_PKjT3_
                                        ; -- End function
	.section	.AMDGPU.csdata,"",@progbits
; Kernel info:
; codeLenInByte = 5852
; NumSgprs: 18
; NumVgprs: 31
; ScratchSize: 0
; MemoryBound: 0
; FloatMode: 240
; IeeeMode: 1
; LDSByteSize: 1040 bytes/workgroup (compile time only)
; SGPRBlocks: 2
; VGPRBlocks: 3
; NumSGPRsForWavesPerEU: 18
; NumVGPRsForWavesPerEU: 31
; Occupancy: 16
; WaveLimiterHint : 0
; COMPUTE_PGM_RSRC2:SCRATCH_EN: 0
; COMPUTE_PGM_RSRC2:USER_SGPR: 15
; COMPUTE_PGM_RSRC2:TRAP_HANDLER: 0
; COMPUTE_PGM_RSRC2:TGID_X_EN: 1
; COMPUTE_PGM_RSRC2:TGID_Y_EN: 0
; COMPUTE_PGM_RSRC2:TGID_Z_EN: 0
; COMPUTE_PGM_RSRC2:TIDIG_COMP_CNT: 0
	.section	.text._Z9sort_keysILj256ELj16ELj8EhN10test_utils4lessEEvPKT2_PS2_T3_,"axG",@progbits,_Z9sort_keysILj256ELj16ELj8EhN10test_utils4lessEEvPKT2_PS2_T3_,comdat
	.protected	_Z9sort_keysILj256ELj16ELj8EhN10test_utils4lessEEvPKT2_PS2_T3_ ; -- Begin function _Z9sort_keysILj256ELj16ELj8EhN10test_utils4lessEEvPKT2_PS2_T3_
	.globl	_Z9sort_keysILj256ELj16ELj8EhN10test_utils4lessEEvPKT2_PS2_T3_
	.p2align	8
	.type	_Z9sort_keysILj256ELj16ELj8EhN10test_utils4lessEEvPKT2_PS2_T3_,@function
_Z9sort_keysILj256ELj16ELj8EhN10test_utils4lessEEvPKT2_PS2_T3_: ; @_Z9sort_keysILj256ELj16ELj8EhN10test_utils4lessEEvPKT2_PS2_T3_
; %bb.0:
	s_load_b128 s[8:11], s[0:1], 0x0
	s_lshl_b32 s12, s15, 11
	v_lshlrev_b32_e32 v1, 3, v0
	v_lshrrev_b32_e32 v0, 4, v0
	s_waitcnt lgkmcnt(0)
	s_add_u32 s0, s8, s12
	s_addc_u32 s1, s9, 0
	global_load_b64 v[2:3], v1, s[0:1]
	s_mov_b32 s1, exec_lo
	; wave barrier
	s_waitcnt vmcnt(0)
	v_lshrrev_b32_e32 v4, 8, v2
	v_and_b32_e32 v5, 0xff, v2
	v_perm_b32 v6, v2, v2, 0x3020405
	v_and_b32_e32 v13, 0xff, v3
	s_delay_alu instid0(VALU_DEP_4) | instskip(NEXT) | instid1(VALU_DEP_1)
	v_and_b32_e32 v4, 0xff, v4
	v_cmp_lt_u16_e32 vcc_lo, v4, v5
	s_delay_alu instid0(VALU_DEP_4) | instskip(NEXT) | instid1(VALU_DEP_1)
	v_cndmask_b32_e32 v2, v2, v6, vcc_lo
	v_lshrrev_b32_e32 v6, 16, v2
	v_lshrrev_b32_e32 v8, 24, v2
	s_delay_alu instid0(VALU_DEP_2) | instskip(SKIP_1) | instid1(VALU_DEP_2)
	v_perm_b32 v7, 0, v6, 0xc0c0001
	v_and_b32_e32 v6, 0xff, v6
	v_lshlrev_b32_e32 v7, 16, v7
	s_delay_alu instid0(VALU_DEP_2) | instskip(NEXT) | instid1(VALU_DEP_2)
	v_cmp_lt_u16_e32 vcc_lo, v8, v6
	v_and_or_b32 v7, 0xffff, v2, v7
	s_delay_alu instid0(VALU_DEP_1) | instskip(SKIP_2) | instid1(VALU_DEP_3)
	v_cndmask_b32_e32 v2, v2, v7, vcc_lo
	v_min_u16 v7, v8, v6
	v_max_u16 v10, v4, v5
	v_lshrrev_b32_e32 v9, 16, v2
	s_delay_alu instid0(VALU_DEP_3) | instskip(SKIP_1) | instid1(VALU_DEP_4)
	v_lshlrev_b16 v11, 8, v7
	v_and_b32_e32 v12, 0xff, v2
	v_cmp_lt_u16_e32 vcc_lo, v7, v10
	s_delay_alu instid0(VALU_DEP_4) | instskip(NEXT) | instid1(VALU_DEP_3)
	v_and_b32_e32 v9, 0xffffff00, v9
	v_or_b32_e32 v11, v12, v11
	v_lshrrev_b32_e32 v12, 8, v3
	s_delay_alu instid0(VALU_DEP_3) | instskip(NEXT) | instid1(VALU_DEP_3)
	v_or_b32_e32 v9, v10, v9
	v_and_b32_e32 v11, 0xffff, v11
	s_delay_alu instid0(VALU_DEP_2) | instskip(NEXT) | instid1(VALU_DEP_1)
	v_lshlrev_b32_e32 v9, 16, v9
	v_or_b32_e32 v9, v11, v9
	v_and_b32_e32 v11, 0xff, v12
	v_perm_b32 v12, v3, v3, 0x7060405
	s_delay_alu instid0(VALU_DEP_3) | instskip(NEXT) | instid1(VALU_DEP_3)
	v_cndmask_b32_e32 v2, v2, v9, vcc_lo
	v_cmp_lt_u16_e32 vcc_lo, v11, v13
	v_min_u16 v9, v11, v13
	s_delay_alu instid0(VALU_DEP_4) | instskip(SKIP_2) | instid1(VALU_DEP_4)
	v_cndmask_b32_e32 v3, v3, v12, vcc_lo
	v_max_u16 v6, v8, v6
	v_lshrrev_b32_e32 v12, 16, v2
	v_lshlrev_b16 v16, 8, v9
	s_delay_alu instid0(VALU_DEP_4) | instskip(SKIP_2) | instid1(VALU_DEP_3)
	v_lshrrev_b32_e32 v14, 16, v3
	v_lshrrev_b32_e32 v15, 24, v3
	v_perm_b32 v17, v3, v3, 0x6070504
	v_and_b32_e32 v14, 0xff, v14
	s_delay_alu instid0(VALU_DEP_1) | instskip(NEXT) | instid1(VALU_DEP_3)
	v_cmp_lt_u16_e32 vcc_lo, v15, v14
	v_cndmask_b32_e32 v3, v3, v17, vcc_lo
	v_cmp_lt_u16_e32 vcc_lo, v9, v6
	v_min_u16 v4, v4, v5
	v_min_u16 v17, v9, v6
	s_delay_alu instid0(VALU_DEP_4) | instskip(NEXT) | instid1(VALU_DEP_3)
	v_and_b32_e32 v8, 0xffffff00, v3
	v_cmp_lt_u16_e64 s0, v7, v4
	s_delay_alu instid0(VALU_DEP_2) | instskip(SKIP_1) | instid1(VALU_DEP_2)
	v_or_b32_e32 v8, v6, v8
	v_max_u16 v6, v9, v6
	v_and_b32_e32 v8, 0xffff, v8
	s_delay_alu instid0(VALU_DEP_1) | instskip(NEXT) | instid1(VALU_DEP_1)
	v_and_or_b32 v8, 0xffff0000, v3, v8
	v_cndmask_b32_e32 v3, v3, v8, vcc_lo
	v_and_b32_e32 v12, 0xff, v12
	s_delay_alu instid0(VALU_DEP_1) | instskip(SKIP_3) | instid1(VALU_DEP_4)
	v_or_b32_e32 v5, v12, v16
	v_lshlrev_b16 v12, 8, v4
	v_min_u16 v16, v7, v10
	v_max_u16 v10, v7, v10
	v_lshlrev_b32_e32 v5, 16, v5
	s_delay_alu instid0(VALU_DEP_3) | instskip(NEXT) | instid1(VALU_DEP_3)
	v_or_b32_e32 v12, v16, v12
	v_lshlrev_b16 v18, 8, v10
	s_delay_alu instid0(VALU_DEP_3) | instskip(NEXT) | instid1(VALU_DEP_3)
	v_and_or_b32 v5, 0xffff, v2, v5
	v_and_b32_e32 v12, 0xffff, v12
	s_delay_alu instid0(VALU_DEP_2)
	v_cndmask_b32_e32 v2, v2, v5, vcc_lo
	v_max_u16 v5, v11, v13
	v_or_b32_e32 v11, v17, v18
	v_cmp_lt_u16_e32 vcc_lo, v17, v10
	v_max_u16 v13, v15, v14
	v_and_or_b32 v12, 0xffff0000, v2, v12
	v_min_u16 v14, v15, v14
	v_lshlrev_b32_e32 v11, 16, v11
	v_min_u16 v15, v17, v10
	v_lshlrev_b16 v18, 8, v6
	v_cndmask_b32_e64 v2, v2, v12, s0
	v_lshrrev_b32_e32 v12, 16, v3
	v_lshlrev_b16 v7, 8, v14
	v_max_u16 v8, v14, v5
	v_lshlrev_b16 v19, 8, v15
	v_and_or_b32 v9, 0xffff, v2, v11
	v_and_b32_e32 v12, 0xffffff00, v12
	v_min_u16 v11, v14, v5
	v_max_u16 v10, v17, v10
	s_delay_alu instid0(VALU_DEP_4) | instskip(NEXT) | instid1(VALU_DEP_3)
	v_dual_cndmask_b32 v2, v2, v9 :: v_dual_and_b32 v9, 0xff, v3
	v_or_b32_e32 v18, v11, v18
	v_cmp_lt_u16_e32 vcc_lo, v14, v5
	s_delay_alu instid0(VALU_DEP_3) | instskip(NEXT) | instid1(VALU_DEP_4)
	v_lshrrev_b32_e32 v20, 16, v2
	v_or_b32_e32 v7, v9, v7
	v_or_b32_e32 v9, v5, v12
	v_cndmask_b32_e64 v12, v16, v4, s0
	v_and_b32_e32 v21, 0xff, v2
	v_and_b32_e32 v20, 0xffffff00, v20
	;; [unrolled: 1-line block ×3, first 2 shown]
	v_lshlrev_b32_e32 v9, 16, v9
	v_cndmask_b32_e64 v4, v4, v16, s0
	v_or_b32_e32 v19, v21, v19
	v_or_b32_e32 v20, v12, v20
	v_lshlrev_b16 v21, 8, v8
	v_or_b32_e32 v7, v7, v9
	v_and_b32_e32 v9, 0xffff, v18
	v_and_b32_e32 v18, 0xffff, v19
	v_lshlrev_b32_e32 v19, 16, v20
	s_delay_alu instid0(VALU_DEP_4) | instskip(SKIP_2) | instid1(VALU_DEP_4)
	v_cndmask_b32_e32 v3, v3, v7, vcc_lo
	v_cmp_lt_u16_e32 vcc_lo, v15, v12
	v_or_b32_e32 v7, v13, v21
	v_or_b32_e32 v14, v18, v19
	s_delay_alu instid0(VALU_DEP_4) | instskip(NEXT) | instid1(VALU_DEP_2)
	v_and_or_b32 v9, 0xffff0000, v3, v9
	v_dual_cndmask_b32 v2, v2, v14 :: v_dual_lshlrev_b32 v7, 16, v7
	v_cmp_lt_u16_e32 vcc_lo, v11, v6
	s_delay_alu instid0(VALU_DEP_2) | instskip(NEXT) | instid1(VALU_DEP_4)
	v_lshrrev_b32_e32 v14, 16, v2
	v_cndmask_b32_e32 v3, v3, v9, vcc_lo
	v_min_u16 v9, v11, v6
	v_cmp_gt_u16_e32 vcc_lo, v5, v13
	v_max_u16 v5, v11, v6
	v_and_b32_e32 v14, 0xff, v14
	v_and_or_b32 v7, 0xffff, v3, v7
	v_lshlrev_b16 v17, 8, v9
	v_cmp_lt_u16_e64 s0, v9, v10
	v_max_u16 v16, v9, v10
	s_delay_alu instid0(VALU_DEP_4) | instskip(NEXT) | instid1(VALU_DEP_4)
	v_cndmask_b32_e32 v3, v3, v7, vcc_lo
	v_or_b32_e32 v6, v14, v17
	v_min_u16 v7, v15, v12
	v_lshlrev_b16 v14, 8, v4
	v_max_u16 v12, v15, v12
	v_and_b32_e32 v11, 0xffffff00, v3
	v_lshlrev_b32_e32 v6, 16, v6
	v_min_u16 v15, v9, v10
	v_or_b32_e32 v14, v7, v14
	v_lshlrev_b16 v17, 8, v12
	v_or_b32_e32 v11, v10, v11
	v_and_or_b32 v6, 0xffff, v2, v6
	v_lshlrev_b16 v10, 8, v16
	v_and_b32_e32 v14, 0xffff, v14
	s_delay_alu instid0(VALU_DEP_4) | instskip(NEXT) | instid1(VALU_DEP_4)
	v_and_b32_e32 v11, 0xffff, v11
	v_cndmask_b32_e64 v2, v2, v6, s0
	v_or_b32_e32 v6, v15, v17
	s_delay_alu instid0(VALU_DEP_3) | instskip(NEXT) | instid1(VALU_DEP_3)
	v_and_or_b32 v9, 0xffff0000, v3, v11
	v_and_or_b32 v14, 0xffff0000, v2, v14
	s_delay_alu instid0(VALU_DEP_3) | instskip(SKIP_1) | instid1(VALU_DEP_4)
	v_lshlrev_b32_e32 v6, 16, v6
	v_min_u16 v11, v15, v12
	v_cndmask_b32_e64 v3, v3, v9, s0
	v_cmp_lt_u16_e64 s0, v7, v4
	v_dual_cndmask_b32 v9, v8, v13 :: v_dual_cndmask_b32 v8, v13, v8
	v_cmp_lt_u16_e32 vcc_lo, v15, v12
	s_delay_alu instid0(VALU_DEP_4) | instskip(NEXT) | instid1(VALU_DEP_4)
	v_lshrrev_b32_e32 v17, 16, v3
	v_cndmask_b32_e64 v2, v2, v14, s0
	s_delay_alu instid0(VALU_DEP_4)
	v_lshlrev_b16 v19, 8, v9
	v_and_b32_e32 v20, 0xff, v3
	v_max_u16 v14, v7, v4
	v_and_b32_e32 v17, 0xffffff00, v17
	v_and_or_b32 v6, 0xffff, v2, v6
	v_lshlrev_b16 v18, 8, v11
	v_min_u16 v4, v7, v4
	s_delay_alu instid0(VALU_DEP_4) | instskip(NEXT) | instid1(VALU_DEP_4)
	v_or_b32_e32 v13, v5, v17
	v_cndmask_b32_e32 v2, v2, v6, vcc_lo
	v_or_b32_e32 v6, v20, v19
	v_min_u16 v17, v9, v5
	v_cmp_lt_u16_e32 vcc_lo, v9, v5
	v_lshlrev_b32_e32 v13, 16, v13
	v_lshrrev_b32_e32 v20, 16, v2
	v_and_b32_e32 v6, 0xffff, v6
	v_or_b32_e32 v10, v17, v10
	v_and_b32_e32 v21, 0xff, v2
	v_max_u16 v19, v9, v5
	v_and_b32_e32 v20, 0xffffff00, v20
	v_or_b32_e32 v6, v6, v13
	v_and_b32_e32 v10, 0xffff, v10
	v_or_b32_e32 v13, v21, v18
	v_lshlrev_b16 v22, 8, v19
	v_or_b32_e32 v18, v14, v20
	v_cndmask_b32_e32 v3, v3, v6, vcc_lo
	v_cmp_lt_u16_e32 vcc_lo, v17, v16
	v_and_b32_e32 v6, 0xffff, v13
	v_or_b32_e32 v5, v8, v22
	v_lshlrev_b32_e32 v9, 16, v18
	v_and_or_b32 v10, 0xffff0000, v3, v10
	v_min_u16 v7, v17, v16
	s_delay_alu instid0(VALU_DEP_4) | instskip(NEXT) | instid1(VALU_DEP_4)
	v_lshlrev_b32_e32 v5, 16, v5
	v_or_b32_e32 v6, v6, v9
	s_delay_alu instid0(VALU_DEP_4) | instskip(SKIP_2) | instid1(VALU_DEP_3)
	v_cndmask_b32_e32 v3, v3, v10, vcc_lo
	v_cmp_lt_u16_e32 vcc_lo, v11, v14
	v_lshlrev_b16 v10, 8, v7
	v_and_or_b32 v5, 0xffff, v3, v5
	v_cndmask_b32_e32 v2, v2, v6, vcc_lo
	v_cmp_lt_u16_e32 vcc_lo, v8, v19
	v_max_u16 v6, v15, v12
	v_lshlrev_b16 v12, 8, v4
	v_max_u16 v15, v17, v16
	v_lshrrev_b32_e32 v9, 16, v2
	v_cndmask_b32_e32 v3, v3, v5, vcc_lo
	v_min_u16 v5, v11, v14
	v_max_u16 v14, v11, v14
	v_cmp_lt_u16_e32 vcc_lo, v7, v6
	v_and_b32_e32 v9, 0xff, v9
	v_and_b32_e32 v13, 0xffffff00, v3
	v_min_u16 v17, v7, v6
	v_max_u16 v16, v8, v19
	v_min_u16 v8, v8, v19
	v_or_b32_e32 v9, v9, v10
	v_or_b32_e32 v10, v5, v12
	;; [unrolled: 1-line block ×3, first 2 shown]
	v_lshlrev_b16 v13, 8, v14
	v_max_u16 v6, v7, v6
	v_lshlrev_b32_e32 v9, 16, v9
	v_and_b32_e32 v10, 0xffff, v10
	v_and_b32_e32 v12, 0xffff, v12
	v_or_b32_e32 v7, v17, v13
	v_cmp_lt_u16_e64 s0, v17, v14
	v_and_or_b32 v9, 0xffff, v2, v9
	v_lshlrev_b16 v18, 8, v6
	v_and_or_b32 v12, 0xffff0000, v3, v12
	v_lshlrev_b32_e32 v7, 16, v7
	v_min_u16 v19, v17, v14
	v_cndmask_b32_e32 v2, v2, v9, vcc_lo
	v_lshlrev_b16 v9, 8, v8
	v_cndmask_b32_e32 v3, v3, v12, vcc_lo
	v_cmp_lt_u16_e32 vcc_lo, v11, v4
	v_max_u16 v12, v8, v15
	v_and_or_b32 v10, 0xffff0000, v2, v10
	v_lshlrev_b16 v20, 8, v19
	v_lshrrev_b32_e32 v13, 16, v3
	v_dual_cndmask_b32 v4, v5, v4 :: v_dual_and_b32 v11, 0xff, v3
	s_delay_alu instid0(VALU_DEP_4) | instskip(SKIP_1) | instid1(VALU_DEP_4)
	v_cndmask_b32_e32 v2, v2, v10, vcc_lo
	v_min_u16 v10, v8, v15
	v_and_b32_e32 v13, 0xffffff00, v13
	s_delay_alu instid0(VALU_DEP_4) | instskip(SKIP_2) | instid1(VALU_DEP_4)
	v_or_b32_e32 v9, v11, v9
	v_cmp_lt_u16_e32 vcc_lo, v8, v15
	v_and_or_b32 v7, 0xffff, v2, v7
	v_or_b32_e32 v11, v15, v13
	s_delay_alu instid0(VALU_DEP_4) | instskip(SKIP_1) | instid1(VALU_DEP_4)
	v_and_b32_e32 v9, 0xffff, v9
	v_or_b32_e32 v13, v10, v18
	v_cndmask_b32_e64 v2, v2, v7, s0
	v_lshlrev_b16 v7, 8, v12
	v_lshlrev_b32_e32 v11, 16, v11
	s_delay_alu instid0(VALU_DEP_4) | instskip(NEXT) | instid1(VALU_DEP_4)
	v_and_b32_e32 v13, 0xffff, v13
	v_lshrrev_b32_e32 v18, 16, v2
	s_delay_alu instid0(VALU_DEP_4) | instskip(NEXT) | instid1(VALU_DEP_4)
	v_or_b32_e32 v7, v16, v7
	v_or_b32_e32 v5, v9, v11
	v_and_b32_e32 v9, 0xff, v2
	s_delay_alu instid0(VALU_DEP_4) | instskip(NEXT) | instid1(VALU_DEP_4)
	v_and_b32_e32 v11, 0xffffff00, v18
	v_lshlrev_b32_e32 v7, 16, v7
	s_delay_alu instid0(VALU_DEP_4) | instskip(NEXT) | instid1(VALU_DEP_4)
	v_cndmask_b32_e32 v3, v3, v5, vcc_lo
	v_or_b32_e32 v5, v9, v20
	v_cmp_lt_u16_e32 vcc_lo, v10, v6
	v_or_b32_e32 v8, v4, v11
	s_delay_alu instid0(VALU_DEP_4) | instskip(NEXT) | instid1(VALU_DEP_4)
	v_and_or_b32 v9, 0xffff0000, v3, v13
	v_and_b32_e32 v5, 0xffff, v5
	s_delay_alu instid0(VALU_DEP_2) | instskip(SKIP_2) | instid1(VALU_DEP_3)
	v_dual_cndmask_b32 v3, v3, v9 :: v_dual_lshlrev_b32 v8, 16, v8
	v_cmp_lt_u16_e32 vcc_lo, v19, v4
	v_min_u16 v4, v10, v6
	v_or_b32_e32 v5, v5, v8
	s_delay_alu instid0(VALU_DEP_4) | instskip(NEXT) | instid1(VALU_DEP_3)
	v_and_or_b32 v7, 0xffff, v3, v7
	v_lshlrev_b16 v8, 8, v4
	s_delay_alu instid0(VALU_DEP_3) | instskip(SKIP_1) | instid1(VALU_DEP_2)
	v_cndmask_b32_e32 v2, v2, v5, vcc_lo
	v_cmp_gt_u16_e32 vcc_lo, v15, v16
	v_lshrrev_b32_e32 v5, 16, v2
	v_cndmask_b32_e32 v3, v3, v7, vcc_lo
	v_max_u16 v7, v17, v14
	v_cndmask_b32_e32 v12, v12, v16, vcc_lo
	v_max_u16 v14, v10, v6
	v_and_b32_e32 v5, 0xff, v5
	v_and_b32_e32 v9, 0xffffff00, v3
	v_cmp_lt_u16_e64 s0, v4, v7
	v_mbcnt_lo_u32_b32 v4, -1, 0
	s_delay_alu instid0(VALU_DEP_4) | instskip(NEXT) | instid1(VALU_DEP_4)
	v_or_b32_e32 v5, v5, v8
	v_or_b32_e32 v9, v7, v9
	s_delay_alu instid0(VALU_DEP_3) | instskip(NEXT) | instid1(VALU_DEP_3)
	v_lshlrev_b32_e32 v4, 3, v4
	v_lshlrev_b32_e32 v5, 16, v5
	s_delay_alu instid0(VALU_DEP_3) | instskip(NEXT) | instid1(VALU_DEP_3)
	v_and_b32_e32 v8, 0xffff, v9
	v_and_b32_e32 v7, 0x70, v4
	;; [unrolled: 1-line block ×3, first 2 shown]
	s_delay_alu instid0(VALU_DEP_4) | instskip(NEXT) | instid1(VALU_DEP_4)
	v_and_or_b32 v5, 0xffff, v2, v5
	v_and_or_b32 v8, 0xffff0000, v3, v8
	s_delay_alu instid0(VALU_DEP_4) | instskip(NEXT) | instid1(VALU_DEP_3)
	v_or_b32_e32 v6, 8, v7
	v_cndmask_b32_e64 v11, v2, v5, s0
	s_delay_alu instid0(VALU_DEP_3)
	v_cndmask_b32_e64 v13, v3, v8, s0
	v_lshlrev_b16 v3, 8, v12
	v_add_nc_u32_e32 v5, 16, v7
	v_sub_nc_u32_e32 v16, v6, v7
	s_mov_b32 s0, 0
	v_lshrrev_b32_e32 v2, 16, v13
	v_and_b32_e32 v8, 0xff, v13
	v_sub_nc_u32_e32 v10, v5, v6
	s_delay_alu instid0(VALU_DEP_3) | instskip(NEXT) | instid1(VALU_DEP_3)
	v_and_b32_e32 v2, 0xffffff00, v2
	v_or_b32_e32 v3, v8, v3
	s_delay_alu instid0(VALU_DEP_3) | instskip(SKIP_1) | instid1(VALU_DEP_4)
	v_sub_nc_u32_e32 v17, v9, v10
	v_cmp_ge_i32_e32 vcc_lo, v9, v10
	v_or_b32_e32 v8, v14, v2
	s_delay_alu instid0(VALU_DEP_4) | instskip(SKIP_4) | instid1(VALU_DEP_4)
	v_and_b32_e32 v15, 0xffff, v3
	v_and_b32_e32 v2, 0x78, v4
	v_cndmask_b32_e32 v10, 0, v17, vcc_lo
	v_cmp_lt_u16_e32 vcc_lo, v12, v14
	v_lshlrev_b32_e32 v8, 16, v8
	v_mad_u32_u24 v3, 0x81, v0, v2
	v_mul_u32_u24_e32 v0, 0x81, v0
	s_delay_alu instid0(VALU_DEP_3) | instskip(SKIP_1) | instid1(VALU_DEP_2)
	v_or_b32_e32 v15, v15, v8
	v_min_i32_e32 v8, v9, v16
	v_cndmask_b32_e32 v12, v13, v15, vcc_lo
	ds_store_b64 v3, v[11:12]
	; wave barrier
	v_cmpx_lt_i32_e64 v10, v8
	s_cbranch_execz .LBB116_4
; %bb.1:
	v_add_nc_u32_e32 v11, v0, v7
	s_delay_alu instid0(VALU_DEP_1)
	v_add3_u32 v12, v11, v9, 8
	.p2align	6
.LBB116_2:                              ; =>This Inner Loop Header: Depth=1
	v_sub_nc_u32_e32 v13, v8, v10
	s_delay_alu instid0(VALU_DEP_1) | instskip(NEXT) | instid1(VALU_DEP_1)
	v_lshrrev_b32_e32 v14, 31, v13
	v_add_nc_u32_e32 v13, v13, v14
	s_delay_alu instid0(VALU_DEP_1) | instskip(NEXT) | instid1(VALU_DEP_1)
	v_ashrrev_i32_e32 v13, 1, v13
	v_add_nc_u32_e32 v13, v13, v10
	s_delay_alu instid0(VALU_DEP_1)
	v_add_nc_u32_e32 v14, v11, v13
	v_xad_u32 v15, v13, -1, v12
	v_add_nc_u32_e32 v16, 1, v13
	ds_load_u8 v14, v14
	ds_load_u8 v15, v15
	s_waitcnt lgkmcnt(0)
	v_cmp_lt_u16_e32 vcc_lo, v15, v14
	v_cndmask_b32_e32 v8, v8, v13, vcc_lo
	v_cndmask_b32_e32 v10, v16, v10, vcc_lo
	s_delay_alu instid0(VALU_DEP_1) | instskip(SKIP_1) | instid1(SALU_CYCLE_1)
	v_cmp_ge_i32_e32 vcc_lo, v10, v8
	s_or_b32 s0, vcc_lo, s0
	s_and_not1_b32 exec_lo, exec_lo, s0
	s_cbranch_execnz .LBB116_2
; %bb.3:
	s_or_b32 exec_lo, exec_lo, s0
.LBB116_4:
	s_delay_alu instid0(SALU_CYCLE_1) | instskip(SKIP_4) | instid1(VALU_DEP_4)
	s_or_b32 exec_lo, exec_lo, s1
	v_add_nc_u32_e32 v8, v7, v9
	v_add_nc_u32_e32 v11, v10, v7
	;; [unrolled: 1-line block ×3, first 2 shown]
	v_cmp_lt_i32_e32 vcc_lo, 7, v10
	v_sub_nc_u32_e32 v7, v8, v10
	s_delay_alu instid0(VALU_DEP_4) | instskip(NEXT) | instid1(VALU_DEP_4)
	v_add_nc_u32_e32 v14, v0, v11
	v_sub_nc_u32_e32 v12, v9, v10
                                        ; implicit-def: $vgpr9
                                        ; implicit-def: $vgpr10
	s_delay_alu instid0(VALU_DEP_3)
	v_add_nc_u32_e32 v13, v0, v7
	ds_load_u8 v7, v14
	ds_load_u8 v8, v13 offset:8
	v_cmp_gt_i32_e64 s1, v5, v12
	s_waitcnt lgkmcnt(1)
	v_and_b32_e32 v15, 0xff, v7
	s_waitcnt lgkmcnt(0)
	v_and_b32_e32 v16, 0xff, v8
	s_delay_alu instid0(VALU_DEP_1) | instskip(NEXT) | instid1(VALU_DEP_1)
	v_cmp_lt_u16_e64 s0, v16, v15
	s_or_b32 s0, vcc_lo, s0
	s_delay_alu instid0(SALU_CYCLE_1) | instskip(NEXT) | instid1(SALU_CYCLE_1)
	s_and_b32 vcc_lo, s1, s0
	s_xor_b32 s0, vcc_lo, -1
	s_delay_alu instid0(SALU_CYCLE_1) | instskip(NEXT) | instid1(SALU_CYCLE_1)
	s_and_saveexec_b32 s1, s0
	s_xor_b32 s0, exec_lo, s1
	s_cbranch_execz .LBB116_6
; %bb.5:
	ds_load_u8 v10, v14 offset:1
	v_mov_b32_e32 v9, v8
                                        ; implicit-def: $vgpr13
.LBB116_6:
	s_and_not1_saveexec_b32 s0, s0
	s_cbranch_execz .LBB116_8
; %bb.7:
	ds_load_u8 v9, v13 offset:9
	s_waitcnt lgkmcnt(1)
	v_mov_b32_e32 v10, v7
.LBB116_8:
	s_or_b32 exec_lo, exec_lo, s0
	v_add_nc_u32_e32 v13, 1, v11
	v_add_nc_u32_e32 v15, 1, v12
	s_waitcnt lgkmcnt(0)
	v_and_b32_e32 v16, 0xff, v10
	s_delay_alu instid0(VALU_DEP_3) | instskip(NEXT) | instid1(VALU_DEP_3)
	v_cndmask_b32_e32 v14, v13, v11, vcc_lo
	v_cndmask_b32_e32 v13, v12, v15, vcc_lo
	v_and_b32_e32 v11, 0xff, v9
	s_delay_alu instid0(VALU_DEP_3) | instskip(NEXT) | instid1(VALU_DEP_3)
	v_cmp_ge_i32_e64 s0, v14, v6
	v_cmp_lt_i32_e64 s2, v13, v5
	s_delay_alu instid0(VALU_DEP_3) | instskip(NEXT) | instid1(VALU_DEP_1)
	v_cmp_lt_u16_e64 s1, v11, v16
                                        ; implicit-def: $vgpr11
	s_or_b32 s0, s0, s1
	s_delay_alu instid0(VALU_DEP_2) | instid1(SALU_CYCLE_1)
	s_and_b32 s0, s2, s0
	s_delay_alu instid0(SALU_CYCLE_1) | instskip(NEXT) | instid1(SALU_CYCLE_1)
	s_xor_b32 s1, s0, -1
	s_and_saveexec_b32 s2, s1
	s_delay_alu instid0(SALU_CYCLE_1)
	s_xor_b32 s1, exec_lo, s2
	s_cbranch_execz .LBB116_10
; %bb.9:
	v_add_nc_u32_e32 v11, v0, v14
	ds_load_u8 v11, v11 offset:1
.LBB116_10:
	s_or_saveexec_b32 s1, s1
	v_mov_b32_e32 v12, v9
	s_xor_b32 exec_lo, exec_lo, s1
	s_cbranch_execz .LBB116_12
; %bb.11:
	s_waitcnt lgkmcnt(0)
	v_add_nc_u32_e32 v11, v0, v13
	ds_load_u8 v12, v11 offset:1
	v_mov_b32_e32 v11, v10
.LBB116_12:
	s_or_b32 exec_lo, exec_lo, s1
	v_add_nc_u32_e32 v15, 1, v14
	v_add_nc_u32_e32 v17, 1, v13
	s_waitcnt lgkmcnt(0)
	v_and_b32_e32 v18, 0xff, v11
	s_delay_alu instid0(VALU_DEP_3) | instskip(SKIP_2) | instid1(VALU_DEP_3)
	v_cndmask_b32_e64 v16, v15, v14, s0
	v_and_b32_e32 v14, 0xff, v12
	v_cndmask_b32_e64 v15, v13, v17, s0
                                        ; implicit-def: $vgpr13
	v_cmp_ge_i32_e64 s1, v16, v6
	s_delay_alu instid0(VALU_DEP_3) | instskip(NEXT) | instid1(VALU_DEP_3)
	v_cmp_lt_u16_e64 s2, v14, v18
	v_cmp_lt_i32_e64 s3, v15, v5
	s_delay_alu instid0(VALU_DEP_2)
	s_or_b32 s1, s1, s2
	s_delay_alu instid0(VALU_DEP_1) | instid1(SALU_CYCLE_1)
	s_and_b32 s1, s3, s1
	s_delay_alu instid0(SALU_CYCLE_1) | instskip(NEXT) | instid1(SALU_CYCLE_1)
	s_xor_b32 s2, s1, -1
	s_and_saveexec_b32 s3, s2
	s_delay_alu instid0(SALU_CYCLE_1)
	s_xor_b32 s2, exec_lo, s3
	s_cbranch_execz .LBB116_14
; %bb.13:
	v_add_nc_u32_e32 v13, v0, v16
	ds_load_u8 v13, v13 offset:1
.LBB116_14:
	s_or_saveexec_b32 s2, s2
	v_mov_b32_e32 v14, v12
	s_xor_b32 exec_lo, exec_lo, s2
	s_cbranch_execz .LBB116_16
; %bb.15:
	s_waitcnt lgkmcnt(0)
	v_add_nc_u32_e32 v13, v0, v15
	ds_load_u8 v14, v13 offset:1
	v_mov_b32_e32 v13, v11
.LBB116_16:
	s_or_b32 exec_lo, exec_lo, s2
	v_add_nc_u32_e32 v17, 1, v16
	v_add_nc_u32_e32 v19, 1, v15
	s_waitcnt lgkmcnt(0)
	v_and_b32_e32 v20, 0xff, v13
	s_delay_alu instid0(VALU_DEP_3) | instskip(SKIP_2) | instid1(VALU_DEP_3)
	v_cndmask_b32_e64 v18, v17, v16, s1
	v_and_b32_e32 v16, 0xff, v14
	v_cndmask_b32_e64 v17, v15, v19, s1
                                        ; implicit-def: $vgpr15
	v_cmp_ge_i32_e64 s2, v18, v6
	s_delay_alu instid0(VALU_DEP_3) | instskip(NEXT) | instid1(VALU_DEP_3)
	v_cmp_lt_u16_e64 s3, v16, v20
	v_cmp_lt_i32_e64 s4, v17, v5
	s_delay_alu instid0(VALU_DEP_2)
	s_or_b32 s2, s2, s3
	s_delay_alu instid0(VALU_DEP_1) | instid1(SALU_CYCLE_1)
	s_and_b32 s2, s4, s2
	s_delay_alu instid0(SALU_CYCLE_1) | instskip(NEXT) | instid1(SALU_CYCLE_1)
	s_xor_b32 s3, s2, -1
	s_and_saveexec_b32 s4, s3
	s_delay_alu instid0(SALU_CYCLE_1)
	s_xor_b32 s3, exec_lo, s4
	s_cbranch_execz .LBB116_18
; %bb.17:
	v_add_nc_u32_e32 v15, v0, v18
	ds_load_u8 v15, v15 offset:1
.LBB116_18:
	s_or_saveexec_b32 s3, s3
	v_mov_b32_e32 v16, v14
	s_xor_b32 exec_lo, exec_lo, s3
	s_cbranch_execz .LBB116_20
; %bb.19:
	s_waitcnt lgkmcnt(0)
	v_add_nc_u32_e32 v15, v0, v17
	ds_load_u8 v16, v15 offset:1
	v_mov_b32_e32 v15, v13
.LBB116_20:
	s_or_b32 exec_lo, exec_lo, s3
	v_add_nc_u32_e32 v19, 1, v18
	v_add_nc_u32_e32 v21, 1, v17
	s_waitcnt lgkmcnt(0)
	v_and_b32_e32 v22, 0xff, v15
	s_delay_alu instid0(VALU_DEP_3) | instskip(SKIP_2) | instid1(VALU_DEP_3)
	v_cndmask_b32_e64 v20, v19, v18, s2
	v_and_b32_e32 v18, 0xff, v16
	v_cndmask_b32_e64 v19, v17, v21, s2
                                        ; implicit-def: $vgpr17
	v_cmp_ge_i32_e64 s3, v20, v6
	s_delay_alu instid0(VALU_DEP_3) | instskip(NEXT) | instid1(VALU_DEP_3)
	v_cmp_lt_u16_e64 s4, v18, v22
	v_cmp_lt_i32_e64 s5, v19, v5
	s_delay_alu instid0(VALU_DEP_2)
	s_or_b32 s3, s3, s4
	s_delay_alu instid0(VALU_DEP_1) | instid1(SALU_CYCLE_1)
	s_and_b32 s3, s5, s3
	s_delay_alu instid0(SALU_CYCLE_1) | instskip(NEXT) | instid1(SALU_CYCLE_1)
	s_xor_b32 s4, s3, -1
	s_and_saveexec_b32 s5, s4
	s_delay_alu instid0(SALU_CYCLE_1)
	s_xor_b32 s4, exec_lo, s5
	s_cbranch_execz .LBB116_22
; %bb.21:
	v_add_nc_u32_e32 v17, v0, v20
	ds_load_u8 v17, v17 offset:1
.LBB116_22:
	s_or_saveexec_b32 s4, s4
	v_mov_b32_e32 v18, v16
	s_xor_b32 exec_lo, exec_lo, s4
	s_cbranch_execz .LBB116_24
; %bb.23:
	s_waitcnt lgkmcnt(0)
	v_add_nc_u32_e32 v17, v0, v19
	ds_load_u8 v18, v17 offset:1
	v_mov_b32_e32 v17, v15
.LBB116_24:
	s_or_b32 exec_lo, exec_lo, s4
	v_add_nc_u32_e32 v21, 1, v20
	v_add_nc_u32_e32 v23, 1, v19
	s_waitcnt lgkmcnt(0)
	v_and_b32_e32 v24, 0xff, v17
	s_delay_alu instid0(VALU_DEP_3) | instskip(SKIP_2) | instid1(VALU_DEP_3)
	v_cndmask_b32_e64 v22, v21, v20, s3
	v_and_b32_e32 v21, 0xff, v18
	v_cndmask_b32_e64 v20, v19, v23, s3
                                        ; implicit-def: $vgpr19
	v_cmp_ge_i32_e64 s4, v22, v6
	s_delay_alu instid0(VALU_DEP_3) | instskip(NEXT) | instid1(VALU_DEP_3)
	v_cmp_lt_u16_e64 s5, v21, v24
	v_cmp_lt_i32_e64 s6, v20, v5
	s_delay_alu instid0(VALU_DEP_2)
	s_or_b32 s4, s4, s5
	s_delay_alu instid0(VALU_DEP_1) | instid1(SALU_CYCLE_1)
	s_and_b32 s4, s6, s4
	s_delay_alu instid0(SALU_CYCLE_1) | instskip(NEXT) | instid1(SALU_CYCLE_1)
	s_xor_b32 s5, s4, -1
	s_and_saveexec_b32 s6, s5
	s_delay_alu instid0(SALU_CYCLE_1)
	s_xor_b32 s5, exec_lo, s6
	s_cbranch_execz .LBB116_26
; %bb.25:
	v_add_nc_u32_e32 v19, v0, v22
	ds_load_u8 v19, v19 offset:1
.LBB116_26:
	s_or_saveexec_b32 s5, s5
	v_mov_b32_e32 v21, v18
	s_xor_b32 exec_lo, exec_lo, s5
	s_cbranch_execz .LBB116_28
; %bb.27:
	s_waitcnt lgkmcnt(0)
	v_add_nc_u32_e32 v19, v0, v20
	ds_load_u8 v21, v19 offset:1
	v_mov_b32_e32 v19, v17
.LBB116_28:
	s_or_b32 exec_lo, exec_lo, s5
	v_add_nc_u32_e32 v23, 1, v22
	v_add_nc_u32_e32 v24, 1, v20
	s_waitcnt lgkmcnt(0)
	v_and_b32_e32 v25, 0xff, v19
	v_and_b32_e32 v26, 0xff, v21
	v_cndmask_b32_e64 v23, v23, v22, s4
	v_cndmask_b32_e64 v22, v20, v24, s4
                                        ; implicit-def: $vgpr20
	s_delay_alu instid0(VALU_DEP_3) | instskip(NEXT) | instid1(VALU_DEP_3)
	v_cmp_lt_u16_e64 s6, v26, v25
	v_cmp_ge_i32_e64 s5, v23, v6
	s_delay_alu instid0(VALU_DEP_3) | instskip(NEXT) | instid1(VALU_DEP_2)
	v_cmp_lt_i32_e64 s7, v22, v5
	s_or_b32 s5, s5, s6
	s_delay_alu instid0(VALU_DEP_1) | instid1(SALU_CYCLE_1)
	s_and_b32 s5, s7, s5
	s_delay_alu instid0(SALU_CYCLE_1) | instskip(NEXT) | instid1(SALU_CYCLE_1)
	s_xor_b32 s6, s5, -1
	s_and_saveexec_b32 s7, s6
	s_delay_alu instid0(SALU_CYCLE_1)
	s_xor_b32 s6, exec_lo, s7
	s_cbranch_execz .LBB116_30
; %bb.29:
	v_add_nc_u32_e32 v20, v0, v23
	ds_load_u8 v20, v20 offset:1
.LBB116_30:
	s_or_saveexec_b32 s6, s6
	v_mov_b32_e32 v24, v21
	s_xor_b32 exec_lo, exec_lo, s6
	s_cbranch_execz .LBB116_32
; %bb.31:
	s_waitcnt lgkmcnt(0)
	v_add_nc_u32_e32 v20, v0, v22
	ds_load_u8 v24, v20 offset:1
	v_mov_b32_e32 v20, v19
.LBB116_32:
	s_or_b32 exec_lo, exec_lo, s6
	v_add_nc_u32_e32 v25, 1, v23
	v_cndmask_b32_e64 v19, v19, v21, s5
	v_add_nc_u32_e32 v21, 1, v22
	v_cndmask_b32_e64 v17, v17, v18, s4
	s_waitcnt lgkmcnt(0)
	v_and_b32_e32 v18, 0xff, v20
	v_cndmask_b32_e64 v23, v25, v23, s5
	v_and_b32_e32 v25, 0xff, v24
	v_cndmask_b32_e64 v13, v13, v14, s2
	v_cndmask_b32_e64 v14, v22, v21, s5
	;; [unrolled: 1-line block ×3, first 2 shown]
	v_cmp_ge_i32_e64 s2, v23, v6
	v_cmp_lt_u16_e64 s3, v25, v18
	v_cndmask_b32_e32 v7, v7, v8, vcc_lo
	v_cmp_lt_i32_e32 vcc_lo, v14, v5
	v_cndmask_b32_e64 v6, v10, v9, s0
	v_cndmask_b32_e64 v8, v11, v12, s1
	v_and_b32_e32 v12, 0xff, v15
	s_or_b32 s0, s2, s3
	v_lshlrev_b16 v9, 8, v13
	s_and_b32 vcc_lo, vcc_lo, s0
	v_lshlrev_b16 v5, 8, v6
	v_and_b32_e32 v6, 0xff, v7
	v_and_b32_e32 v8, 0xff, v8
	v_cndmask_b32_e32 v10, v20, v24, vcc_lo
	v_and_b32_e32 v7, 0x60, v4
	v_and_b32_e32 v13, 0xff, v19
	v_or_b32_e32 v11, v6, v5
	v_or_b32_e32 v8, v8, v9
	v_lshlrev_b16 v9, 8, v17
	v_or_b32_e32 v6, 16, v7
	v_add_nc_u32_e32 v5, 32, v7
	v_lshlrev_b16 v10, 8, v10
	v_and_b32_e32 v11, 0xffff, v11
	v_or_b32_e32 v12, v12, v9
	v_and_b32_e32 v9, 24, v4
	v_sub_nc_u32_e32 v14, v5, v6
	v_or_b32_e32 v10, v13, v10
	v_lshlrev_b32_e32 v8, 16, v8
	v_and_b32_e32 v12, 0xffff, v12
	v_sub_nc_u32_e32 v15, v6, v7
	v_sub_nc_u32_e32 v13, v9, v14
	v_lshlrev_b32_e32 v16, 16, v10
	v_cmp_ge_i32_e32 vcc_lo, v9, v14
	v_or_b32_e32 v11, v11, v8
	v_min_i32_e32 v8, v9, v15
	s_mov_b32 s1, 0
	v_or_b32_e32 v12, v12, v16
	v_cndmask_b32_e32 v10, 0, v13, vcc_lo
	s_mov_b32 s0, exec_lo
	; wave barrier
	ds_store_b64 v3, v[11:12]
	; wave barrier
	v_cmpx_lt_i32_e64 v10, v8
	s_cbranch_execz .LBB116_36
; %bb.33:
	v_add_nc_u32_e32 v11, v0, v7
	s_delay_alu instid0(VALU_DEP_1)
	v_add3_u32 v12, v11, v9, 16
	.p2align	6
.LBB116_34:                             ; =>This Inner Loop Header: Depth=1
	v_sub_nc_u32_e32 v13, v8, v10
	s_delay_alu instid0(VALU_DEP_1) | instskip(NEXT) | instid1(VALU_DEP_1)
	v_lshrrev_b32_e32 v14, 31, v13
	v_add_nc_u32_e32 v13, v13, v14
	s_delay_alu instid0(VALU_DEP_1) | instskip(NEXT) | instid1(VALU_DEP_1)
	v_ashrrev_i32_e32 v13, 1, v13
	v_add_nc_u32_e32 v13, v13, v10
	s_delay_alu instid0(VALU_DEP_1)
	v_add_nc_u32_e32 v14, v11, v13
	v_xad_u32 v15, v13, -1, v12
	v_add_nc_u32_e32 v16, 1, v13
	ds_load_u8 v14, v14
	ds_load_u8 v15, v15
	s_waitcnt lgkmcnt(0)
	v_cmp_lt_u16_e32 vcc_lo, v15, v14
	v_cndmask_b32_e32 v8, v8, v13, vcc_lo
	v_cndmask_b32_e32 v10, v16, v10, vcc_lo
	s_delay_alu instid0(VALU_DEP_1) | instskip(SKIP_1) | instid1(SALU_CYCLE_1)
	v_cmp_ge_i32_e32 vcc_lo, v10, v8
	s_or_b32 s1, vcc_lo, s1
	s_and_not1_b32 exec_lo, exec_lo, s1
	s_cbranch_execnz .LBB116_34
; %bb.35:
	s_or_b32 exec_lo, exec_lo, s1
.LBB116_36:
	s_delay_alu instid0(SALU_CYCLE_1) | instskip(SKIP_4) | instid1(VALU_DEP_4)
	s_or_b32 exec_lo, exec_lo, s0
	v_add_nc_u32_e32 v8, v7, v9
	v_add_nc_u32_e32 v11, v10, v7
	;; [unrolled: 1-line block ×3, first 2 shown]
	v_cmp_lt_i32_e32 vcc_lo, 15, v10
	v_sub_nc_u32_e32 v7, v8, v10
	s_delay_alu instid0(VALU_DEP_4) | instskip(NEXT) | instid1(VALU_DEP_4)
	v_add_nc_u32_e32 v14, v0, v11
	v_sub_nc_u32_e32 v12, v9, v10
                                        ; implicit-def: $vgpr9
                                        ; implicit-def: $vgpr10
	s_delay_alu instid0(VALU_DEP_3)
	v_add_nc_u32_e32 v13, v0, v7
	ds_load_u8 v7, v14
	ds_load_u8 v8, v13 offset:16
	v_cmp_gt_i32_e64 s1, v5, v12
	s_waitcnt lgkmcnt(1)
	v_and_b32_e32 v15, 0xff, v7
	s_waitcnt lgkmcnt(0)
	v_and_b32_e32 v16, 0xff, v8
	s_delay_alu instid0(VALU_DEP_1) | instskip(NEXT) | instid1(VALU_DEP_1)
	v_cmp_lt_u16_e64 s0, v16, v15
	s_or_b32 s0, vcc_lo, s0
	s_delay_alu instid0(SALU_CYCLE_1) | instskip(NEXT) | instid1(SALU_CYCLE_1)
	s_and_b32 vcc_lo, s1, s0
	s_xor_b32 s0, vcc_lo, -1
	s_delay_alu instid0(SALU_CYCLE_1) | instskip(NEXT) | instid1(SALU_CYCLE_1)
	s_and_saveexec_b32 s1, s0
	s_xor_b32 s0, exec_lo, s1
	s_cbranch_execz .LBB116_38
; %bb.37:
	ds_load_u8 v10, v14 offset:1
	v_mov_b32_e32 v9, v8
                                        ; implicit-def: $vgpr13
.LBB116_38:
	s_and_not1_saveexec_b32 s0, s0
	s_cbranch_execz .LBB116_40
; %bb.39:
	ds_load_u8 v9, v13 offset:17
	s_waitcnt lgkmcnt(1)
	v_mov_b32_e32 v10, v7
.LBB116_40:
	s_or_b32 exec_lo, exec_lo, s0
	v_add_nc_u32_e32 v13, 1, v11
	v_add_nc_u32_e32 v15, 1, v12
	s_waitcnt lgkmcnt(0)
	v_and_b32_e32 v16, 0xff, v10
	s_delay_alu instid0(VALU_DEP_3) | instskip(NEXT) | instid1(VALU_DEP_3)
	v_cndmask_b32_e32 v14, v13, v11, vcc_lo
	v_cndmask_b32_e32 v13, v12, v15, vcc_lo
	v_and_b32_e32 v11, 0xff, v9
	s_delay_alu instid0(VALU_DEP_3) | instskip(NEXT) | instid1(VALU_DEP_3)
	v_cmp_ge_i32_e64 s0, v14, v6
	v_cmp_lt_i32_e64 s2, v13, v5
	s_delay_alu instid0(VALU_DEP_3) | instskip(NEXT) | instid1(VALU_DEP_1)
	v_cmp_lt_u16_e64 s1, v11, v16
                                        ; implicit-def: $vgpr11
	s_or_b32 s0, s0, s1
	s_delay_alu instid0(VALU_DEP_2) | instid1(SALU_CYCLE_1)
	s_and_b32 s0, s2, s0
	s_delay_alu instid0(SALU_CYCLE_1) | instskip(NEXT) | instid1(SALU_CYCLE_1)
	s_xor_b32 s1, s0, -1
	s_and_saveexec_b32 s2, s1
	s_delay_alu instid0(SALU_CYCLE_1)
	s_xor_b32 s1, exec_lo, s2
	s_cbranch_execz .LBB116_42
; %bb.41:
	v_add_nc_u32_e32 v11, v0, v14
	ds_load_u8 v11, v11 offset:1
.LBB116_42:
	s_or_saveexec_b32 s1, s1
	v_mov_b32_e32 v12, v9
	s_xor_b32 exec_lo, exec_lo, s1
	s_cbranch_execz .LBB116_44
; %bb.43:
	s_waitcnt lgkmcnt(0)
	v_add_nc_u32_e32 v11, v0, v13
	ds_load_u8 v12, v11 offset:1
	v_mov_b32_e32 v11, v10
.LBB116_44:
	s_or_b32 exec_lo, exec_lo, s1
	v_add_nc_u32_e32 v15, 1, v14
	v_add_nc_u32_e32 v17, 1, v13
	s_waitcnt lgkmcnt(0)
	v_and_b32_e32 v18, 0xff, v11
	s_delay_alu instid0(VALU_DEP_3) | instskip(SKIP_2) | instid1(VALU_DEP_3)
	v_cndmask_b32_e64 v16, v15, v14, s0
	v_and_b32_e32 v14, 0xff, v12
	v_cndmask_b32_e64 v15, v13, v17, s0
                                        ; implicit-def: $vgpr13
	v_cmp_ge_i32_e64 s1, v16, v6
	s_delay_alu instid0(VALU_DEP_3) | instskip(NEXT) | instid1(VALU_DEP_3)
	v_cmp_lt_u16_e64 s2, v14, v18
	v_cmp_lt_i32_e64 s3, v15, v5
	s_delay_alu instid0(VALU_DEP_2)
	s_or_b32 s1, s1, s2
	s_delay_alu instid0(VALU_DEP_1) | instid1(SALU_CYCLE_1)
	s_and_b32 s1, s3, s1
	s_delay_alu instid0(SALU_CYCLE_1) | instskip(NEXT) | instid1(SALU_CYCLE_1)
	s_xor_b32 s2, s1, -1
	s_and_saveexec_b32 s3, s2
	s_delay_alu instid0(SALU_CYCLE_1)
	s_xor_b32 s2, exec_lo, s3
	s_cbranch_execz .LBB116_46
; %bb.45:
	v_add_nc_u32_e32 v13, v0, v16
	ds_load_u8 v13, v13 offset:1
.LBB116_46:
	s_or_saveexec_b32 s2, s2
	v_mov_b32_e32 v14, v12
	s_xor_b32 exec_lo, exec_lo, s2
	s_cbranch_execz .LBB116_48
; %bb.47:
	s_waitcnt lgkmcnt(0)
	v_add_nc_u32_e32 v13, v0, v15
	ds_load_u8 v14, v13 offset:1
	v_mov_b32_e32 v13, v11
.LBB116_48:
	s_or_b32 exec_lo, exec_lo, s2
	v_add_nc_u32_e32 v17, 1, v16
	v_add_nc_u32_e32 v19, 1, v15
	s_waitcnt lgkmcnt(0)
	v_and_b32_e32 v20, 0xff, v13
	s_delay_alu instid0(VALU_DEP_3) | instskip(SKIP_2) | instid1(VALU_DEP_3)
	v_cndmask_b32_e64 v18, v17, v16, s1
	v_and_b32_e32 v16, 0xff, v14
	v_cndmask_b32_e64 v17, v15, v19, s1
                                        ; implicit-def: $vgpr15
	v_cmp_ge_i32_e64 s2, v18, v6
	s_delay_alu instid0(VALU_DEP_3) | instskip(NEXT) | instid1(VALU_DEP_3)
	v_cmp_lt_u16_e64 s3, v16, v20
	v_cmp_lt_i32_e64 s4, v17, v5
	s_delay_alu instid0(VALU_DEP_2)
	s_or_b32 s2, s2, s3
	s_delay_alu instid0(VALU_DEP_1) | instid1(SALU_CYCLE_1)
	s_and_b32 s2, s4, s2
	s_delay_alu instid0(SALU_CYCLE_1) | instskip(NEXT) | instid1(SALU_CYCLE_1)
	s_xor_b32 s3, s2, -1
	s_and_saveexec_b32 s4, s3
	s_delay_alu instid0(SALU_CYCLE_1)
	s_xor_b32 s3, exec_lo, s4
	s_cbranch_execz .LBB116_50
; %bb.49:
	v_add_nc_u32_e32 v15, v0, v18
	ds_load_u8 v15, v15 offset:1
.LBB116_50:
	s_or_saveexec_b32 s3, s3
	v_mov_b32_e32 v16, v14
	s_xor_b32 exec_lo, exec_lo, s3
	s_cbranch_execz .LBB116_52
; %bb.51:
	s_waitcnt lgkmcnt(0)
	v_add_nc_u32_e32 v15, v0, v17
	ds_load_u8 v16, v15 offset:1
	v_mov_b32_e32 v15, v13
.LBB116_52:
	s_or_b32 exec_lo, exec_lo, s3
	v_add_nc_u32_e32 v19, 1, v18
	v_add_nc_u32_e32 v21, 1, v17
	s_waitcnt lgkmcnt(0)
	v_and_b32_e32 v22, 0xff, v15
	s_delay_alu instid0(VALU_DEP_3) | instskip(SKIP_2) | instid1(VALU_DEP_3)
	v_cndmask_b32_e64 v20, v19, v18, s2
	v_and_b32_e32 v18, 0xff, v16
	v_cndmask_b32_e64 v19, v17, v21, s2
                                        ; implicit-def: $vgpr17
	v_cmp_ge_i32_e64 s3, v20, v6
	s_delay_alu instid0(VALU_DEP_3) | instskip(NEXT) | instid1(VALU_DEP_3)
	v_cmp_lt_u16_e64 s4, v18, v22
	v_cmp_lt_i32_e64 s5, v19, v5
	s_delay_alu instid0(VALU_DEP_2)
	s_or_b32 s3, s3, s4
	s_delay_alu instid0(VALU_DEP_1) | instid1(SALU_CYCLE_1)
	s_and_b32 s3, s5, s3
	s_delay_alu instid0(SALU_CYCLE_1) | instskip(NEXT) | instid1(SALU_CYCLE_1)
	s_xor_b32 s4, s3, -1
	s_and_saveexec_b32 s5, s4
	s_delay_alu instid0(SALU_CYCLE_1)
	s_xor_b32 s4, exec_lo, s5
	s_cbranch_execz .LBB116_54
; %bb.53:
	v_add_nc_u32_e32 v17, v0, v20
	ds_load_u8 v17, v17 offset:1
.LBB116_54:
	s_or_saveexec_b32 s4, s4
	v_mov_b32_e32 v18, v16
	s_xor_b32 exec_lo, exec_lo, s4
	s_cbranch_execz .LBB116_56
; %bb.55:
	s_waitcnt lgkmcnt(0)
	v_add_nc_u32_e32 v17, v0, v19
	ds_load_u8 v18, v17 offset:1
	v_mov_b32_e32 v17, v15
.LBB116_56:
	s_or_b32 exec_lo, exec_lo, s4
	v_add_nc_u32_e32 v21, 1, v20
	v_add_nc_u32_e32 v23, 1, v19
	s_waitcnt lgkmcnt(0)
	v_and_b32_e32 v24, 0xff, v17
	s_delay_alu instid0(VALU_DEP_3) | instskip(SKIP_2) | instid1(VALU_DEP_3)
	v_cndmask_b32_e64 v22, v21, v20, s3
	v_and_b32_e32 v21, 0xff, v18
	v_cndmask_b32_e64 v20, v19, v23, s3
                                        ; implicit-def: $vgpr19
	v_cmp_ge_i32_e64 s4, v22, v6
	s_delay_alu instid0(VALU_DEP_3) | instskip(NEXT) | instid1(VALU_DEP_3)
	v_cmp_lt_u16_e64 s5, v21, v24
	v_cmp_lt_i32_e64 s6, v20, v5
	s_delay_alu instid0(VALU_DEP_2)
	s_or_b32 s4, s4, s5
	s_delay_alu instid0(VALU_DEP_1) | instid1(SALU_CYCLE_1)
	s_and_b32 s4, s6, s4
	s_delay_alu instid0(SALU_CYCLE_1) | instskip(NEXT) | instid1(SALU_CYCLE_1)
	s_xor_b32 s5, s4, -1
	s_and_saveexec_b32 s6, s5
	s_delay_alu instid0(SALU_CYCLE_1)
	s_xor_b32 s5, exec_lo, s6
	s_cbranch_execz .LBB116_58
; %bb.57:
	v_add_nc_u32_e32 v19, v0, v22
	ds_load_u8 v19, v19 offset:1
.LBB116_58:
	s_or_saveexec_b32 s5, s5
	v_mov_b32_e32 v21, v18
	s_xor_b32 exec_lo, exec_lo, s5
	s_cbranch_execz .LBB116_60
; %bb.59:
	s_waitcnt lgkmcnt(0)
	v_add_nc_u32_e32 v19, v0, v20
	ds_load_u8 v21, v19 offset:1
	v_mov_b32_e32 v19, v17
.LBB116_60:
	s_or_b32 exec_lo, exec_lo, s5
	v_add_nc_u32_e32 v23, 1, v22
	v_add_nc_u32_e32 v24, 1, v20
	s_waitcnt lgkmcnt(0)
	v_and_b32_e32 v25, 0xff, v19
	v_and_b32_e32 v26, 0xff, v21
	v_cndmask_b32_e64 v23, v23, v22, s4
	v_cndmask_b32_e64 v22, v20, v24, s4
                                        ; implicit-def: $vgpr20
	s_delay_alu instid0(VALU_DEP_3) | instskip(NEXT) | instid1(VALU_DEP_3)
	v_cmp_lt_u16_e64 s6, v26, v25
	v_cmp_ge_i32_e64 s5, v23, v6
	s_delay_alu instid0(VALU_DEP_3) | instskip(NEXT) | instid1(VALU_DEP_2)
	v_cmp_lt_i32_e64 s7, v22, v5
	s_or_b32 s5, s5, s6
	s_delay_alu instid0(VALU_DEP_1) | instid1(SALU_CYCLE_1)
	s_and_b32 s5, s7, s5
	s_delay_alu instid0(SALU_CYCLE_1) | instskip(NEXT) | instid1(SALU_CYCLE_1)
	s_xor_b32 s6, s5, -1
	s_and_saveexec_b32 s7, s6
	s_delay_alu instid0(SALU_CYCLE_1)
	s_xor_b32 s6, exec_lo, s7
	s_cbranch_execz .LBB116_62
; %bb.61:
	v_add_nc_u32_e32 v20, v0, v23
	ds_load_u8 v20, v20 offset:1
.LBB116_62:
	s_or_saveexec_b32 s6, s6
	v_mov_b32_e32 v24, v21
	s_xor_b32 exec_lo, exec_lo, s6
	s_cbranch_execz .LBB116_64
; %bb.63:
	s_waitcnt lgkmcnt(0)
	v_add_nc_u32_e32 v20, v0, v22
	ds_load_u8 v24, v20 offset:1
	v_mov_b32_e32 v20, v19
.LBB116_64:
	s_or_b32 exec_lo, exec_lo, s6
	v_add_nc_u32_e32 v25, 1, v23
	v_cndmask_b32_e64 v19, v19, v21, s5
	v_add_nc_u32_e32 v21, 1, v22
	v_cndmask_b32_e64 v17, v17, v18, s4
	s_waitcnt lgkmcnt(0)
	v_and_b32_e32 v18, 0xff, v20
	v_cndmask_b32_e64 v23, v25, v23, s5
	v_and_b32_e32 v25, 0xff, v24
	v_cndmask_b32_e64 v13, v13, v14, s2
	v_cndmask_b32_e64 v14, v22, v21, s5
	;; [unrolled: 1-line block ×3, first 2 shown]
	v_cmp_ge_i32_e64 s2, v23, v6
	v_cmp_lt_u16_e64 s3, v25, v18
	v_cndmask_b32_e32 v7, v7, v8, vcc_lo
	v_cmp_lt_i32_e32 vcc_lo, v14, v5
	v_cndmask_b32_e64 v6, v10, v9, s0
	v_cndmask_b32_e64 v8, v11, v12, s1
	v_and_b32_e32 v12, 0xff, v15
	s_or_b32 s0, s2, s3
	v_lshlrev_b16 v9, 8, v13
	s_and_b32 vcc_lo, vcc_lo, s0
	v_lshlrev_b16 v5, 8, v6
	v_and_b32_e32 v6, 0xff, v7
	v_and_b32_e32 v8, 0xff, v8
	v_cndmask_b32_e32 v10, v20, v24, vcc_lo
	v_and_b32_e32 v7, 64, v4
	v_and_b32_e32 v13, 0xff, v19
	v_or_b32_e32 v11, v6, v5
	v_or_b32_e32 v9, v8, v9
	v_lshlrev_b16 v8, 8, v17
	v_or_b32_e32 v6, 32, v7
	v_add_nc_u32_e32 v5, 64, v7
	v_lshlrev_b16 v10, 8, v10
	v_and_b32_e32 v11, 0xffff, v11
	v_or_b32_e32 v12, v12, v8
	v_and_b32_e32 v8, 56, v4
	v_sub_nc_u32_e32 v4, v5, v6
	v_or_b32_e32 v10, v13, v10
	v_lshlrev_b32_e32 v9, 16, v9
	v_and_b32_e32 v12, 0xffff, v12
	v_sub_nc_u32_e32 v14, v6, v7
	v_sub_nc_u32_e32 v13, v8, v4
	v_lshlrev_b32_e32 v15, 16, v10
	v_cmp_ge_i32_e32 vcc_lo, v8, v4
	v_or_b32_e32 v10, v11, v9
	v_min_i32_e32 v4, v8, v14
	s_mov_b32 s1, 0
	v_or_b32_e32 v11, v12, v15
	v_cndmask_b32_e32 v9, 0, v13, vcc_lo
	s_mov_b32 s0, exec_lo
	; wave barrier
	ds_store_b64 v3, v[10:11]
	; wave barrier
	v_cmpx_lt_i32_e64 v9, v4
	s_cbranch_execz .LBB116_68
; %bb.65:
	v_add_nc_u32_e32 v10, v0, v7
	s_delay_alu instid0(VALU_DEP_1)
	v_add3_u32 v11, v10, v8, 32
	.p2align	6
.LBB116_66:                             ; =>This Inner Loop Header: Depth=1
	v_sub_nc_u32_e32 v12, v4, v9
	s_delay_alu instid0(VALU_DEP_1) | instskip(NEXT) | instid1(VALU_DEP_1)
	v_lshrrev_b32_e32 v13, 31, v12
	v_add_nc_u32_e32 v12, v12, v13
	s_delay_alu instid0(VALU_DEP_1) | instskip(NEXT) | instid1(VALU_DEP_1)
	v_ashrrev_i32_e32 v12, 1, v12
	v_add_nc_u32_e32 v12, v12, v9
	s_delay_alu instid0(VALU_DEP_1)
	v_add_nc_u32_e32 v13, v10, v12
	v_xad_u32 v14, v12, -1, v11
	v_add_nc_u32_e32 v15, 1, v12
	ds_load_u8 v13, v13
	ds_load_u8 v14, v14
	s_waitcnt lgkmcnt(0)
	v_cmp_lt_u16_e32 vcc_lo, v14, v13
	v_dual_cndmask_b32 v4, v4, v12 :: v_dual_cndmask_b32 v9, v15, v9
	s_delay_alu instid0(VALU_DEP_1) | instskip(SKIP_1) | instid1(SALU_CYCLE_1)
	v_cmp_ge_i32_e32 vcc_lo, v9, v4
	s_or_b32 s1, vcc_lo, s1
	s_and_not1_b32 exec_lo, exec_lo, s1
	s_cbranch_execnz .LBB116_66
; %bb.67:
	s_or_b32 exec_lo, exec_lo, s1
.LBB116_68:
	s_delay_alu instid0(SALU_CYCLE_1) | instskip(SKIP_4) | instid1(VALU_DEP_4)
	s_or_b32 exec_lo, exec_lo, s0
	v_add_nc_u32_e32 v4, v7, v8
	v_add_nc_u32_e32 v10, v9, v7
	;; [unrolled: 1-line block ×3, first 2 shown]
	v_cmp_lt_i32_e32 vcc_lo, 31, v9
	v_sub_nc_u32_e32 v4, v4, v9
	s_delay_alu instid0(VALU_DEP_4) | instskip(NEXT) | instid1(VALU_DEP_4)
	v_add_nc_u32_e32 v13, v0, v10
	v_sub_nc_u32_e32 v11, v8, v9
                                        ; implicit-def: $vgpr8
                                        ; implicit-def: $vgpr9
	s_delay_alu instid0(VALU_DEP_3)
	v_add_nc_u32_e32 v12, v0, v4
	ds_load_u8 v4, v13
	ds_load_u8 v7, v12 offset:32
	v_cmp_gt_i32_e64 s1, v5, v11
	s_waitcnt lgkmcnt(1)
	v_and_b32_e32 v14, 0xff, v4
	s_waitcnt lgkmcnt(0)
	v_and_b32_e32 v15, 0xff, v7
	s_delay_alu instid0(VALU_DEP_1) | instskip(NEXT) | instid1(VALU_DEP_1)
	v_cmp_lt_u16_e64 s0, v15, v14
	s_or_b32 s0, vcc_lo, s0
	s_delay_alu instid0(SALU_CYCLE_1) | instskip(NEXT) | instid1(SALU_CYCLE_1)
	s_and_b32 vcc_lo, s1, s0
	s_xor_b32 s0, vcc_lo, -1
	s_delay_alu instid0(SALU_CYCLE_1) | instskip(NEXT) | instid1(SALU_CYCLE_1)
	s_and_saveexec_b32 s1, s0
	s_xor_b32 s0, exec_lo, s1
	s_cbranch_execz .LBB116_70
; %bb.69:
	ds_load_u8 v9, v13 offset:1
	v_mov_b32_e32 v8, v7
                                        ; implicit-def: $vgpr12
.LBB116_70:
	s_and_not1_saveexec_b32 s0, s0
	s_cbranch_execz .LBB116_72
; %bb.71:
	ds_load_u8 v8, v12 offset:33
	s_waitcnt lgkmcnt(1)
	v_mov_b32_e32 v9, v4
.LBB116_72:
	s_or_b32 exec_lo, exec_lo, s0
	v_add_nc_u32_e32 v12, 1, v10
	v_add_nc_u32_e32 v14, 1, v11
	s_waitcnt lgkmcnt(0)
	v_and_b32_e32 v15, 0xff, v9
	s_delay_alu instid0(VALU_DEP_3) | instskip(NEXT) | instid1(VALU_DEP_3)
	v_cndmask_b32_e32 v13, v12, v10, vcc_lo
	v_cndmask_b32_e32 v12, v11, v14, vcc_lo
	v_and_b32_e32 v10, 0xff, v8
	s_delay_alu instid0(VALU_DEP_3) | instskip(NEXT) | instid1(VALU_DEP_3)
	v_cmp_ge_i32_e64 s0, v13, v6
	v_cmp_lt_i32_e64 s2, v12, v5
	s_delay_alu instid0(VALU_DEP_3) | instskip(NEXT) | instid1(VALU_DEP_1)
	v_cmp_lt_u16_e64 s1, v10, v15
                                        ; implicit-def: $vgpr10
	s_or_b32 s0, s0, s1
	s_delay_alu instid0(VALU_DEP_2) | instid1(SALU_CYCLE_1)
	s_and_b32 s0, s2, s0
	s_delay_alu instid0(SALU_CYCLE_1) | instskip(NEXT) | instid1(SALU_CYCLE_1)
	s_xor_b32 s1, s0, -1
	s_and_saveexec_b32 s2, s1
	s_delay_alu instid0(SALU_CYCLE_1)
	s_xor_b32 s1, exec_lo, s2
	s_cbranch_execz .LBB116_74
; %bb.73:
	v_add_nc_u32_e32 v10, v0, v13
	ds_load_u8 v10, v10 offset:1
.LBB116_74:
	s_or_saveexec_b32 s1, s1
	v_mov_b32_e32 v11, v8
	s_xor_b32 exec_lo, exec_lo, s1
	s_cbranch_execz .LBB116_76
; %bb.75:
	s_waitcnt lgkmcnt(0)
	v_add_nc_u32_e32 v10, v0, v12
	ds_load_u8 v11, v10 offset:1
	v_mov_b32_e32 v10, v9
.LBB116_76:
	s_or_b32 exec_lo, exec_lo, s1
	v_add_nc_u32_e32 v14, 1, v13
	v_add_nc_u32_e32 v16, 1, v12
	s_waitcnt lgkmcnt(0)
	v_and_b32_e32 v17, 0xff, v10
	s_delay_alu instid0(VALU_DEP_3) | instskip(SKIP_2) | instid1(VALU_DEP_3)
	v_cndmask_b32_e64 v15, v14, v13, s0
	v_and_b32_e32 v13, 0xff, v11
	v_cndmask_b32_e64 v14, v12, v16, s0
                                        ; implicit-def: $vgpr12
	v_cmp_ge_i32_e64 s1, v15, v6
	s_delay_alu instid0(VALU_DEP_3) | instskip(NEXT) | instid1(VALU_DEP_3)
	v_cmp_lt_u16_e64 s2, v13, v17
	v_cmp_lt_i32_e64 s3, v14, v5
	s_delay_alu instid0(VALU_DEP_2)
	s_or_b32 s1, s1, s2
	s_delay_alu instid0(VALU_DEP_1) | instid1(SALU_CYCLE_1)
	s_and_b32 s1, s3, s1
	s_delay_alu instid0(SALU_CYCLE_1) | instskip(NEXT) | instid1(SALU_CYCLE_1)
	s_xor_b32 s2, s1, -1
	s_and_saveexec_b32 s3, s2
	s_delay_alu instid0(SALU_CYCLE_1)
	s_xor_b32 s2, exec_lo, s3
	s_cbranch_execz .LBB116_78
; %bb.77:
	v_add_nc_u32_e32 v12, v0, v15
	ds_load_u8 v12, v12 offset:1
.LBB116_78:
	s_or_saveexec_b32 s2, s2
	v_mov_b32_e32 v13, v11
	s_xor_b32 exec_lo, exec_lo, s2
	s_cbranch_execz .LBB116_80
; %bb.79:
	s_waitcnt lgkmcnt(0)
	v_add_nc_u32_e32 v12, v0, v14
	ds_load_u8 v13, v12 offset:1
	v_mov_b32_e32 v12, v10
.LBB116_80:
	s_or_b32 exec_lo, exec_lo, s2
	v_add_nc_u32_e32 v16, 1, v15
	v_add_nc_u32_e32 v18, 1, v14
	s_waitcnt lgkmcnt(0)
	v_and_b32_e32 v19, 0xff, v12
	s_delay_alu instid0(VALU_DEP_3) | instskip(SKIP_2) | instid1(VALU_DEP_3)
	v_cndmask_b32_e64 v17, v16, v15, s1
	v_and_b32_e32 v15, 0xff, v13
	v_cndmask_b32_e64 v16, v14, v18, s1
                                        ; implicit-def: $vgpr14
	v_cmp_ge_i32_e64 s2, v17, v6
	s_delay_alu instid0(VALU_DEP_3) | instskip(NEXT) | instid1(VALU_DEP_3)
	v_cmp_lt_u16_e64 s3, v15, v19
	v_cmp_lt_i32_e64 s4, v16, v5
	s_delay_alu instid0(VALU_DEP_2)
	s_or_b32 s2, s2, s3
	s_delay_alu instid0(VALU_DEP_1) | instid1(SALU_CYCLE_1)
	s_and_b32 s2, s4, s2
	s_delay_alu instid0(SALU_CYCLE_1) | instskip(NEXT) | instid1(SALU_CYCLE_1)
	s_xor_b32 s3, s2, -1
	s_and_saveexec_b32 s4, s3
	s_delay_alu instid0(SALU_CYCLE_1)
	s_xor_b32 s3, exec_lo, s4
	s_cbranch_execz .LBB116_82
; %bb.81:
	v_add_nc_u32_e32 v14, v0, v17
	ds_load_u8 v14, v14 offset:1
.LBB116_82:
	s_or_saveexec_b32 s3, s3
	v_mov_b32_e32 v15, v13
	s_xor_b32 exec_lo, exec_lo, s3
	s_cbranch_execz .LBB116_84
; %bb.83:
	s_waitcnt lgkmcnt(0)
	v_add_nc_u32_e32 v14, v0, v16
	ds_load_u8 v15, v14 offset:1
	v_mov_b32_e32 v14, v12
.LBB116_84:
	s_or_b32 exec_lo, exec_lo, s3
	v_add_nc_u32_e32 v18, 1, v17
	v_add_nc_u32_e32 v20, 1, v16
	s_waitcnt lgkmcnt(0)
	v_and_b32_e32 v21, 0xff, v14
	s_delay_alu instid0(VALU_DEP_3) | instskip(SKIP_2) | instid1(VALU_DEP_3)
	v_cndmask_b32_e64 v19, v18, v17, s2
	v_and_b32_e32 v17, 0xff, v15
	v_cndmask_b32_e64 v18, v16, v20, s2
                                        ; implicit-def: $vgpr16
	v_cmp_ge_i32_e64 s3, v19, v6
	s_delay_alu instid0(VALU_DEP_3) | instskip(NEXT) | instid1(VALU_DEP_3)
	v_cmp_lt_u16_e64 s4, v17, v21
	v_cmp_lt_i32_e64 s5, v18, v5
	s_delay_alu instid0(VALU_DEP_2)
	s_or_b32 s3, s3, s4
	s_delay_alu instid0(VALU_DEP_1) | instid1(SALU_CYCLE_1)
	s_and_b32 s3, s5, s3
	s_delay_alu instid0(SALU_CYCLE_1) | instskip(NEXT) | instid1(SALU_CYCLE_1)
	s_xor_b32 s4, s3, -1
	s_and_saveexec_b32 s5, s4
	s_delay_alu instid0(SALU_CYCLE_1)
	s_xor_b32 s4, exec_lo, s5
	s_cbranch_execz .LBB116_86
; %bb.85:
	v_add_nc_u32_e32 v16, v0, v19
	ds_load_u8 v16, v16 offset:1
.LBB116_86:
	s_or_saveexec_b32 s4, s4
	v_mov_b32_e32 v17, v15
	s_xor_b32 exec_lo, exec_lo, s4
	s_cbranch_execz .LBB116_88
; %bb.87:
	s_waitcnt lgkmcnt(0)
	v_add_nc_u32_e32 v16, v0, v18
	ds_load_u8 v17, v16 offset:1
	v_mov_b32_e32 v16, v14
.LBB116_88:
	s_or_b32 exec_lo, exec_lo, s4
	v_add_nc_u32_e32 v20, 1, v19
	v_add_nc_u32_e32 v22, 1, v18
	s_waitcnt lgkmcnt(0)
	v_and_b32_e32 v23, 0xff, v16
	s_delay_alu instid0(VALU_DEP_3) | instskip(SKIP_2) | instid1(VALU_DEP_3)
	v_cndmask_b32_e64 v21, v20, v19, s3
	v_and_b32_e32 v19, 0xff, v17
	v_cndmask_b32_e64 v20, v18, v22, s3
                                        ; implicit-def: $vgpr18
	v_cmp_ge_i32_e64 s4, v21, v6
	s_delay_alu instid0(VALU_DEP_3) | instskip(NEXT) | instid1(VALU_DEP_3)
	v_cmp_lt_u16_e64 s5, v19, v23
	v_cmp_lt_i32_e64 s6, v20, v5
	s_delay_alu instid0(VALU_DEP_2)
	s_or_b32 s4, s4, s5
	s_delay_alu instid0(VALU_DEP_1) | instid1(SALU_CYCLE_1)
	s_and_b32 s4, s6, s4
	s_delay_alu instid0(SALU_CYCLE_1) | instskip(NEXT) | instid1(SALU_CYCLE_1)
	s_xor_b32 s5, s4, -1
	s_and_saveexec_b32 s6, s5
	s_delay_alu instid0(SALU_CYCLE_1)
	s_xor_b32 s5, exec_lo, s6
	s_cbranch_execz .LBB116_90
; %bb.89:
	v_add_nc_u32_e32 v18, v0, v21
	ds_load_u8 v18, v18 offset:1
.LBB116_90:
	s_or_saveexec_b32 s5, s5
	v_mov_b32_e32 v19, v17
	s_xor_b32 exec_lo, exec_lo, s5
	s_cbranch_execz .LBB116_92
; %bb.91:
	s_waitcnt lgkmcnt(0)
	v_add_nc_u32_e32 v18, v0, v20
	ds_load_u8 v19, v18 offset:1
	v_mov_b32_e32 v18, v16
.LBB116_92:
	s_or_b32 exec_lo, exec_lo, s5
	v_add_nc_u32_e32 v22, 1, v21
	v_add_nc_u32_e32 v23, 1, v20
	s_waitcnt lgkmcnt(0)
	v_and_b32_e32 v24, 0xff, v18
	s_delay_alu instid0(VALU_DEP_3) | instskip(SKIP_2) | instid1(VALU_DEP_3)
	v_cndmask_b32_e64 v21, v22, v21, s4
	v_and_b32_e32 v22, 0xff, v19
	v_cndmask_b32_e64 v20, v20, v23, s4
	v_cmp_ge_i32_e64 s5, v21, v6
	s_delay_alu instid0(VALU_DEP_3) | instskip(NEXT) | instid1(VALU_DEP_3)
	v_cmp_lt_u16_e64 s6, v22, v24
	v_cmp_lt_i32_e64 s7, v20, v5
                                        ; implicit-def: $vgpr22
	s_delay_alu instid0(VALU_DEP_2)
	s_or_b32 s5, s5, s6
	s_delay_alu instid0(VALU_DEP_1) | instid1(SALU_CYCLE_1)
	s_and_b32 s5, s7, s5
	s_delay_alu instid0(SALU_CYCLE_1) | instskip(NEXT) | instid1(SALU_CYCLE_1)
	s_xor_b32 s6, s5, -1
	s_and_saveexec_b32 s7, s6
	s_delay_alu instid0(SALU_CYCLE_1)
	s_xor_b32 s6, exec_lo, s7
	s_cbranch_execz .LBB116_94
; %bb.93:
	v_add_nc_u32_e32 v22, v0, v21
	ds_load_u8 v22, v22 offset:1
.LBB116_94:
	s_or_saveexec_b32 s6, s6
	v_mov_b32_e32 v23, v19
	s_xor_b32 exec_lo, exec_lo, s6
	s_cbranch_execz .LBB116_96
; %bb.95:
	s_waitcnt lgkmcnt(0)
	v_add_nc_u32_e32 v22, v0, v20
	ds_load_u8 v23, v22 offset:1
	v_mov_b32_e32 v22, v18
.LBB116_96:
	s_or_b32 exec_lo, exec_lo, s6
	v_add_nc_u32_e32 v24, 1, v21
	v_cndmask_b32_e64 v18, v18, v19, s5
	v_dual_cndmask_b32 v4, v4, v7 :: v_dual_add_nc_u32 v19, 1, v20
	s_waitcnt lgkmcnt(0)
	v_and_b32_e32 v25, 0xff, v22
	v_and_b32_e32 v26, 0xff, v23
	v_cndmask_b32_e64 v21, v24, v21, s5
	v_cndmask_b32_e64 v16, v16, v17, s4
	;; [unrolled: 1-line block ×4, first 2 shown]
	v_cmp_lt_u16_e64 s3, v26, v25
	v_cmp_ge_i32_e64 s4, v21, v6
	v_cndmask_b32_e64 v6, v12, v13, s2
	v_cmp_lt_i32_e64 s2, v17, v5
	v_cndmask_b32_e64 v5, v9, v8, s0
	v_cndmask_b32_e64 v7, v10, v11, s1
	s_or_b32 s0, s4, s3
	v_and_b32_e32 v4, 0xff, v4
	s_and_b32 vcc_lo, s2, s0
	v_lshlrev_b16 v5, 8, v5
	v_cndmask_b32_e32 v8, v22, v23, vcc_lo
	v_lshlrev_b16 v6, 8, v6
	v_and_b32_e32 v7, 0xff, v7
	v_lshlrev_b16 v9, 8, v16
	v_and_b32_e32 v10, 0xff, v14
	v_and_b32_e32 v11, 0xff, v18
	v_lshlrev_b16 v8, 8, v8
	v_or_b32_e32 v4, v4, v5
	v_or_b32_e32 v5, v7, v6
	;; [unrolled: 1-line block ×3, first 2 shown]
	s_mov_b32 s0, exec_lo
	v_or_b32_e32 v7, v11, v8
	v_and_b32_e32 v8, 0xffff, v4
	v_lshlrev_b32_e32 v5, 16, v5
	v_and_b32_e32 v9, 0xffff, v6
	v_sub_nc_u32_e64 v6, v2, 64 clamp
	v_lshlrev_b32_e32 v10, 16, v7
	v_min_i32_e32 v4, 64, v2
	v_or_b32_e32 v7, v8, v5
	; wave barrier
	s_delay_alu instid0(VALU_DEP_3)
	v_or_b32_e32 v8, v9, v10
	ds_store_b64 v3, v[7:8]
	; wave barrier
	v_cmpx_lt_u32_e64 v6, v4
	s_cbranch_execz .LBB116_100
; %bb.97:
	s_mov_b32 s1, 0
	.p2align	6
.LBB116_98:                             ; =>This Inner Loop Header: Depth=1
	v_sub_nc_u32_e32 v5, v4, v6
	s_delay_alu instid0(VALU_DEP_1) | instskip(NEXT) | instid1(VALU_DEP_1)
	v_lshrrev_b32_e32 v7, 31, v5
	v_add_nc_u32_e32 v5, v5, v7
	s_delay_alu instid0(VALU_DEP_1) | instskip(NEXT) | instid1(VALU_DEP_1)
	v_ashrrev_i32_e32 v5, 1, v5
	v_add_nc_u32_e32 v5, v5, v6
	s_delay_alu instid0(VALU_DEP_1)
	v_add_nc_u32_e32 v9, 1, v5
	v_add_nc_u32_e32 v7, v0, v5
	v_xad_u32 v8, v5, -1, v3
	ds_load_u8 v7, v7
	ds_load_u8 v8, v8 offset:64
	s_waitcnt lgkmcnt(0)
	v_cmp_lt_u16_e32 vcc_lo, v8, v7
	v_cndmask_b32_e32 v6, v9, v6, vcc_lo
	v_cndmask_b32_e32 v4, v4, v5, vcc_lo
	s_delay_alu instid0(VALU_DEP_1) | instskip(SKIP_1) | instid1(SALU_CYCLE_1)
	v_cmp_ge_i32_e32 vcc_lo, v6, v4
	s_or_b32 s1, vcc_lo, s1
	s_and_not1_b32 exec_lo, exec_lo, s1
	s_cbranch_execnz .LBB116_98
; %bb.99:
	s_or_b32 exec_lo, exec_lo, s1
.LBB116_100:
	s_delay_alu instid0(SALU_CYCLE_1) | instskip(SKIP_3) | instid1(VALU_DEP_3)
	s_or_b32 exec_lo, exec_lo, s0
	v_sub_nc_u32_e32 v4, v2, v6
	v_add_nc_u32_e32 v9, v0, v6
	v_cmp_lt_i32_e32 vcc_lo, 63, v6
	v_add_nc_u32_e32 v8, v0, v4
	v_add_nc_u32_e32 v7, 64, v4
                                        ; implicit-def: $vgpr4
	ds_load_u8 v2, v9
	ds_load_u8 v3, v8 offset:64
	v_cmp_gt_i32_e64 s1, 0x80, v7
	s_waitcnt lgkmcnt(1)
	v_and_b32_e32 v5, 0xff, v2
	s_waitcnt lgkmcnt(0)
	v_and_b32_e32 v10, 0xff, v3
	s_delay_alu instid0(VALU_DEP_1) | instskip(NEXT) | instid1(VALU_DEP_1)
	v_cmp_lt_u16_e64 s0, v10, v5
                                        ; implicit-def: $vgpr5
	s_or_b32 s0, vcc_lo, s0
	s_delay_alu instid0(SALU_CYCLE_1) | instskip(NEXT) | instid1(SALU_CYCLE_1)
	s_and_b32 vcc_lo, s1, s0
	s_xor_b32 s0, vcc_lo, -1
	s_delay_alu instid0(SALU_CYCLE_1) | instskip(NEXT) | instid1(SALU_CYCLE_1)
	s_and_saveexec_b32 s1, s0
	s_xor_b32 s0, exec_lo, s1
	s_cbranch_execz .LBB116_102
; %bb.101:
	ds_load_u8 v5, v9 offset:1
	v_mov_b32_e32 v4, v3
                                        ; implicit-def: $vgpr8
.LBB116_102:
	s_and_not1_saveexec_b32 s0, s0
	s_cbranch_execz .LBB116_104
; %bb.103:
	ds_load_u8 v4, v8 offset:65
	s_waitcnt lgkmcnt(1)
	v_mov_b32_e32 v5, v2
.LBB116_104:
	s_or_b32 exec_lo, exec_lo, s0
	v_add_nc_u32_e32 v8, 1, v6
	v_add_nc_u32_e32 v10, 1, v7
	s_waitcnt lgkmcnt(0)
	v_and_b32_e32 v11, 0xff, v5
	s_delay_alu instid0(VALU_DEP_3) | instskip(NEXT) | instid1(VALU_DEP_3)
	v_cndmask_b32_e32 v9, v8, v6, vcc_lo
	v_cndmask_b32_e32 v8, v7, v10, vcc_lo
	v_and_b32_e32 v6, 0xff, v4
	s_delay_alu instid0(VALU_DEP_3) | instskip(NEXT) | instid1(VALU_DEP_3)
	v_cmp_lt_i32_e64 s0, 63, v9
	v_cmp_gt_i32_e64 s2, 0x80, v8
	s_delay_alu instid0(VALU_DEP_3) | instskip(NEXT) | instid1(VALU_DEP_1)
	v_cmp_lt_u16_e64 s1, v6, v11
                                        ; implicit-def: $vgpr6
	s_or_b32 s0, s0, s1
	s_delay_alu instid0(VALU_DEP_2) | instid1(SALU_CYCLE_1)
	s_and_b32 s0, s2, s0
	s_delay_alu instid0(SALU_CYCLE_1) | instskip(NEXT) | instid1(SALU_CYCLE_1)
	s_xor_b32 s1, s0, -1
	s_and_saveexec_b32 s2, s1
	s_delay_alu instid0(SALU_CYCLE_1)
	s_xor_b32 s1, exec_lo, s2
	s_cbranch_execz .LBB116_106
; %bb.105:
	v_add_nc_u32_e32 v6, v0, v9
	ds_load_u8 v6, v6 offset:1
.LBB116_106:
	s_or_saveexec_b32 s1, s1
	v_mov_b32_e32 v7, v4
	s_xor_b32 exec_lo, exec_lo, s1
	s_cbranch_execz .LBB116_108
; %bb.107:
	s_waitcnt lgkmcnt(0)
	v_add_nc_u32_e32 v6, v0, v8
	ds_load_u8 v7, v6 offset:1
	v_mov_b32_e32 v6, v5
.LBB116_108:
	s_or_b32 exec_lo, exec_lo, s1
	v_add_nc_u32_e32 v10, 1, v9
	v_add_nc_u32_e32 v12, 1, v8
	s_waitcnt lgkmcnt(0)
	v_and_b32_e32 v13, 0xff, v6
	s_delay_alu instid0(VALU_DEP_3) | instskip(SKIP_2) | instid1(VALU_DEP_3)
	v_cndmask_b32_e64 v11, v10, v9, s0
	v_and_b32_e32 v9, 0xff, v7
	v_cndmask_b32_e64 v10, v8, v12, s0
                                        ; implicit-def: $vgpr8
	v_cmp_lt_i32_e64 s1, 63, v11
	s_delay_alu instid0(VALU_DEP_3) | instskip(NEXT) | instid1(VALU_DEP_3)
	v_cmp_lt_u16_e64 s2, v9, v13
	v_cmp_gt_i32_e64 s3, 0x80, v10
	s_delay_alu instid0(VALU_DEP_2)
	s_or_b32 s1, s1, s2
	s_delay_alu instid0(VALU_DEP_1) | instid1(SALU_CYCLE_1)
	s_and_b32 s1, s3, s1
	s_delay_alu instid0(SALU_CYCLE_1) | instskip(NEXT) | instid1(SALU_CYCLE_1)
	s_xor_b32 s2, s1, -1
	s_and_saveexec_b32 s3, s2
	s_delay_alu instid0(SALU_CYCLE_1)
	s_xor_b32 s2, exec_lo, s3
	s_cbranch_execz .LBB116_110
; %bb.109:
	v_add_nc_u32_e32 v8, v0, v11
	ds_load_u8 v8, v8 offset:1
.LBB116_110:
	s_or_saveexec_b32 s2, s2
	v_mov_b32_e32 v9, v7
	s_xor_b32 exec_lo, exec_lo, s2
	s_cbranch_execz .LBB116_112
; %bb.111:
	s_waitcnt lgkmcnt(0)
	v_add_nc_u32_e32 v8, v0, v10
	ds_load_u8 v9, v8 offset:1
	v_mov_b32_e32 v8, v6
.LBB116_112:
	s_or_b32 exec_lo, exec_lo, s2
	v_add_nc_u32_e32 v12, 1, v11
	v_add_nc_u32_e32 v14, 1, v10
	s_waitcnt lgkmcnt(0)
	v_and_b32_e32 v15, 0xff, v8
	s_delay_alu instid0(VALU_DEP_3) | instskip(SKIP_2) | instid1(VALU_DEP_3)
	v_cndmask_b32_e64 v13, v12, v11, s1
	v_and_b32_e32 v11, 0xff, v9
	v_cndmask_b32_e64 v12, v10, v14, s1
                                        ; implicit-def: $vgpr10
	v_cmp_lt_i32_e64 s2, 63, v13
	s_delay_alu instid0(VALU_DEP_3) | instskip(NEXT) | instid1(VALU_DEP_3)
	v_cmp_lt_u16_e64 s3, v11, v15
	v_cmp_gt_i32_e64 s4, 0x80, v12
	s_delay_alu instid0(VALU_DEP_2)
	s_or_b32 s2, s2, s3
	s_delay_alu instid0(VALU_DEP_1) | instid1(SALU_CYCLE_1)
	s_and_b32 s2, s4, s2
	s_delay_alu instid0(SALU_CYCLE_1) | instskip(NEXT) | instid1(SALU_CYCLE_1)
	s_xor_b32 s3, s2, -1
	s_and_saveexec_b32 s4, s3
	s_delay_alu instid0(SALU_CYCLE_1)
	s_xor_b32 s3, exec_lo, s4
	s_cbranch_execz .LBB116_114
; %bb.113:
	v_add_nc_u32_e32 v10, v0, v13
	ds_load_u8 v10, v10 offset:1
.LBB116_114:
	s_or_saveexec_b32 s3, s3
	v_mov_b32_e32 v11, v9
	s_xor_b32 exec_lo, exec_lo, s3
	s_cbranch_execz .LBB116_116
; %bb.115:
	s_waitcnt lgkmcnt(0)
	v_add_nc_u32_e32 v10, v0, v12
	ds_load_u8 v11, v10 offset:1
	v_mov_b32_e32 v10, v8
.LBB116_116:
	s_or_b32 exec_lo, exec_lo, s3
	v_add_nc_u32_e32 v14, 1, v13
	v_add_nc_u32_e32 v16, 1, v12
	s_waitcnt lgkmcnt(0)
	v_and_b32_e32 v17, 0xff, v10
	s_delay_alu instid0(VALU_DEP_3) | instskip(SKIP_2) | instid1(VALU_DEP_3)
	v_cndmask_b32_e64 v15, v14, v13, s2
	v_and_b32_e32 v13, 0xff, v11
	v_cndmask_b32_e64 v14, v12, v16, s2
                                        ; implicit-def: $vgpr12
	v_cmp_lt_i32_e64 s3, 63, v15
	s_delay_alu instid0(VALU_DEP_3) | instskip(NEXT) | instid1(VALU_DEP_3)
	v_cmp_lt_u16_e64 s4, v13, v17
	v_cmp_gt_i32_e64 s5, 0x80, v14
	s_delay_alu instid0(VALU_DEP_2)
	s_or_b32 s3, s3, s4
	s_delay_alu instid0(VALU_DEP_1) | instid1(SALU_CYCLE_1)
	s_and_b32 s3, s5, s3
	s_delay_alu instid0(SALU_CYCLE_1) | instskip(NEXT) | instid1(SALU_CYCLE_1)
	s_xor_b32 s4, s3, -1
	s_and_saveexec_b32 s5, s4
	s_delay_alu instid0(SALU_CYCLE_1)
	s_xor_b32 s4, exec_lo, s5
	s_cbranch_execz .LBB116_118
; %bb.117:
	v_add_nc_u32_e32 v12, v0, v15
	ds_load_u8 v12, v12 offset:1
.LBB116_118:
	s_or_saveexec_b32 s4, s4
	v_mov_b32_e32 v13, v11
	s_xor_b32 exec_lo, exec_lo, s4
	s_cbranch_execz .LBB116_120
; %bb.119:
	s_waitcnt lgkmcnt(0)
	v_add_nc_u32_e32 v12, v0, v14
	ds_load_u8 v13, v12 offset:1
	v_mov_b32_e32 v12, v10
.LBB116_120:
	s_or_b32 exec_lo, exec_lo, s4
	v_add_nc_u32_e32 v16, 1, v15
	v_add_nc_u32_e32 v18, 1, v14
	s_waitcnt lgkmcnt(0)
	v_and_b32_e32 v19, 0xff, v12
	s_delay_alu instid0(VALU_DEP_3) | instskip(SKIP_2) | instid1(VALU_DEP_3)
	v_cndmask_b32_e64 v17, v16, v15, s3
	v_and_b32_e32 v15, 0xff, v13
	v_cndmask_b32_e64 v16, v14, v18, s3
	v_cmp_lt_i32_e64 s4, 63, v17
	s_delay_alu instid0(VALU_DEP_3) | instskip(NEXT) | instid1(VALU_DEP_3)
	v_cmp_lt_u16_e64 s5, v15, v19
	v_cmp_gt_i32_e64 s6, 0x80, v16
                                        ; implicit-def: $vgpr15
	s_delay_alu instid0(VALU_DEP_2)
	s_or_b32 s4, s4, s5
	s_delay_alu instid0(VALU_DEP_1) | instid1(SALU_CYCLE_1)
	s_and_b32 s4, s6, s4
	s_delay_alu instid0(SALU_CYCLE_1) | instskip(NEXT) | instid1(SALU_CYCLE_1)
	s_xor_b32 s5, s4, -1
	s_and_saveexec_b32 s6, s5
	s_delay_alu instid0(SALU_CYCLE_1)
	s_xor_b32 s5, exec_lo, s6
	s_cbranch_execz .LBB116_122
; %bb.121:
	v_add_nc_u32_e32 v14, v0, v17
	ds_load_u8 v15, v14 offset:1
.LBB116_122:
	s_or_saveexec_b32 s5, s5
	v_mov_b32_e32 v14, v13
	s_xor_b32 exec_lo, exec_lo, s5
	s_cbranch_execz .LBB116_124
; %bb.123:
	v_add_nc_u32_e32 v14, v0, v16
	s_waitcnt lgkmcnt(0)
	v_mov_b32_e32 v15, v12
	ds_load_u8 v14, v14 offset:1
.LBB116_124:
	s_or_b32 exec_lo, exec_lo, s5
	v_add_nc_u32_e32 v18, 1, v17
	v_add_nc_u32_e32 v19, 1, v16
	s_waitcnt lgkmcnt(0)
	v_and_b32_e32 v21, 0xff, v15
	s_delay_alu instid0(VALU_DEP_3) | instskip(SKIP_2) | instid1(VALU_DEP_3)
	v_cndmask_b32_e64 v20, v18, v17, s4
	v_and_b32_e32 v17, 0xff, v14
	v_cndmask_b32_e64 v16, v16, v19, s4
                                        ; implicit-def: $vgpr19
	v_cmp_gt_i32_e64 s5, 64, v20
	s_delay_alu instid0(VALU_DEP_3) | instskip(NEXT) | instid1(VALU_DEP_3)
	v_cmp_ge_u16_e64 s6, v17, v21
	v_cmp_lt_i32_e64 s7, 0x7f, v16
                                        ; implicit-def: $vgpr17
	s_delay_alu instid0(VALU_DEP_2)
	s_and_b32 s5, s5, s6
	s_delay_alu instid0(VALU_DEP_1) | instid1(SALU_CYCLE_1)
	s_or_b32 s5, s7, s5
	s_delay_alu instid0(SALU_CYCLE_1) | instskip(NEXT) | instid1(SALU_CYCLE_1)
	s_and_saveexec_b32 s6, s5
	s_xor_b32 s5, exec_lo, s6
	s_cbranch_execz .LBB116_126
; %bb.125:
	v_add_nc_u32_e32 v0, v0, v20
	v_add_nc_u32_e32 v19, 1, v20
                                        ; implicit-def: $vgpr20
	ds_load_u8 v17, v0 offset:1
                                        ; implicit-def: $vgpr0
.LBB116_126:
	s_or_saveexec_b32 s5, s5
	v_mov_b32_e32 v18, v15
	s_xor_b32 exec_lo, exec_lo, s5
	s_cbranch_execz .LBB116_128
; %bb.127:
	s_waitcnt lgkmcnt(0)
	v_dual_mov_b32 v17, v15 :: v_dual_add_nc_u32 v0, v0, v16
	v_dual_mov_b32 v19, v20 :: v_dual_add_nc_u32 v16, 1, v16
	v_mov_b32_e32 v18, v14
	ds_load_u8 v0, v0 offset:1
	s_waitcnt lgkmcnt(0)
	v_mov_b32_e32 v14, v0
.LBB116_128:
	s_or_b32 exec_lo, exec_lo, s5
	s_waitcnt lgkmcnt(0)
	v_and_b32_e32 v0, 0xff, v17
	s_delay_alu instid0(VALU_DEP_2) | instskip(SKIP_3) | instid1(VALU_DEP_4)
	v_dual_cndmask_b32 v2, v2, v3 :: v_dual_and_b32 v15, 0xff, v14
	v_cndmask_b32_e64 v12, v12, v13, s4
	v_cndmask_b32_e64 v10, v10, v11, s3
	v_cmp_lt_i32_e64 s3, 63, v19
	v_cmp_lt_u16_e64 s4, v15, v0
	v_cndmask_b32_e64 v0, v8, v9, s2
	v_cmp_gt_i32_e64 s2, 0x80, v16
	v_cndmask_b32_e64 v4, v5, v4, s0
	v_cndmask_b32_e64 v3, v6, v7, s1
	s_or_b32 s0, s3, s4
	v_and_b32_e32 v2, 0xff, v2
	s_and_b32 vcc_lo, s2, s0
	v_lshlrev_b16 v4, 8, v4
	v_cndmask_b32_e32 v5, v17, v14, vcc_lo
	v_lshlrev_b16 v0, 8, v0
	v_and_b32_e32 v3, 0xff, v3
	v_lshlrev_b16 v6, 8, v12
	v_and_b32_e32 v7, 0xff, v10
	;; [unrolled: 2-line block ×3, first 2 shown]
	v_or_b32_e32 v2, v2, v4
	v_or_b32_e32 v0, v3, v0
	;; [unrolled: 1-line block ×3, first 2 shown]
	s_add_u32 s0, s10, s12
	v_or_b32_e32 v4, v8, v5
	v_and_b32_e32 v2, 0xffff, v2
	v_lshlrev_b32_e32 v5, 16, v0
	v_and_b32_e32 v3, 0xffff, v3
	s_addc_u32 s1, s11, 0
	v_lshlrev_b32_e32 v4, 16, v4
	v_add_co_u32 v0, s0, s0, v1
	s_delay_alu instid0(VALU_DEP_1) | instskip(SKIP_1) | instid1(VALU_DEP_4)
	v_add_co_ci_u32_e64 v1, null, s1, 0, s0
	v_or_b32_e32 v2, v2, v5
	v_or_b32_e32 v3, v3, v4
	global_store_b64 v[0:1], v[2:3], off
	s_nop 0
	s_sendmsg sendmsg(MSG_DEALLOC_VGPRS)
	s_endpgm
	.section	.rodata,"a",@progbits
	.p2align	6, 0x0
	.amdhsa_kernel _Z9sort_keysILj256ELj16ELj8EhN10test_utils4lessEEvPKT2_PS2_T3_
		.amdhsa_group_segment_fixed_size 2064
		.amdhsa_private_segment_fixed_size 0
		.amdhsa_kernarg_size 20
		.amdhsa_user_sgpr_count 15
		.amdhsa_user_sgpr_dispatch_ptr 0
		.amdhsa_user_sgpr_queue_ptr 0
		.amdhsa_user_sgpr_kernarg_segment_ptr 1
		.amdhsa_user_sgpr_dispatch_id 0
		.amdhsa_user_sgpr_private_segment_size 0
		.amdhsa_wavefront_size32 1
		.amdhsa_uses_dynamic_stack 0
		.amdhsa_enable_private_segment 0
		.amdhsa_system_sgpr_workgroup_id_x 1
		.amdhsa_system_sgpr_workgroup_id_y 0
		.amdhsa_system_sgpr_workgroup_id_z 0
		.amdhsa_system_sgpr_workgroup_info 0
		.amdhsa_system_vgpr_workitem_id 0
		.amdhsa_next_free_vgpr 27
		.amdhsa_next_free_sgpr 16
		.amdhsa_reserve_vcc 1
		.amdhsa_float_round_mode_32 0
		.amdhsa_float_round_mode_16_64 0
		.amdhsa_float_denorm_mode_32 3
		.amdhsa_float_denorm_mode_16_64 3
		.amdhsa_dx10_clamp 1
		.amdhsa_ieee_mode 1
		.amdhsa_fp16_overflow 0
		.amdhsa_workgroup_processor_mode 1
		.amdhsa_memory_ordered 1
		.amdhsa_forward_progress 0
		.amdhsa_shared_vgpr_count 0
		.amdhsa_exception_fp_ieee_invalid_op 0
		.amdhsa_exception_fp_denorm_src 0
		.amdhsa_exception_fp_ieee_div_zero 0
		.amdhsa_exception_fp_ieee_overflow 0
		.amdhsa_exception_fp_ieee_underflow 0
		.amdhsa_exception_fp_ieee_inexact 0
		.amdhsa_exception_int_div_zero 0
	.end_amdhsa_kernel
	.section	.text._Z9sort_keysILj256ELj16ELj8EhN10test_utils4lessEEvPKT2_PS2_T3_,"axG",@progbits,_Z9sort_keysILj256ELj16ELj8EhN10test_utils4lessEEvPKT2_PS2_T3_,comdat
.Lfunc_end116:
	.size	_Z9sort_keysILj256ELj16ELj8EhN10test_utils4lessEEvPKT2_PS2_T3_, .Lfunc_end116-_Z9sort_keysILj256ELj16ELj8EhN10test_utils4lessEEvPKT2_PS2_T3_
                                        ; -- End function
	.section	.AMDGPU.csdata,"",@progbits
; Kernel info:
; codeLenInByte = 8608
; NumSgprs: 18
; NumVgprs: 27
; ScratchSize: 0
; MemoryBound: 0
; FloatMode: 240
; IeeeMode: 1
; LDSByteSize: 2064 bytes/workgroup (compile time only)
; SGPRBlocks: 2
; VGPRBlocks: 3
; NumSGPRsForWavesPerEU: 18
; NumVGPRsForWavesPerEU: 27
; Occupancy: 16
; WaveLimiterHint : 0
; COMPUTE_PGM_RSRC2:SCRATCH_EN: 0
; COMPUTE_PGM_RSRC2:USER_SGPR: 15
; COMPUTE_PGM_RSRC2:TRAP_HANDLER: 0
; COMPUTE_PGM_RSRC2:TGID_X_EN: 1
; COMPUTE_PGM_RSRC2:TGID_Y_EN: 0
; COMPUTE_PGM_RSRC2:TGID_Z_EN: 0
; COMPUTE_PGM_RSRC2:TIDIG_COMP_CNT: 0
	.section	.text._Z10sort_pairsILj256ELj16ELj8EhN10test_utils4lessEEvPKT2_PS2_T3_,"axG",@progbits,_Z10sort_pairsILj256ELj16ELj8EhN10test_utils4lessEEvPKT2_PS2_T3_,comdat
	.protected	_Z10sort_pairsILj256ELj16ELj8EhN10test_utils4lessEEvPKT2_PS2_T3_ ; -- Begin function _Z10sort_pairsILj256ELj16ELj8EhN10test_utils4lessEEvPKT2_PS2_T3_
	.globl	_Z10sort_pairsILj256ELj16ELj8EhN10test_utils4lessEEvPKT2_PS2_T3_
	.p2align	8
	.type	_Z10sort_pairsILj256ELj16ELj8EhN10test_utils4lessEEvPKT2_PS2_T3_,@function
_Z10sort_pairsILj256ELj16ELj8EhN10test_utils4lessEEvPKT2_PS2_T3_: ; @_Z10sort_pairsILj256ELj16ELj8EhN10test_utils4lessEEvPKT2_PS2_T3_
; %bb.0:
	s_load_b128 s[36:39], s[0:1], 0x0
	s_lshl_b32 s40, s15, 11
	v_lshlrev_b32_e32 v3, 3, v0
	v_lshrrev_b32_e32 v0, 4, v0
	s_mov_b32 s28, 0
	s_mov_b32 s29, exec_lo
	s_waitcnt lgkmcnt(0)
	s_add_u32 s0, s36, s40
	s_addc_u32 s1, s37, 0
	global_load_b64 v[1:2], v3, s[0:1]
	; wave barrier
	s_waitcnt vmcnt(0)
	v_lshrrev_b32_e32 v7, 8, v1
	v_and_b32_e32 v4, 0xff, v1
	v_perm_b32 v6, v1, v1, 0x3020405
	v_lshrrev_b32_e32 v8, 8, v2
	v_and_b32_e32 v11, 0xff, v2
	v_and_b32_e32 v5, 0xff, v7
	v_perm_b32 v10, v2, v2, 0x7060405
	s_delay_alu instid0(VALU_DEP_4) | instskip(NEXT) | instid1(VALU_DEP_3)
	v_and_b32_e32 v12, 0xff, v8
	v_cmp_lt_u16_e32 vcc_lo, v5, v4
	s_delay_alu instid0(VALU_DEP_2) | instskip(SKIP_1) | instid1(VALU_DEP_1)
	v_cmp_lt_u16_e64 s1, v12, v11
	v_cndmask_b32_e32 v4, v1, v6, vcc_lo
	v_lshrrev_b32_e32 v5, 16, v4
	v_lshrrev_b32_e32 v9, 24, v4
	s_delay_alu instid0(VALU_DEP_2) | instskip(SKIP_1) | instid1(VALU_DEP_2)
	v_perm_b32 v6, 0, v5, 0xc0c0001
	v_and_b32_e32 v5, 0xff, v5
	v_lshlrev_b32_e32 v6, 16, v6
	s_delay_alu instid0(VALU_DEP_2) | instskip(SKIP_1) | instid1(VALU_DEP_3)
	v_cmp_lt_u16_e64 s0, v9, v5
	v_cndmask_b32_e64 v5, v2, v10, s1
	v_and_or_b32 v6, 0xffff, v4, v6
	s_delay_alu instid0(VALU_DEP_2) | instskip(SKIP_2) | instid1(VALU_DEP_4)
	v_lshrrev_b32_e32 v10, 16, v5
	v_lshrrev_b32_e32 v12, 24, v5
	v_perm_b32 v13, v5, v5, 0x6070504
	v_cndmask_b32_e64 v4, v4, v6, s0
	s_delay_alu instid0(VALU_DEP_4) | instskip(NEXT) | instid1(VALU_DEP_2)
	v_and_b32_e32 v10, 0xff, v10
	v_lshrrev_b32_e32 v6, 16, v4
	v_lshrrev_b32_e32 v9, 8, v4
	v_perm_b32 v11, v4, v4, 0x7050604
	s_delay_alu instid0(VALU_DEP_4) | instskip(NEXT) | instid1(VALU_DEP_4)
	v_cmp_lt_u16_e64 s4, v12, v10
	v_and_b32_e32 v6, 0xff, v6
	s_delay_alu instid0(VALU_DEP_4) | instskip(NEXT) | instid1(VALU_DEP_3)
	v_and_b32_e32 v9, 0xff, v9
	v_cndmask_b32_e64 v5, v5, v13, s4
	s_delay_alu instid0(VALU_DEP_2) | instskip(NEXT) | instid1(VALU_DEP_2)
	v_cmp_lt_u16_e64 s3, v6, v9
	v_lshlrev_b16 v9, 8, v5
	s_delay_alu instid0(VALU_DEP_2) | instskip(NEXT) | instid1(VALU_DEP_1)
	v_cndmask_b32_e64 v4, v4, v11, s3
	v_lshrrev_b32_e32 v6, 16, v4
	v_lshrrev_b32_e32 v10, 24, v4
	s_delay_alu instid0(VALU_DEP_2) | instskip(NEXT) | instid1(VALU_DEP_1)
	v_and_b32_e32 v6, 0xff, v6
	v_or_b32_e32 v6, v6, v9
	v_and_b32_e32 v9, 0xff, v5
	s_delay_alu instid0(VALU_DEP_2) | instskip(NEXT) | instid1(VALU_DEP_2)
	v_lshlrev_b32_e32 v6, 16, v6
	v_cmp_lt_u16_e64 s2, v9, v10
	s_delay_alu instid0(VALU_DEP_2) | instskip(NEXT) | instid1(VALU_DEP_1)
	v_and_or_b32 v6, 0xffff, v4, v6
	v_cndmask_b32_e64 v6, v4, v6, s2
	v_perm_b32 v4, v4, v5, 0x3020107
	s_delay_alu instid0(VALU_DEP_2) | instskip(SKIP_2) | instid1(VALU_DEP_4)
	v_lshrrev_b32_e32 v9, 8, v6
	v_perm_b32 v10, 0, v6, 0xc0c0001
	v_and_b32_e32 v11, 0xff, v6
	v_cndmask_b32_e64 v4, v5, v4, s2
	s_delay_alu instid0(VALU_DEP_4) | instskip(NEXT) | instid1(VALU_DEP_4)
	v_and_b32_e32 v9, 0xff, v9
	v_and_or_b32 v10, 0xffff0000, v6, v10
	s_delay_alu instid0(VALU_DEP_2) | instskip(NEXT) | instid1(VALU_DEP_4)
	v_cmp_lt_u16_e64 s5, v9, v11
	v_lshrrev_b32_e32 v9, 8, v4
	v_perm_b32 v11, v4, v4, 0x7050604
	s_delay_alu instid0(VALU_DEP_3) | instskip(SKIP_1) | instid1(VALU_DEP_4)
	v_cndmask_b32_e64 v5, v6, v10, s5
	v_lshrrev_b32_e32 v6, 16, v4
	v_and_b32_e32 v9, 0xff, v9
	s_delay_alu instid0(VALU_DEP_3) | instskip(NEXT) | instid1(VALU_DEP_3)
	v_lshrrev_b32_e32 v10, 16, v5
	v_and_b32_e32 v6, 0xff, v6
	s_delay_alu instid0(VALU_DEP_2) | instskip(NEXT) | instid1(VALU_DEP_2)
	v_perm_b32 v12, 0, v10, 0xc0c0001
	v_cmp_lt_u16_e64 s6, v6, v9
	v_lshrrev_b32_e32 v9, 24, v5
	v_and_b32_e32 v10, 0xff, v10
	s_delay_alu instid0(VALU_DEP_4) | instskip(NEXT) | instid1(VALU_DEP_4)
	v_lshlrev_b32_e32 v6, 16, v12
	v_cndmask_b32_e64 v4, v4, v11, s6
	s_delay_alu instid0(VALU_DEP_3) | instskip(NEXT) | instid1(VALU_DEP_3)
	v_cmp_lt_u16_e64 s8, v9, v10
	v_and_or_b32 v6, 0xffff, v5, v6
	s_delay_alu instid0(VALU_DEP_3) | instskip(SKIP_2) | instid1(VALU_DEP_4)
	v_lshrrev_b32_e32 v11, 8, v4
	v_and_b32_e32 v13, 0xff, v4
	v_perm_b32 v12, v4, v4, 0x7060405
	v_cndmask_b32_e64 v5, v5, v6, s8
	s_delay_alu instid0(VALU_DEP_4) | instskip(NEXT) | instid1(VALU_DEP_2)
	v_and_b32_e32 v11, 0xff, v11
	v_lshrrev_b32_e32 v6, 16, v5
	s_delay_alu instid0(VALU_DEP_2) | instskip(SKIP_2) | instid1(VALU_DEP_4)
	v_cmp_lt_u16_e64 s10, v11, v13
	v_lshrrev_b32_e32 v9, 8, v5
	v_perm_b32 v11, v5, v5, 0x7050604
	v_and_b32_e32 v6, 0xff, v6
	s_delay_alu instid0(VALU_DEP_4) | instskip(NEXT) | instid1(VALU_DEP_4)
	v_cndmask_b32_e64 v4, v4, v12, s10
	v_and_b32_e32 v9, 0xff, v9
	s_delay_alu instid0(VALU_DEP_2) | instskip(SKIP_1) | instid1(VALU_DEP_3)
	v_lshrrev_b32_e32 v10, 16, v4
	v_lshrrev_b32_e32 v12, 24, v4
	v_cmp_lt_u16_e64 s15, v6, v9
	v_perm_b32 v13, v4, v4, 0x6070504
	s_delay_alu instid0(VALU_DEP_4) | instskip(NEXT) | instid1(VALU_DEP_3)
	v_and_b32_e32 v10, 0xff, v10
	v_cndmask_b32_e64 v5, v5, v11, s15
	s_delay_alu instid0(VALU_DEP_2) | instskip(NEXT) | instid1(VALU_DEP_2)
	v_cmp_lt_u16_e64 s16, v12, v10
	v_lshrrev_b32_e32 v6, 16, v5
	v_lshrrev_b32_e32 v10, 24, v5
	s_delay_alu instid0(VALU_DEP_3) | instskip(NEXT) | instid1(VALU_DEP_3)
	v_cndmask_b32_e64 v4, v4, v13, s16
	v_and_b32_e32 v6, 0xff, v6
	s_delay_alu instid0(VALU_DEP_2) | instskip(NEXT) | instid1(VALU_DEP_1)
	v_lshlrev_b16 v9, 8, v4
	v_or_b32_e32 v6, v6, v9
	v_and_b32_e32 v9, 0xff, v4
	s_delay_alu instid0(VALU_DEP_2) | instskip(NEXT) | instid1(VALU_DEP_2)
	v_lshlrev_b32_e32 v6, 16, v6
	v_cmp_lt_u16_e64 s13, v9, v10
	s_delay_alu instid0(VALU_DEP_2) | instskip(NEXT) | instid1(VALU_DEP_1)
	v_and_or_b32 v6, 0xffff, v5, v6
	v_cndmask_b32_e64 v6, v5, v6, s13
	v_perm_b32 v5, v5, v4, 0x3020107
	s_delay_alu instid0(VALU_DEP_2) | instskip(SKIP_2) | instid1(VALU_DEP_4)
	v_lshrrev_b32_e32 v9, 8, v6
	v_perm_b32 v10, 0, v6, 0xc0c0001
	v_and_b32_e32 v11, 0xff, v6
	v_cndmask_b32_e64 v4, v4, v5, s13
	s_delay_alu instid0(VALU_DEP_4) | instskip(NEXT) | instid1(VALU_DEP_4)
	v_and_b32_e32 v9, 0xff, v9
	v_and_or_b32 v10, 0xffff0000, v6, v10
	s_delay_alu instid0(VALU_DEP_2) | instskip(NEXT) | instid1(VALU_DEP_4)
	v_cmp_lt_u16_e64 s18, v9, v11
	v_lshrrev_b32_e32 v9, 8, v4
	v_perm_b32 v11, v4, v4, 0x7050604
	s_delay_alu instid0(VALU_DEP_3) | instskip(SKIP_1) | instid1(VALU_DEP_4)
	v_cndmask_b32_e64 v5, v6, v10, s18
	v_lshrrev_b32_e32 v6, 16, v4
	v_and_b32_e32 v9, 0xff, v9
	s_delay_alu instid0(VALU_DEP_3) | instskip(NEXT) | instid1(VALU_DEP_3)
	v_lshrrev_b32_e32 v10, 16, v5
	v_and_b32_e32 v6, 0xff, v6
	s_delay_alu instid0(VALU_DEP_2) | instskip(NEXT) | instid1(VALU_DEP_2)
	v_perm_b32 v12, 0, v10, 0xc0c0001
	v_cmp_lt_u16_e64 s19, v6, v9
	v_lshrrev_b32_e32 v9, 24, v5
	v_and_b32_e32 v10, 0xff, v10
	s_delay_alu instid0(VALU_DEP_4) | instskip(NEXT) | instid1(VALU_DEP_4)
	v_lshlrev_b32_e32 v6, 16, v12
	v_cndmask_b32_e64 v4, v4, v11, s19
	s_delay_alu instid0(VALU_DEP_3) | instskip(NEXT) | instid1(VALU_DEP_3)
	v_cmp_lt_u16_e64 s21, v9, v10
	v_and_or_b32 v6, 0xffff, v5, v6
	s_delay_alu instid0(VALU_DEP_3) | instskip(SKIP_2) | instid1(VALU_DEP_4)
	v_lshrrev_b32_e32 v11, 8, v4
	v_and_b32_e32 v13, 0xff, v4
	v_perm_b32 v12, v4, v4, 0x7060405
	v_cndmask_b32_e64 v5, v5, v6, s21
	s_delay_alu instid0(VALU_DEP_4) | instskip(NEXT) | instid1(VALU_DEP_2)
	v_and_b32_e32 v11, 0xff, v11
	v_lshrrev_b32_e32 v6, 16, v5
	s_delay_alu instid0(VALU_DEP_2) | instskip(SKIP_2) | instid1(VALU_DEP_4)
	v_cmp_lt_u16_e64 s22, v11, v13
	v_lshrrev_b32_e32 v9, 8, v5
	v_perm_b32 v11, v5, v5, 0x7050604
	v_and_b32_e32 v6, 0xff, v6
	s_delay_alu instid0(VALU_DEP_4) | instskip(NEXT) | instid1(VALU_DEP_4)
	v_cndmask_b32_e64 v4, v4, v12, s22
	v_and_b32_e32 v9, 0xff, v9
	s_delay_alu instid0(VALU_DEP_2) | instskip(SKIP_1) | instid1(VALU_DEP_3)
	v_lshrrev_b32_e32 v10, 16, v4
	v_lshrrev_b32_e32 v12, 24, v4
	v_cmp_lt_u16_e64 s24, v6, v9
	v_perm_b32 v13, v4, v4, 0x6070504
	s_delay_alu instid0(VALU_DEP_4) | instskip(NEXT) | instid1(VALU_DEP_3)
	v_and_b32_e32 v10, 0xff, v10
	v_cndmask_b32_e64 v5, v5, v11, s24
	s_delay_alu instid0(VALU_DEP_2) | instskip(NEXT) | instid1(VALU_DEP_2)
	v_cmp_lt_u16_e64 s25, v12, v10
	v_lshrrev_b32_e32 v6, 16, v5
	v_lshrrev_b32_e32 v10, 24, v5
	s_delay_alu instid0(VALU_DEP_3) | instskip(NEXT) | instid1(VALU_DEP_3)
	v_cndmask_b32_e64 v4, v4, v13, s25
	v_and_b32_e32 v6, 0xff, v6
	s_delay_alu instid0(VALU_DEP_2) | instskip(NEXT) | instid1(VALU_DEP_1)
	v_lshlrev_b16 v9, 8, v4
	v_or_b32_e32 v6, v6, v9
	v_and_b32_e32 v9, 0xff, v4
	s_delay_alu instid0(VALU_DEP_2) | instskip(NEXT) | instid1(VALU_DEP_2)
	v_lshlrev_b32_e32 v6, 16, v6
	v_cmp_lt_u16_e64 s20, v9, v10
	s_delay_alu instid0(VALU_DEP_2) | instskip(NEXT) | instid1(VALU_DEP_1)
	v_and_or_b32 v6, 0xffff, v5, v6
	v_cndmask_b32_e64 v6, v5, v6, s20
	v_perm_b32 v5, v5, v4, 0x3020107
	s_delay_alu instid0(VALU_DEP_2) | instskip(SKIP_2) | instid1(VALU_DEP_4)
	v_lshrrev_b32_e32 v9, 8, v6
	v_perm_b32 v10, 0, v6, 0xc0c0001
	v_and_b32_e32 v11, 0xff, v6
	v_cndmask_b32_e64 v4, v4, v5, s20
	s_delay_alu instid0(VALU_DEP_4) | instskip(NEXT) | instid1(VALU_DEP_4)
	v_and_b32_e32 v9, 0xff, v9
	v_and_or_b32 v10, 0xffff0000, v6, v10
	s_delay_alu instid0(VALU_DEP_2) | instskip(NEXT) | instid1(VALU_DEP_4)
	v_cmp_lt_u16_e64 s26, v9, v11
	v_lshrrev_b32_e32 v9, 8, v4
	v_perm_b32 v11, v4, v4, 0x7050604
	s_delay_alu instid0(VALU_DEP_3) | instskip(SKIP_1) | instid1(VALU_DEP_4)
	v_cndmask_b32_e64 v5, v6, v10, s26
	v_lshrrev_b32_e32 v6, 16, v4
	v_and_b32_e32 v9, 0xff, v9
	s_delay_alu instid0(VALU_DEP_3) | instskip(NEXT) | instid1(VALU_DEP_3)
	v_lshrrev_b32_e32 v10, 16, v5
	v_and_b32_e32 v6, 0xff, v6
	s_delay_alu instid0(VALU_DEP_2) | instskip(NEXT) | instid1(VALU_DEP_2)
	v_perm_b32 v12, 0, v10, 0xc0c0001
	v_cmp_lt_u16_e64 s7, v6, v9
	v_lshrrev_b32_e32 v9, 24, v5
	v_and_b32_e32 v10, 0xff, v10
	s_delay_alu instid0(VALU_DEP_4) | instskip(NEXT) | instid1(VALU_DEP_4)
	v_lshlrev_b32_e32 v6, 16, v12
	v_cndmask_b32_e64 v4, v4, v11, s7
	s_delay_alu instid0(VALU_DEP_3) | instskip(NEXT) | instid1(VALU_DEP_3)
	v_cmp_lt_u16_e64 s11, v9, v10
	v_and_or_b32 v6, 0xffff, v5, v6
	s_delay_alu instid0(VALU_DEP_3) | instskip(SKIP_2) | instid1(VALU_DEP_4)
	v_lshrrev_b32_e32 v11, 8, v4
	v_and_b32_e32 v13, 0xff, v4
	v_perm_b32 v12, v4, v4, 0x7060405
	v_cndmask_b32_e64 v5, v5, v6, s11
	s_delay_alu instid0(VALU_DEP_4) | instskip(NEXT) | instid1(VALU_DEP_2)
	v_and_b32_e32 v11, 0xff, v11
	v_lshrrev_b32_e32 v6, 16, v5
	s_delay_alu instid0(VALU_DEP_2) | instskip(SKIP_2) | instid1(VALU_DEP_4)
	v_cmp_lt_u16_e64 s9, v11, v13
	v_lshrrev_b32_e32 v9, 8, v5
	v_perm_b32 v11, v5, v5, 0x7050604
	v_and_b32_e32 v6, 0xff, v6
	s_delay_alu instid0(VALU_DEP_4) | instskip(NEXT) | instid1(VALU_DEP_4)
	v_cndmask_b32_e64 v4, v4, v12, s9
	v_and_b32_e32 v9, 0xff, v9
	s_delay_alu instid0(VALU_DEP_2) | instskip(SKIP_1) | instid1(VALU_DEP_3)
	v_lshrrev_b32_e32 v10, 16, v4
	v_lshrrev_b32_e32 v12, 24, v4
	v_cmp_lt_u16_e64 s14, v6, v9
	v_perm_b32 v13, v4, v4, 0x6070504
	s_delay_alu instid0(VALU_DEP_4) | instskip(NEXT) | instid1(VALU_DEP_3)
	v_and_b32_e32 v10, 0xff, v10
	v_cndmask_b32_e64 v5, v5, v11, s14
	s_delay_alu instid0(VALU_DEP_2) | instskip(SKIP_1) | instid1(VALU_DEP_3)
	v_cmp_lt_u16_e64 s12, v12, v10
	v_mbcnt_lo_u32_b32 v10, -1, 0
	v_lshrrev_b32_e32 v6, 16, v5
	v_lshrrev_b32_e32 v12, 24, v5
	s_delay_alu instid0(VALU_DEP_4) | instskip(NEXT) | instid1(VALU_DEP_3)
	v_cndmask_b32_e64 v4, v4, v13, s12
	v_and_b32_e32 v6, 0xff, v6
	s_delay_alu instid0(VALU_DEP_2) | instskip(SKIP_1) | instid1(VALU_DEP_2)
	v_lshlrev_b16 v9, 8, v4
	v_perm_b32 v13, v5, v4, 0x3020107
	v_or_b32_e32 v9, v6, v9
	v_lshlrev_b32_e32 v6, 3, v10
	v_and_b32_e32 v10, 0xff, v4
	s_delay_alu instid0(VALU_DEP_3) | instskip(NEXT) | instid1(VALU_DEP_3)
	v_lshlrev_b32_e32 v9, 16, v9
	v_and_b32_e32 v11, 0x70, v6
	s_delay_alu instid0(VALU_DEP_3) | instskip(NEXT) | instid1(VALU_DEP_3)
	v_cmp_lt_u16_e64 s17, v10, v12
	v_and_or_b32 v14, 0xffff, v5, v9
	s_delay_alu instid0(VALU_DEP_3) | instskip(SKIP_1) | instid1(VALU_DEP_4)
	v_or_b32_e32 v10, 8, v11
	v_add_nc_u32_e32 v9, 16, v11
	v_cndmask_b32_e64 v13, v4, v13, s17
	s_delay_alu instid0(VALU_DEP_4) | instskip(SKIP_1) | instid1(VALU_DEP_4)
	v_cndmask_b32_e64 v16, v5, v14, s17
	v_and_b32_e32 v14, 8, v6
	v_sub_nc_u32_e32 v15, v9, v10
	s_delay_alu instid0(VALU_DEP_4)
	v_lshrrev_b32_e32 v12, 16, v13
	v_lshrrev_b32_e32 v17, 8, v13
	v_and_b32_e32 v5, 0x78, v6
	v_sub_nc_u32_e32 v18, v10, v11
	v_sub_nc_u32_e32 v19, v14, v15
	v_and_b32_e32 v20, 0xff, v12
	v_and_b32_e32 v17, 0xff, v17
	v_cmp_ge_i32_e64 s23, v14, v15
	v_perm_b32 v21, v13, v13, 0x7050604
	v_mad_u32_u24 v4, 0x81, v0, v5
	v_min_i32_e32 v12, v14, v18
	v_mul_u32_u24_e32 v0, 0x81, v0
	v_cndmask_b32_e64 v15, 0, v19, s23
	v_cmp_lt_u16_e64 s23, v20, v17
	s_delay_alu instid0(VALU_DEP_1)
	v_cndmask_b32_e64 v17, v13, v21, s23
	ds_store_b64 v4, v[16:17]
	; wave barrier
	v_cmpx_lt_i32_e64 v15, v12
	s_cbranch_execz .LBB117_4
; %bb.1:
	v_add_nc_u32_e32 v13, v0, v11
	s_delay_alu instid0(VALU_DEP_1)
	v_add3_u32 v16, v13, v14, 8
	.p2align	6
.LBB117_2:                              ; =>This Inner Loop Header: Depth=1
	v_sub_nc_u32_e32 v17, v12, v15
	s_delay_alu instid0(VALU_DEP_1) | instskip(NEXT) | instid1(VALU_DEP_1)
	v_lshrrev_b32_e32 v18, 31, v17
	v_add_nc_u32_e32 v17, v17, v18
	s_delay_alu instid0(VALU_DEP_1) | instskip(NEXT) | instid1(VALU_DEP_1)
	v_ashrrev_i32_e32 v17, 1, v17
	v_add_nc_u32_e32 v17, v17, v15
	s_delay_alu instid0(VALU_DEP_1)
	v_add_nc_u32_e32 v18, v13, v17
	v_xad_u32 v19, v17, -1, v16
	v_add_nc_u32_e32 v20, 1, v17
	ds_load_u8 v18, v18
	ds_load_u8 v19, v19
	s_waitcnt lgkmcnt(0)
	v_cmp_lt_u16_e64 s27, v19, v18
	s_delay_alu instid0(VALU_DEP_1) | instskip(SKIP_1) | instid1(VALU_DEP_1)
	v_cndmask_b32_e64 v12, v12, v17, s27
	v_cndmask_b32_e64 v15, v20, v15, s27
	v_cmp_ge_i32_e64 s27, v15, v12
	s_delay_alu instid0(VALU_DEP_1) | instskip(NEXT) | instid1(SALU_CYCLE_1)
	s_or_b32 s28, s27, s28
	s_and_not1_b32 exec_lo, exec_lo, s28
	s_cbranch_execnz .LBB117_2
; %bb.3:
	s_or_b32 exec_lo, exec_lo, s28
.LBB117_4:
	s_delay_alu instid0(SALU_CYCLE_1)
	s_or_b32 exec_lo, exec_lo, s29
	v_add_nc_u32_e32 v12, v11, v14
	v_add_nc_u32_e32 v11, v15, v11
	;; [unrolled: 1-line block ×3, first 2 shown]
	v_cmp_lt_i32_e64 s27, 7, v15
	v_lshrrev_b32_e32 v26, 16, v1
	v_sub_nc_u32_e32 v12, v12, v15
	v_add_nc_u32_e32 v18, v0, v11
	v_sub_nc_u32_e32 v14, v14, v15
	v_lshrrev_b32_e32 v27, 24, v1
	v_lshrrev_b32_e32 v24, 16, v2
	v_add_nc_u32_e32 v17, v0, v12
	v_lshrrev_b32_e32 v25, 24, v2
	v_cmp_gt_i32_e64 s29, v9, v14
                                        ; implicit-def: $vgpr15
	ds_load_u8 v12, v18
	ds_load_u8 v13, v17 offset:8
	s_waitcnt lgkmcnt(1)
	v_and_b32_e32 v16, 0xff, v12
	s_waitcnt lgkmcnt(0)
	v_and_b32_e32 v19, 0xff, v13
	s_delay_alu instid0(VALU_DEP_1) | instskip(NEXT) | instid1(VALU_DEP_1)
	v_cmp_lt_u16_e64 s28, v19, v16
                                        ; implicit-def: $vgpr16
	s_or_b32 s27, s27, s28
	s_delay_alu instid0(SALU_CYCLE_1) | instskip(NEXT) | instid1(SALU_CYCLE_1)
	s_and_b32 s27, s29, s27
	s_xor_b32 s28, s27, -1
	s_delay_alu instid0(SALU_CYCLE_1) | instskip(NEXT) | instid1(SALU_CYCLE_1)
	s_and_saveexec_b32 s29, s28
	s_xor_b32 s28, exec_lo, s29
	s_cbranch_execz .LBB117_6
; %bb.5:
	ds_load_u8 v16, v18 offset:1
	v_mov_b32_e32 v15, v13
                                        ; implicit-def: $vgpr17
.LBB117_6:
	s_and_not1_saveexec_b32 s28, s28
	s_cbranch_execz .LBB117_8
; %bb.7:
	ds_load_u8 v15, v17 offset:9
	s_waitcnt lgkmcnt(1)
	v_mov_b32_e32 v16, v12
.LBB117_8:
	s_or_b32 exec_lo, exec_lo, s28
	v_add_nc_u32_e32 v17, 1, v11
	v_add_nc_u32_e32 v18, 1, v14
	s_waitcnt lgkmcnt(0)
	v_and_b32_e32 v19, 0xff, v16
	v_and_b32_e32 v20, 0xff, v15
	v_cndmask_b32_e64 v17, v17, v11, s27
	v_cndmask_b32_e64 v18, v14, v18, s27
	s_delay_alu instid0(VALU_DEP_3) | instskip(NEXT) | instid1(VALU_DEP_3)
	v_cmp_lt_u16_e64 s29, v20, v19
                                        ; implicit-def: $vgpr19
	v_cmp_ge_i32_e64 s28, v17, v10
	s_delay_alu instid0(VALU_DEP_3) | instskip(NEXT) | instid1(VALU_DEP_2)
	v_cmp_lt_i32_e64 s30, v18, v9
	s_or_b32 s28, s28, s29
	s_delay_alu instid0(VALU_DEP_1) | instid1(SALU_CYCLE_1)
	s_and_b32 s28, s30, s28
	s_delay_alu instid0(SALU_CYCLE_1) | instskip(NEXT) | instid1(SALU_CYCLE_1)
	s_xor_b32 s29, s28, -1
	s_and_saveexec_b32 s30, s29
	s_delay_alu instid0(SALU_CYCLE_1)
	s_xor_b32 s29, exec_lo, s30
	s_cbranch_execz .LBB117_10
; %bb.9:
	v_add_nc_u32_e32 v19, v0, v17
	ds_load_u8 v19, v19 offset:1
.LBB117_10:
	s_or_saveexec_b32 s29, s29
	v_mov_b32_e32 v20, v15
	s_xor_b32 exec_lo, exec_lo, s29
	s_cbranch_execz .LBB117_12
; %bb.11:
	s_waitcnt lgkmcnt(0)
	v_add_nc_u32_e32 v19, v0, v18
	ds_load_u8 v20, v19 offset:1
	v_mov_b32_e32 v19, v16
.LBB117_12:
	s_or_b32 exec_lo, exec_lo, s29
	v_add_nc_u32_e32 v21, 1, v17
	v_add_nc_u32_e32 v22, 1, v18
	s_waitcnt lgkmcnt(0)
	v_and_b32_e32 v23, 0xff, v19
	v_and_b32_e32 v28, 0xff, v20
	v_cndmask_b32_e64 v21, v21, v17, s28
	v_cndmask_b32_e64 v22, v18, v22, s28
	s_delay_alu instid0(VALU_DEP_3) | instskip(NEXT) | instid1(VALU_DEP_3)
	v_cmp_lt_u16_e64 s30, v28, v23
                                        ; implicit-def: $vgpr23
	v_cmp_ge_i32_e64 s29, v21, v10
	s_delay_alu instid0(VALU_DEP_3) | instskip(NEXT) | instid1(VALU_DEP_2)
	v_cmp_lt_i32_e64 s31, v22, v9
	s_or_b32 s29, s29, s30
	s_delay_alu instid0(VALU_DEP_1) | instid1(SALU_CYCLE_1)
	s_and_b32 s29, s31, s29
	s_delay_alu instid0(SALU_CYCLE_1) | instskip(NEXT) | instid1(SALU_CYCLE_1)
	s_xor_b32 s30, s29, -1
	s_and_saveexec_b32 s31, s30
	s_delay_alu instid0(SALU_CYCLE_1)
	s_xor_b32 s30, exec_lo, s31
	s_cbranch_execz .LBB117_14
; %bb.13:
	v_add_nc_u32_e32 v23, v0, v21
	ds_load_u8 v23, v23 offset:1
.LBB117_14:
	s_or_saveexec_b32 s30, s30
	v_mov_b32_e32 v28, v20
	s_xor_b32 exec_lo, exec_lo, s30
	s_cbranch_execz .LBB117_16
; %bb.15:
	s_waitcnt lgkmcnt(0)
	v_add_nc_u32_e32 v23, v0, v22
	ds_load_u8 v28, v23 offset:1
	v_mov_b32_e32 v23, v19
.LBB117_16:
	s_or_b32 exec_lo, exec_lo, s30
	v_add_nc_u32_e32 v29, 1, v21
	v_add_nc_u32_e32 v30, 1, v22
	s_waitcnt lgkmcnt(0)
	v_and_b32_e32 v31, 0xff, v23
	v_and_b32_e32 v32, 0xff, v28
	v_cndmask_b32_e64 v29, v29, v21, s29
	v_cndmask_b32_e64 v30, v22, v30, s29
	s_delay_alu instid0(VALU_DEP_3) | instskip(NEXT) | instid1(VALU_DEP_3)
	v_cmp_lt_u16_e64 s31, v32, v31
                                        ; implicit-def: $vgpr31
	v_cmp_ge_i32_e64 s30, v29, v10
	s_delay_alu instid0(VALU_DEP_3) | instskip(NEXT) | instid1(VALU_DEP_2)
	v_cmp_lt_i32_e64 s33, v30, v9
	s_or_b32 s30, s30, s31
	s_delay_alu instid0(VALU_DEP_1) | instid1(SALU_CYCLE_1)
	s_and_b32 s30, s33, s30
	s_delay_alu instid0(SALU_CYCLE_1) | instskip(NEXT) | instid1(SALU_CYCLE_1)
	s_xor_b32 s31, s30, -1
	s_and_saveexec_b32 s33, s31
	s_delay_alu instid0(SALU_CYCLE_1)
	s_xor_b32 s31, exec_lo, s33
	s_cbranch_execz .LBB117_18
; %bb.17:
	v_add_nc_u32_e32 v31, v0, v29
	ds_load_u8 v31, v31 offset:1
.LBB117_18:
	s_or_saveexec_b32 s31, s31
	v_mov_b32_e32 v33, v28
	s_xor_b32 exec_lo, exec_lo, s31
	s_cbranch_execz .LBB117_20
; %bb.19:
	s_waitcnt lgkmcnt(0)
	v_add_nc_u32_e32 v31, v0, v30
	ds_load_u8 v33, v31 offset:1
	v_mov_b32_e32 v31, v23
.LBB117_20:
	s_or_b32 exec_lo, exec_lo, s31
	v_add_nc_u32_e32 v32, 1, v29
	v_add_nc_u32_e32 v34, 1, v30
	s_waitcnt lgkmcnt(0)
	v_and_b32_e32 v35, 0xff, v31
                                        ; implicit-def: $vgpr39
	s_delay_alu instid0(VALU_DEP_3) | instskip(SKIP_2) | instid1(VALU_DEP_3)
	v_cndmask_b32_e64 v37, v32, v29, s30
	v_and_b32_e32 v32, 0xff, v33
	v_cndmask_b32_e64 v38, v30, v34, s30
	v_cmp_ge_i32_e64 s31, v37, v10
	s_delay_alu instid0(VALU_DEP_3) | instskip(NEXT) | instid1(VALU_DEP_3)
	v_cmp_lt_u16_e64 s33, v32, v35
	v_cmp_lt_i32_e64 s34, v38, v9
	s_delay_alu instid0(VALU_DEP_2)
	s_or_b32 s31, s31, s33
	s_delay_alu instid0(VALU_DEP_1) | instid1(SALU_CYCLE_1)
	s_and_b32 s33, s34, s31
	s_delay_alu instid0(SALU_CYCLE_1) | instskip(NEXT) | instid1(SALU_CYCLE_1)
	s_xor_b32 s31, s33, -1
	s_and_saveexec_b32 s34, s31
	s_delay_alu instid0(SALU_CYCLE_1)
	s_xor_b32 s31, exec_lo, s34
	s_cbranch_execz .LBB117_22
; %bb.21:
	v_add_nc_u32_e32 v32, v0, v37
	ds_load_u8 v39, v32 offset:1
.LBB117_22:
	s_or_saveexec_b32 s31, s31
	v_mov_b32_e32 v40, v33
	s_xor_b32 exec_lo, exec_lo, s31
	s_cbranch_execz .LBB117_24
; %bb.23:
	s_waitcnt lgkmcnt(0)
	v_dual_mov_b32 v39, v31 :: v_dual_add_nc_u32 v32, v0, v38
	ds_load_u8 v40, v32 offset:1
.LBB117_24:
	s_or_b32 exec_lo, exec_lo, s31
	v_add_nc_u32_e32 v32, 1, v37
	v_add_nc_u32_e32 v34, 1, v38
	s_waitcnt lgkmcnt(0)
	v_and_b32_e32 v35, 0xff, v39
                                        ; implicit-def: $vgpr43
	s_delay_alu instid0(VALU_DEP_3) | instskip(SKIP_2) | instid1(VALU_DEP_3)
	v_cndmask_b32_e64 v41, v32, v37, s33
	v_and_b32_e32 v32, 0xff, v40
	v_cndmask_b32_e64 v42, v38, v34, s33
	v_cmp_ge_i32_e64 s31, v41, v10
	s_delay_alu instid0(VALU_DEP_3) | instskip(NEXT) | instid1(VALU_DEP_3)
	v_cmp_lt_u16_e64 s34, v32, v35
	v_cmp_lt_i32_e64 s35, v42, v9
	s_delay_alu instid0(VALU_DEP_2)
	s_or_b32 s31, s31, s34
	s_delay_alu instid0(VALU_DEP_1) | instid1(SALU_CYCLE_1)
	s_and_b32 s34, s35, s31
	s_delay_alu instid0(SALU_CYCLE_1) | instskip(NEXT) | instid1(SALU_CYCLE_1)
	s_xor_b32 s31, s34, -1
	s_and_saveexec_b32 s35, s31
	s_delay_alu instid0(SALU_CYCLE_1)
	s_xor_b32 s31, exec_lo, s35
	s_cbranch_execz .LBB117_26
; %bb.25:
	v_add_nc_u32_e32 v32, v0, v41
	ds_load_u8 v43, v32 offset:1
.LBB117_26:
	s_or_saveexec_b32 s31, s31
	v_mov_b32_e32 v44, v40
	s_xor_b32 exec_lo, exec_lo, s31
	s_cbranch_execz .LBB117_28
; %bb.27:
	s_waitcnt lgkmcnt(0)
	v_dual_mov_b32 v43, v39 :: v_dual_add_nc_u32 v32, v0, v42
	ds_load_u8 v44, v32 offset:1
.LBB117_28:
	s_or_b32 exec_lo, exec_lo, s31
	v_add_nc_u32_e32 v32, 1, v41
	v_add_nc_u32_e32 v34, 1, v42
	s_waitcnt lgkmcnt(0)
	v_and_b32_e32 v45, 0xff, v43
	s_delay_alu instid0(VALU_DEP_3) | instskip(SKIP_2) | instid1(VALU_DEP_3)
	v_cndmask_b32_e64 v35, v32, v41, s34
	v_and_b32_e32 v32, 0xff, v44
	v_cndmask_b32_e64 v36, v42, v34, s34
	v_cmp_ge_i32_e64 s31, v35, v10
	s_delay_alu instid0(VALU_DEP_3) | instskip(NEXT) | instid1(VALU_DEP_3)
	v_cmp_lt_u16_e64 s35, v32, v45
	v_cmp_lt_i32_e64 s36, v36, v9
                                        ; implicit-def: $vgpr32
	s_delay_alu instid0(VALU_DEP_2)
	s_or_b32 s31, s31, s35
	s_delay_alu instid0(VALU_DEP_1) | instid1(SALU_CYCLE_1)
	s_and_b32 s31, s36, s31
	s_delay_alu instid0(SALU_CYCLE_1) | instskip(NEXT) | instid1(SALU_CYCLE_1)
	s_xor_b32 s35, s31, -1
	s_and_saveexec_b32 s36, s35
	s_delay_alu instid0(SALU_CYCLE_1)
	s_xor_b32 s35, exec_lo, s36
	s_cbranch_execz .LBB117_30
; %bb.29:
	v_add_nc_u32_e32 v32, v0, v35
	ds_load_u8 v32, v32 offset:1
.LBB117_30:
	s_or_saveexec_b32 s35, s35
	v_mov_b32_e32 v34, v44
	s_xor_b32 exec_lo, exec_lo, s35
	s_cbranch_execz .LBB117_32
; %bb.31:
	s_waitcnt lgkmcnt(0)
	v_add_nc_u32_e32 v32, v0, v36
	ds_load_u8 v34, v32 offset:1
	v_mov_b32_e32 v32, v43
.LBB117_32:
	s_or_b32 exec_lo, exec_lo, s35
	v_add_nc_u16 v1, v1, 1
	v_add_nc_u16 v7, v7, 1
	;; [unrolled: 1-line block ×4, first 2 shown]
	v_lshlrev_b16 v8, 8, v8
	v_and_b32_e32 v46, 0xff, v1
	v_lshlrev_b16 v45, 8, v7
	v_lshlrev_b16 v1, 8, v1
	v_and_b32_e32 v7, 0xff, v7
	v_and_b32_e32 v2, 0xff, v2
	v_lshlrev_b16 v27, 8, v27
	v_or_b32_e32 v45, v46, v45
	v_add_nc_u16 v24, v24, 1
	v_or_b32_e32 v1, v7, v1
	v_or_b32_e32 v2, v8, v2
	v_lshlrev_b16 v25, 8, v25
	v_and_b32_e32 v8, 0xffff, v45
	v_and_b32_e32 v24, 0xff, v24
	;; [unrolled: 1-line block ×4, first 2 shown]
	v_add_nc_u16 v2, v2, 0x100
	v_cndmask_b32_e64 v19, v19, v20, s29
	v_or_b32_e32 v7, v25, v24
	v_cndmask_b32_e32 v1, v8, v1, vcc_lo
	v_or_b32_e32 v26, v27, v26
	v_and_b32_e32 v2, 0xffff, v2
	v_cndmask_b32_e64 v20, v21, v22, s29
	v_add_nc_u16 v7, v7, 0x100
	v_cndmask_b32_e64 v22, v16, v15, s28
	v_add_nc_u16 v24, v26, 0x100
	v_cndmask_b32_e64 v17, v17, v18, s28
	v_cndmask_b32_e64 v12, v12, v13, s27
	v_lshlrev_b32_e32 v7, 16, v7
	v_cndmask_b32_e64 v11, v11, v14, s27
	v_lshlrev_b32_e32 v25, 16, v24
	v_perm_b32 v8, 0, v24, 0xc0c0001
	s_waitcnt lgkmcnt(0)
	v_and_b32_e32 v13, 0xff, v32
	v_or_b32_e32 v2, v2, v7
	v_and_b32_e32 v14, 0xff, v34
	v_or_b32_e32 v1, v1, v25
	v_lshlrev_b32_e32 v8, 16, v8
	v_add_nc_u32_e32 v25, 1, v36
	v_add_nc_u32_e32 v26, 1, v35
	v_cmp_lt_u16_e32 vcc_lo, v14, v13
	v_add_nc_u32_e32 v13, v0, v17
	v_and_or_b32 v7, 0xffff, v1, v8
	v_perm_b32 v8, v2, v2, 0x7060405
	v_cndmask_b32_e64 v18, v36, v25, s31
	v_cndmask_b32_e64 v23, v23, v28, s30
	v_lshlrev_b16 v22, 8, v22
	v_cndmask_b32_e64 v1, v1, v7, s0
	v_cndmask_b32_e64 v2, v2, v8, s1
	v_cmp_lt_i32_e64 s1, v18, v9
	v_and_b32_e32 v12, 0xff, v12
	v_cndmask_b32_e64 v31, v31, v33, s33
	v_perm_b32 v7, v1, v1, 0x7050604
	v_perm_b32 v8, v2, v2, 0x6070504
	v_cndmask_b32_e64 v33, v37, v38, s33
	v_cndmask_b32_e64 v27, v35, v36, s31
	;; [unrolled: 1-line block ×6, first 2 shown]
	v_add_nc_u32_e32 v11, v0, v11
	v_lshlrev_b16 v23, 8, v23
	v_lshrrev_b32_e32 v7, 16, v1
	v_lshlrev_b16 v8, 8, v2
	v_and_b32_e32 v19, 0xff, v19
	v_or_b32_e32 v22, v12, v22
	v_add_nc_u32_e32 v14, v0, v20
	v_and_b32_e32 v7, 0xff, v7
	v_add_nc_u32_e32 v20, v0, v33
	; wave barrier
	v_or_b32_e32 v19, v19, v23
	s_delay_alu instid0(VALU_DEP_3) | instskip(SKIP_2) | instid1(VALU_DEP_3)
	v_or_b32_e32 v7, v7, v8
	v_and_b32_e32 v15, 0x60, v6
	v_and_b32_e32 v28, 0xff, v31
	v_lshlrev_b32_e32 v7, 16, v7
	s_delay_alu instid0(VALU_DEP_1) | instskip(NEXT) | instid1(VALU_DEP_1)
	v_and_or_b32 v7, 0xffff, v1, v7
	v_cndmask_b32_e64 v7, v1, v7, s2
	v_perm_b32 v1, v1, v2, 0x3020107
	s_delay_alu instid0(VALU_DEP_2) | instskip(NEXT) | instid1(VALU_DEP_2)
	v_perm_b32 v8, 0, v7, 0xc0c0001
	v_cndmask_b32_e64 v1, v2, v1, s2
	s_delay_alu instid0(VALU_DEP_2) | instskip(NEXT) | instid1(VALU_DEP_1)
	v_and_or_b32 v8, 0xffff0000, v7, v8
	v_cndmask_b32_e64 v7, v7, v8, s5
	s_delay_alu instid0(VALU_DEP_1) | instskip(NEXT) | instid1(VALU_DEP_1)
	v_lshrrev_b32_e32 v8, 16, v7
	v_perm_b32 v2, 0, v8, 0xc0c0001
	v_perm_b32 v8, v1, v1, 0x7050604
	s_delay_alu instid0(VALU_DEP_2) | instskip(NEXT) | instid1(VALU_DEP_2)
	v_lshlrev_b32_e32 v2, 16, v2
	v_cndmask_b32_e64 v1, v1, v8, s6
	s_delay_alu instid0(VALU_DEP_2) | instskip(NEXT) | instid1(VALU_DEP_2)
	v_and_or_b32 v2, 0xffff, v7, v2
	v_perm_b32 v8, v1, v1, 0x7060405
	s_delay_alu instid0(VALU_DEP_2) | instskip(NEXT) | instid1(VALU_DEP_2)
	v_cndmask_b32_e64 v2, v7, v2, s8
	v_cndmask_b32_e64 v1, v1, v8, s10
	s_delay_alu instid0(VALU_DEP_2) | instskip(NEXT) | instid1(VALU_DEP_2)
	v_perm_b32 v7, v2, v2, 0x7050604
	v_perm_b32 v8, v1, v1, 0x6070504
	s_delay_alu instid0(VALU_DEP_2) | instskip(NEXT) | instid1(VALU_DEP_2)
	v_cndmask_b32_e64 v2, v2, v7, s15
	v_cndmask_b32_e64 v1, v1, v8, s16
	s_delay_alu instid0(VALU_DEP_2) | instskip(NEXT) | instid1(VALU_DEP_2)
	v_lshrrev_b32_e32 v7, 16, v2
	v_lshlrev_b16 v8, 8, v1
	s_delay_alu instid0(VALU_DEP_2) | instskip(NEXT) | instid1(VALU_DEP_1)
	v_and_b32_e32 v7, 0xff, v7
	v_or_b32_e32 v7, v7, v8
	s_delay_alu instid0(VALU_DEP_1) | instskip(NEXT) | instid1(VALU_DEP_1)
	v_lshlrev_b32_e32 v7, 16, v7
	v_and_or_b32 v7, 0xffff, v2, v7
	s_delay_alu instid0(VALU_DEP_1) | instskip(SKIP_1) | instid1(VALU_DEP_2)
	v_cndmask_b32_e64 v7, v2, v7, s13
	v_perm_b32 v2, v2, v1, 0x3020107
	v_perm_b32 v8, 0, v7, 0xc0c0001
	s_delay_alu instid0(VALU_DEP_2) | instskip(NEXT) | instid1(VALU_DEP_2)
	v_cndmask_b32_e64 v1, v1, v2, s13
	v_and_or_b32 v8, 0xffff0000, v7, v8
	s_delay_alu instid0(VALU_DEP_1) | instskip(NEXT) | instid1(VALU_DEP_1)
	v_cndmask_b32_e64 v7, v7, v8, s18
	v_lshrrev_b32_e32 v8, 16, v7
	s_delay_alu instid0(VALU_DEP_1) | instskip(SKIP_1) | instid1(VALU_DEP_2)
	v_perm_b32 v2, 0, v8, 0xc0c0001
	v_perm_b32 v8, v1, v1, 0x7050604
	v_lshlrev_b32_e32 v2, 16, v2
	s_delay_alu instid0(VALU_DEP_2) | instskip(NEXT) | instid1(VALU_DEP_2)
	v_cndmask_b32_e64 v1, v1, v8, s19
	v_and_or_b32 v2, 0xffff, v7, v2
	s_delay_alu instid0(VALU_DEP_2) | instskip(NEXT) | instid1(VALU_DEP_2)
	v_perm_b32 v8, v1, v1, 0x7060405
	v_cndmask_b32_e64 v2, v7, v2, s21
	s_delay_alu instid0(VALU_DEP_2) | instskip(NEXT) | instid1(VALU_DEP_2)
	v_cndmask_b32_e64 v1, v1, v8, s22
	v_perm_b32 v7, v2, v2, 0x7050604
	s_delay_alu instid0(VALU_DEP_2) | instskip(NEXT) | instid1(VALU_DEP_2)
	v_perm_b32 v8, v1, v1, 0x6070504
	v_cndmask_b32_e64 v2, v2, v7, s24
	s_delay_alu instid0(VALU_DEP_2) | instskip(NEXT) | instid1(VALU_DEP_2)
	v_cndmask_b32_e64 v1, v1, v8, s25
	v_lshrrev_b32_e32 v7, 16, v2
	s_delay_alu instid0(VALU_DEP_2) | instskip(NEXT) | instid1(VALU_DEP_2)
	v_lshlrev_b16 v8, 8, v1
	v_and_b32_e32 v7, 0xff, v7
	s_delay_alu instid0(VALU_DEP_1) | instskip(SKIP_1) | instid1(VALU_DEP_2)
	v_or_b32_e32 v7, v7, v8
	v_cndmask_b32_e64 v8, v43, v44, s31
	v_lshlrev_b32_e32 v7, 16, v7
	s_delay_alu instid0(VALU_DEP_1) | instskip(NEXT) | instid1(VALU_DEP_1)
	v_and_or_b32 v7, 0xffff, v2, v7
	v_cndmask_b32_e64 v7, v2, v7, s20
	v_perm_b32 v2, v2, v1, 0x3020107
	s_delay_alu instid0(VALU_DEP_2) | instskip(NEXT) | instid1(VALU_DEP_2)
	v_perm_b32 v24, 0, v7, 0xc0c0001
	v_cndmask_b32_e64 v1, v1, v2, s20
	s_delay_alu instid0(VALU_DEP_2) | instskip(NEXT) | instid1(VALU_DEP_2)
	v_and_or_b32 v24, 0xffff0000, v7, v24
	v_perm_b32 v16, v1, v1, 0x7050604
	s_delay_alu instid0(VALU_DEP_2) | instskip(NEXT) | instid1(VALU_DEP_2)
	v_cndmask_b32_e64 v7, v7, v24, s26
	v_cndmask_b32_e64 v1, v1, v16, s7
	;; [unrolled: 1-line block ×3, first 2 shown]
	v_and_b32_e32 v29, 0xff, v8
	v_and_b32_e32 v16, 24, v6
	v_lshrrev_b32_e32 v21, 16, v7
	v_perm_b32 v25, v1, v1, 0x7060405
	v_add_nc_u32_e32 v17, v0, v24
	s_delay_alu instid0(VALU_DEP_3) | instskip(NEXT) | instid1(VALU_DEP_3)
	v_perm_b32 v2, 0, v21, 0xc0c0001
	v_cndmask_b32_e64 v1, v1, v25, s9
	v_cndmask_b32_e64 v21, v26, v35, s31
	v_add_nc_u32_e32 v25, v0, v40
	v_add_nc_u32_e32 v26, v0, v27
	v_lshlrev_b32_e32 v2, 16, v2
	v_perm_b32 v24, v1, v1, 0x6070504
	v_cmp_ge_i32_e64 s0, v21, v10
	v_lshlrev_b16 v27, 8, v39
	s_delay_alu instid0(VALU_DEP_4) | instskip(NEXT) | instid1(VALU_DEP_4)
	v_and_or_b32 v2, 0xffff, v7, v2
	v_cndmask_b32_e64 v24, v1, v24, s12
	s_delay_alu instid0(VALU_DEP_4) | instskip(NEXT) | instid1(SALU_CYCLE_1)
	s_or_b32 s0, s0, vcc_lo
	s_and_b32 vcc_lo, s1, s0
	s_delay_alu instid0(VALU_DEP_2)
	v_cndmask_b32_e64 v2, v7, v2, s11
	v_cndmask_b32_e32 v12, v32, v34, vcc_lo
	v_cndmask_b32_e32 v18, v21, v18, vcc_lo
	s_mov_b32 s0, 0
	s_mov_b32 s1, exec_lo
	v_perm_b32 v7, v2, v2, 0x7050604
	v_lshlrev_b16 v23, 8, v12
	v_add_nc_u32_e32 v18, v0, v18
	s_delay_alu instid0(VALU_DEP_3) | instskip(SKIP_1) | instid1(VALU_DEP_2)
	v_cndmask_b32_e64 v7, v2, v7, s14
	v_lshlrev_b16 v2, 8, v24
	v_lshrrev_b32_e32 v1, 16, v7
	v_perm_b32 v8, v7, v24, 0x3020107
	s_delay_alu instid0(VALU_DEP_2) | instskip(NEXT) | instid1(VALU_DEP_2)
	v_and_b32_e32 v1, 0xff, v1
	v_cndmask_b32_e64 v8, v24, v8, s17
	s_delay_alu instid0(VALU_DEP_2) | instskip(NEXT) | instid1(VALU_DEP_2)
	v_or_b32_e32 v30, v1, v2
	v_perm_b32 v9, v8, v8, 0x7050604
	v_or_b32_e32 v2, 16, v15
	v_add_nc_u32_e32 v1, 32, v15
	s_delay_alu instid0(VALU_DEP_4) | instskip(NEXT) | instid1(VALU_DEP_4)
	v_lshlrev_b32_e32 v10, 16, v30
	v_cndmask_b32_e64 v8, v8, v9, s23
	s_delay_alu instid0(VALU_DEP_3) | instskip(NEXT) | instid1(VALU_DEP_3)
	v_sub_nc_u32_e32 v21, v1, v2
	v_and_or_b32 v10, 0xffff, v7, v10
	s_delay_alu instid0(VALU_DEP_2) | instskip(NEXT) | instid1(VALU_DEP_2)
	v_cmp_ge_i32_e32 vcc_lo, v16, v21
	v_cndmask_b32_e64 v7, v7, v10, s17
	ds_store_b64 v4, v[7:8]
	; wave barrier
	ds_load_u8 v8, v11
	ds_load_u8 v10, v13
	ds_load_u8 v7, v14
	ds_load_u8 v9, v17
	ds_load_u8 v12, v20
	ds_load_u8 v14, v25
	ds_load_u8 v11, v26
	ds_load_u8 v13, v18
	v_or_b32_e32 v17, v28, v27
	v_or_b32_e32 v20, v29, v23
	v_and_b32_e32 v18, 0xffff, v22
	v_lshlrev_b32_e32 v22, 16, v19
	v_sub_nc_u32_e32 v19, v16, v21
	v_sub_nc_u32_e32 v23, v2, v15
	v_and_b32_e32 v24, 0xffff, v17
	v_lshlrev_b32_e32 v25, 16, v20
	v_or_b32_e32 v20, v18, v22
	v_cndmask_b32_e32 v19, 0, v19, vcc_lo
	v_min_i32_e32 v17, v16, v23
	s_delay_alu instid0(VALU_DEP_4)
	v_or_b32_e32 v21, v24, v25
	; wave barrier
	ds_store_b64 v4, v[20:21]
	; wave barrier
	v_cmpx_lt_i32_e64 v19, v17
	s_cbranch_execz .LBB117_36
; %bb.33:
	v_add_nc_u32_e32 v18, v0, v15
	s_delay_alu instid0(VALU_DEP_1)
	v_add3_u32 v20, v18, v16, 16
	.p2align	6
.LBB117_34:                             ; =>This Inner Loop Header: Depth=1
	v_sub_nc_u32_e32 v21, v17, v19
	s_delay_alu instid0(VALU_DEP_1) | instskip(NEXT) | instid1(VALU_DEP_1)
	v_lshrrev_b32_e32 v22, 31, v21
	v_add_nc_u32_e32 v21, v21, v22
	s_delay_alu instid0(VALU_DEP_1) | instskip(NEXT) | instid1(VALU_DEP_1)
	v_ashrrev_i32_e32 v21, 1, v21
	v_add_nc_u32_e32 v21, v21, v19
	s_delay_alu instid0(VALU_DEP_1)
	v_add_nc_u32_e32 v24, 1, v21
	v_add_nc_u32_e32 v22, v18, v21
	v_xad_u32 v23, v21, -1, v20
	ds_load_u8 v22, v22
	ds_load_u8 v23, v23
	s_waitcnt lgkmcnt(0)
	v_cmp_lt_u16_e32 vcc_lo, v23, v22
	v_cndmask_b32_e32 v19, v24, v19, vcc_lo
	v_cndmask_b32_e32 v17, v17, v21, vcc_lo
	s_delay_alu instid0(VALU_DEP_1) | instskip(SKIP_1) | instid1(SALU_CYCLE_1)
	v_cmp_ge_i32_e32 vcc_lo, v19, v17
	s_or_b32 s0, vcc_lo, s0
	s_and_not1_b32 exec_lo, exec_lo, s0
	s_cbranch_execnz .LBB117_34
; %bb.35:
	s_or_b32 exec_lo, exec_lo, s0
.LBB117_36:
	s_delay_alu instid0(SALU_CYCLE_1) | instskip(SKIP_4) | instid1(VALU_DEP_4)
	s_or_b32 exec_lo, exec_lo, s1
	v_add_nc_u32_e32 v17, v15, v16
	v_add_nc_u32_e32 v15, v19, v15
	;; [unrolled: 1-line block ×3, first 2 shown]
	v_cmp_lt_i32_e32 vcc_lo, 15, v19
	v_sub_nc_u32_e32 v17, v17, v19
	s_delay_alu instid0(VALU_DEP_4) | instskip(NEXT) | instid1(VALU_DEP_4)
	v_add_nc_u32_e32 v22, v0, v15
	v_sub_nc_u32_e32 v16, v16, v19
                                        ; implicit-def: $vgpr19
	s_delay_alu instid0(VALU_DEP_3)
	v_add_nc_u32_e32 v21, v0, v17
	ds_load_u8 v17, v22
	ds_load_u8 v18, v21 offset:16
	v_cmp_gt_i32_e64 s1, v1, v16
	s_waitcnt lgkmcnt(1)
	v_and_b32_e32 v20, 0xff, v17
	s_waitcnt lgkmcnt(0)
	v_and_b32_e32 v23, 0xff, v18
	s_delay_alu instid0(VALU_DEP_1) | instskip(NEXT) | instid1(VALU_DEP_1)
	v_cmp_lt_u16_e64 s0, v23, v20
                                        ; implicit-def: $vgpr20
	s_or_b32 s0, vcc_lo, s0
	s_delay_alu instid0(SALU_CYCLE_1) | instskip(NEXT) | instid1(SALU_CYCLE_1)
	s_and_b32 vcc_lo, s1, s0
	s_xor_b32 s0, vcc_lo, -1
	s_delay_alu instid0(SALU_CYCLE_1) | instskip(NEXT) | instid1(SALU_CYCLE_1)
	s_and_saveexec_b32 s1, s0
	s_xor_b32 s0, exec_lo, s1
	s_cbranch_execz .LBB117_38
; %bb.37:
	ds_load_u8 v20, v22 offset:1
	v_mov_b32_e32 v19, v18
                                        ; implicit-def: $vgpr21
.LBB117_38:
	s_and_not1_saveexec_b32 s0, s0
	s_cbranch_execz .LBB117_40
; %bb.39:
	ds_load_u8 v19, v21 offset:17
	s_waitcnt lgkmcnt(1)
	v_mov_b32_e32 v20, v17
.LBB117_40:
	s_or_b32 exec_lo, exec_lo, s0
	v_add_nc_u32_e32 v22, 1, v16
	v_add_nc_u32_e32 v21, 1, v15
	s_waitcnt lgkmcnt(0)
	v_and_b32_e32 v23, 0xff, v20
	v_and_b32_e32 v24, 0xff, v19
	s_delay_alu instid0(VALU_DEP_3) | instskip(NEXT) | instid1(VALU_DEP_2)
	v_dual_cndmask_b32 v22, v16, v22 :: v_dual_cndmask_b32 v21, v21, v15
	v_cmp_lt_u16_e64 s1, v24, v23
                                        ; implicit-def: $vgpr23
	s_delay_alu instid0(VALU_DEP_2) | instskip(NEXT) | instid1(VALU_DEP_3)
	v_cmp_lt_i32_e64 s2, v22, v1
	v_cmp_ge_i32_e64 s0, v21, v2
	s_delay_alu instid0(VALU_DEP_1)
	s_or_b32 s0, s0, s1
	s_delay_alu instid0(VALU_DEP_2) | instid1(SALU_CYCLE_1)
	s_and_b32 s0, s2, s0
	s_delay_alu instid0(SALU_CYCLE_1) | instskip(NEXT) | instid1(SALU_CYCLE_1)
	s_xor_b32 s1, s0, -1
	s_and_saveexec_b32 s2, s1
	s_delay_alu instid0(SALU_CYCLE_1)
	s_xor_b32 s1, exec_lo, s2
	s_cbranch_execz .LBB117_42
; %bb.41:
	v_add_nc_u32_e32 v23, v0, v21
	ds_load_u8 v23, v23 offset:1
.LBB117_42:
	s_or_saveexec_b32 s1, s1
	v_mov_b32_e32 v24, v19
	s_xor_b32 exec_lo, exec_lo, s1
	s_cbranch_execz .LBB117_44
; %bb.43:
	s_waitcnt lgkmcnt(0)
	v_add_nc_u32_e32 v23, v0, v22
	ds_load_u8 v24, v23 offset:1
	v_mov_b32_e32 v23, v20
.LBB117_44:
	s_or_b32 exec_lo, exec_lo, s1
	v_add_nc_u32_e32 v25, 1, v21
	v_add_nc_u32_e32 v26, 1, v22
	s_waitcnt lgkmcnt(0)
	v_and_b32_e32 v27, 0xff, v23
	v_and_b32_e32 v28, 0xff, v24
	v_cndmask_b32_e64 v25, v25, v21, s0
	v_cndmask_b32_e64 v26, v22, v26, s0
	s_delay_alu instid0(VALU_DEP_3) | instskip(NEXT) | instid1(VALU_DEP_3)
	v_cmp_lt_u16_e64 s2, v28, v27
                                        ; implicit-def: $vgpr27
	v_cmp_ge_i32_e64 s1, v25, v2
	s_delay_alu instid0(VALU_DEP_3) | instskip(NEXT) | instid1(VALU_DEP_2)
	v_cmp_lt_i32_e64 s3, v26, v1
	s_or_b32 s1, s1, s2
	s_delay_alu instid0(VALU_DEP_1) | instid1(SALU_CYCLE_1)
	s_and_b32 s1, s3, s1
	s_delay_alu instid0(SALU_CYCLE_1) | instskip(NEXT) | instid1(SALU_CYCLE_1)
	s_xor_b32 s2, s1, -1
	s_and_saveexec_b32 s3, s2
	s_delay_alu instid0(SALU_CYCLE_1)
	s_xor_b32 s2, exec_lo, s3
	s_cbranch_execz .LBB117_46
; %bb.45:
	v_add_nc_u32_e32 v27, v0, v25
	ds_load_u8 v27, v27 offset:1
.LBB117_46:
	s_or_saveexec_b32 s2, s2
	v_mov_b32_e32 v28, v24
	s_xor_b32 exec_lo, exec_lo, s2
	s_cbranch_execz .LBB117_48
; %bb.47:
	s_waitcnt lgkmcnt(0)
	v_add_nc_u32_e32 v27, v0, v26
	ds_load_u8 v28, v27 offset:1
	v_mov_b32_e32 v27, v23
.LBB117_48:
	s_or_b32 exec_lo, exec_lo, s2
	v_add_nc_u32_e32 v29, 1, v25
	v_add_nc_u32_e32 v30, 1, v26
	s_waitcnt lgkmcnt(0)
	v_and_b32_e32 v31, 0xff, v27
	v_and_b32_e32 v32, 0xff, v28
	v_cndmask_b32_e64 v29, v29, v25, s1
	v_cndmask_b32_e64 v30, v26, v30, s1
	s_delay_alu instid0(VALU_DEP_3) | instskip(NEXT) | instid1(VALU_DEP_3)
	v_cmp_lt_u16_e64 s3, v32, v31
                                        ; implicit-def: $vgpr31
	v_cmp_ge_i32_e64 s2, v29, v2
	s_delay_alu instid0(VALU_DEP_3) | instskip(NEXT) | instid1(VALU_DEP_2)
	v_cmp_lt_i32_e64 s4, v30, v1
	s_or_b32 s2, s2, s3
	s_delay_alu instid0(VALU_DEP_1) | instid1(SALU_CYCLE_1)
	s_and_b32 s2, s4, s2
	s_delay_alu instid0(SALU_CYCLE_1) | instskip(NEXT) | instid1(SALU_CYCLE_1)
	s_xor_b32 s3, s2, -1
	s_and_saveexec_b32 s4, s3
	s_delay_alu instid0(SALU_CYCLE_1)
	s_xor_b32 s3, exec_lo, s4
	s_cbranch_execz .LBB117_50
; %bb.49:
	v_add_nc_u32_e32 v31, v0, v29
	ds_load_u8 v31, v31 offset:1
.LBB117_50:
	s_or_saveexec_b32 s3, s3
	v_mov_b32_e32 v32, v28
	s_xor_b32 exec_lo, exec_lo, s3
	s_cbranch_execz .LBB117_52
; %bb.51:
	s_waitcnt lgkmcnt(0)
	v_add_nc_u32_e32 v31, v0, v30
	ds_load_u8 v32, v31 offset:1
	v_mov_b32_e32 v31, v27
.LBB117_52:
	s_or_b32 exec_lo, exec_lo, s3
	v_add_nc_u32_e32 v33, 1, v29
	v_add_nc_u32_e32 v34, 1, v30
	s_waitcnt lgkmcnt(0)
	v_and_b32_e32 v35, 0xff, v31
	v_and_b32_e32 v36, 0xff, v32
	v_cndmask_b32_e64 v33, v33, v29, s2
	v_cndmask_b32_e64 v34, v30, v34, s2
	s_delay_alu instid0(VALU_DEP_3) | instskip(NEXT) | instid1(VALU_DEP_3)
	v_cmp_lt_u16_e64 s4, v36, v35
                                        ; implicit-def: $vgpr35
	v_cmp_ge_i32_e64 s3, v33, v2
	s_delay_alu instid0(VALU_DEP_3) | instskip(NEXT) | instid1(VALU_DEP_2)
	v_cmp_lt_i32_e64 s5, v34, v1
	s_or_b32 s3, s3, s4
	s_delay_alu instid0(VALU_DEP_1) | instid1(SALU_CYCLE_1)
	s_and_b32 s3, s5, s3
	s_delay_alu instid0(SALU_CYCLE_1) | instskip(NEXT) | instid1(SALU_CYCLE_1)
	s_xor_b32 s4, s3, -1
	s_and_saveexec_b32 s5, s4
	s_delay_alu instid0(SALU_CYCLE_1)
	s_xor_b32 s4, exec_lo, s5
	s_cbranch_execz .LBB117_54
; %bb.53:
	v_add_nc_u32_e32 v35, v0, v33
	ds_load_u8 v35, v35 offset:1
.LBB117_54:
	s_or_saveexec_b32 s4, s4
	v_mov_b32_e32 v36, v32
	s_xor_b32 exec_lo, exec_lo, s4
	s_cbranch_execz .LBB117_56
; %bb.55:
	s_waitcnt lgkmcnt(0)
	v_add_nc_u32_e32 v35, v0, v34
	ds_load_u8 v36, v35 offset:1
	v_mov_b32_e32 v35, v31
.LBB117_56:
	s_or_b32 exec_lo, exec_lo, s4
	v_add_nc_u32_e32 v37, 1, v33
	v_add_nc_u32_e32 v38, 1, v34
	s_waitcnt lgkmcnt(0)
	v_and_b32_e32 v39, 0xff, v35
	v_and_b32_e32 v40, 0xff, v36
	v_cndmask_b32_e64 v37, v37, v33, s3
	v_cndmask_b32_e64 v38, v34, v38, s3
	s_delay_alu instid0(VALU_DEP_3) | instskip(NEXT) | instid1(VALU_DEP_3)
	v_cmp_lt_u16_e64 s5, v40, v39
                                        ; implicit-def: $vgpr40
	v_cmp_ge_i32_e64 s4, v37, v2
	s_delay_alu instid0(VALU_DEP_3) | instskip(NEXT) | instid1(VALU_DEP_2)
	v_cmp_lt_i32_e64 s6, v38, v1
	s_or_b32 s4, s4, s5
	s_delay_alu instid0(VALU_DEP_1) | instid1(SALU_CYCLE_1)
	s_and_b32 s4, s6, s4
	s_delay_alu instid0(SALU_CYCLE_1) | instskip(NEXT) | instid1(SALU_CYCLE_1)
	s_xor_b32 s5, s4, -1
	s_and_saveexec_b32 s6, s5
	s_delay_alu instid0(SALU_CYCLE_1)
	s_xor_b32 s5, exec_lo, s6
	s_cbranch_execz .LBB117_58
; %bb.57:
	v_add_nc_u32_e32 v39, v0, v37
	ds_load_u8 v40, v39 offset:1
.LBB117_58:
	s_or_saveexec_b32 s5, s5
	v_mov_b32_e32 v42, v36
	s_xor_b32 exec_lo, exec_lo, s5
	s_cbranch_execz .LBB117_60
; %bb.59:
	s_waitcnt lgkmcnt(0)
	v_dual_mov_b32 v40, v35 :: v_dual_add_nc_u32 v39, v0, v38
	ds_load_u8 v42, v39 offset:1
.LBB117_60:
	s_or_b32 exec_lo, exec_lo, s5
	v_add_nc_u32_e32 v39, 1, v37
	v_add_nc_u32_e32 v41, 1, v38
	s_waitcnt lgkmcnt(0)
	v_and_b32_e32 v45, 0xff, v40
	s_delay_alu instid0(VALU_DEP_3) | instskip(SKIP_2) | instid1(VALU_DEP_3)
	v_cndmask_b32_e64 v43, v39, v37, s4
	v_and_b32_e32 v39, 0xff, v42
	v_cndmask_b32_e64 v44, v38, v41, s4
	v_cmp_ge_i32_e64 s5, v43, v2
	s_delay_alu instid0(VALU_DEP_3) | instskip(NEXT) | instid1(VALU_DEP_3)
	v_cmp_lt_u16_e64 s6, v39, v45
	v_cmp_lt_i32_e64 s7, v44, v1
                                        ; implicit-def: $vgpr39
	s_delay_alu instid0(VALU_DEP_2)
	s_or_b32 s5, s5, s6
	s_delay_alu instid0(VALU_DEP_1) | instid1(SALU_CYCLE_1)
	s_and_b32 s5, s7, s5
	s_delay_alu instid0(SALU_CYCLE_1) | instskip(NEXT) | instid1(SALU_CYCLE_1)
	s_xor_b32 s6, s5, -1
	s_and_saveexec_b32 s7, s6
	s_delay_alu instid0(SALU_CYCLE_1)
	s_xor_b32 s6, exec_lo, s7
	s_cbranch_execz .LBB117_62
; %bb.61:
	v_add_nc_u32_e32 v39, v0, v43
	ds_load_u8 v39, v39 offset:1
.LBB117_62:
	s_or_saveexec_b32 s6, s6
	v_mov_b32_e32 v41, v42
	s_xor_b32 exec_lo, exec_lo, s6
	s_cbranch_execz .LBB117_64
; %bb.63:
	s_waitcnt lgkmcnt(0)
	v_add_nc_u32_e32 v39, v0, v44
	ds_load_u8 v41, v39 offset:1
	v_mov_b32_e32 v39, v40
.LBB117_64:
	s_or_b32 exec_lo, exec_lo, s6
	v_dual_cndmask_b32 v17, v17, v18 :: v_dual_add_nc_u32 v46, 1, v43
	v_add_nc_u32_e32 v45, 1, v44
	v_cndmask_b32_e64 v40, v40, v42, s5
	v_cndmask_b32_e64 v42, v43, v44, s5
	s_delay_alu instid0(VALU_DEP_4)
	v_cndmask_b32_e64 v43, v46, v43, s5
	v_lshlrev_b16 v14, 8, v14
	v_and_b32_e32 v12, 0xff, v12
	v_lshlrev_b16 v13, 8, v13
	v_and_b32_e32 v11, 0xff, v11
	;; [unrolled: 2-line block ×4, first 2 shown]
	v_cndmask_b32_e64 v44, v44, v45, s5
	v_cndmask_b32_e64 v19, v20, v19, s0
	;; [unrolled: 1-line block ×3, first 2 shown]
	v_cmp_ge_i32_e64 s0, v43, v2
	s_waitcnt lgkmcnt(0)
	v_and_b32_e32 v2, 0xff, v39
	v_and_b32_e32 v18, 0xff, v41
	v_or_b32_e32 v12, v12, v14
	v_or_b32_e32 v8, v8, v10
	;; [unrolled: 1-line block ×3, first 2 shown]
	v_cndmask_b32_e32 v10, v15, v16, vcc_lo
	v_or_b32_e32 v11, v11, v13
	v_cndmask_b32_e64 v23, v23, v24, s1
	v_cndmask_b32_e64 v24, v25, v26, s1
	v_cmp_lt_u16_e64 s1, v18, v2
	v_and_b32_e32 v2, 0xffff, v12
	v_lshlrev_b32_e32 v9, 16, v11
	v_and_b32_e32 v8, 0xffff, v8
	v_lshlrev_b32_e32 v7, 16, v7
	v_cndmask_b32_e64 v27, v27, v28, s2
	v_cndmask_b32_e64 v28, v29, v30, s2
	v_cmp_lt_i32_e64 s2, v44, v1
	v_or_b32_e32 v2, v2, v9
	v_or_b32_e32 v1, v8, v7
	s_or_b32 s0, s0, s1
	v_cndmask_b32_e64 v35, v35, v36, s4
	s_and_b32 vcc_lo, s2, s0
	v_cndmask_b32_e64 v36, v37, v38, s4
	v_cndmask_b32_e32 v7, v43, v44, vcc_lo
	v_cndmask_b32_e64 v31, v31, v32, s3
	v_cndmask_b32_e64 v32, v33, v34, s3
	; wave barrier
	ds_store_b64 v4, v[1:2]
	v_add_nc_u32_e32 v1, v0, v10
	v_add_nc_u32_e32 v8, v0, v20
	;; [unrolled: 1-line block ×6, first 2 shown]
	; wave barrier
	v_add_nc_u32_e32 v13, v0, v42
	v_add_nc_u32_e32 v14, v0, v7
	ds_load_u8 v2, v1
	ds_load_u8 v8, v8
	;; [unrolled: 1-line block ×8, first 2 shown]
	v_cndmask_b32_e32 v16, v39, v41, vcc_lo
	v_lshlrev_b16 v18, 8, v19
	v_and_b32_e32 v17, 0xff, v17
	v_lshlrev_b16 v19, 8, v27
	v_and_b32_e32 v20, 0xff, v23
	v_and_b32_e32 v15, 64, v6
	;; [unrolled: 1-line block ×3, first 2 shown]
	v_or_b32_e32 v18, v17, v18
	v_lshlrev_b16 v17, 8, v35
	v_or_b32_e32 v19, v20, v19
	v_and_b32_e32 v20, 0xff, v31
	v_or_b32_e32 v14, 32, v15
	v_add_nc_u32_e32 v13, 64, v15
	v_lshlrev_b16 v16, 8, v16
	v_and_b32_e32 v18, 0xffff, v18
	v_or_b32_e32 v20, v20, v17
	v_and_b32_e32 v17, 56, v6
	v_sub_nc_u32_e32 v6, v13, v14
	v_or_b32_e32 v16, v21, v16
	v_lshlrev_b32_e32 v19, 16, v19
	v_and_b32_e32 v20, 0xffff, v20
	v_sub_nc_u32_e32 v22, v14, v15
	v_sub_nc_u32_e32 v21, v17, v6
	v_lshlrev_b32_e32 v16, 16, v16
	v_cmp_ge_i32_e32 vcc_lo, v17, v6
	v_or_b32_e32 v19, v18, v19
	v_min_i32_e32 v6, v17, v22
	s_mov_b32 s1, 0
	v_or_b32_e32 v20, v20, v16
	v_cndmask_b32_e32 v18, 0, v21, vcc_lo
	s_mov_b32 s0, exec_lo
	; wave barrier
	ds_store_b64 v4, v[19:20]
	; wave barrier
	v_cmpx_lt_i32_e64 v18, v6
	s_cbranch_execz .LBB117_68
; %bb.65:
	v_add_nc_u32_e32 v16, v0, v15
	s_delay_alu instid0(VALU_DEP_1)
	v_add3_u32 v19, v16, v17, 32
	.p2align	6
.LBB117_66:                             ; =>This Inner Loop Header: Depth=1
	v_sub_nc_u32_e32 v20, v6, v18
	s_delay_alu instid0(VALU_DEP_1) | instskip(NEXT) | instid1(VALU_DEP_1)
	v_lshrrev_b32_e32 v21, 31, v20
	v_add_nc_u32_e32 v20, v20, v21
	s_delay_alu instid0(VALU_DEP_1) | instskip(NEXT) | instid1(VALU_DEP_1)
	v_ashrrev_i32_e32 v20, 1, v20
	v_add_nc_u32_e32 v20, v20, v18
	s_delay_alu instid0(VALU_DEP_1)
	v_add_nc_u32_e32 v23, 1, v20
	v_add_nc_u32_e32 v21, v16, v20
	v_xad_u32 v22, v20, -1, v19
	ds_load_u8 v21, v21
	ds_load_u8 v22, v22
	s_waitcnt lgkmcnt(0)
	v_cmp_lt_u16_e32 vcc_lo, v22, v21
	v_cndmask_b32_e32 v18, v23, v18, vcc_lo
	v_cndmask_b32_e32 v6, v6, v20, vcc_lo
	s_delay_alu instid0(VALU_DEP_1) | instskip(SKIP_1) | instid1(SALU_CYCLE_1)
	v_cmp_ge_i32_e32 vcc_lo, v18, v6
	s_or_b32 s1, vcc_lo, s1
	s_and_not1_b32 exec_lo, exec_lo, s1
	s_cbranch_execnz .LBB117_66
; %bb.67:
	s_or_b32 exec_lo, exec_lo, s1
.LBB117_68:
	s_delay_alu instid0(SALU_CYCLE_1) | instskip(SKIP_4) | instid1(VALU_DEP_4)
	s_or_b32 exec_lo, exec_lo, s0
	v_add_nc_u32_e32 v16, v15, v17
	v_add_nc_u32_e32 v6, v18, v15
	;; [unrolled: 1-line block ×3, first 2 shown]
	v_cmp_lt_i32_e32 vcc_lo, 31, v18
	v_sub_nc_u32_e32 v15, v16, v18
	s_delay_alu instid0(VALU_DEP_4) | instskip(NEXT) | instid1(VALU_DEP_4)
	v_add_nc_u32_e32 v21, v0, v6
	v_sub_nc_u32_e32 v17, v17, v18
                                        ; implicit-def: $vgpr18
	s_delay_alu instid0(VALU_DEP_3)
	v_add_nc_u32_e32 v20, v0, v15
	ds_load_u8 v15, v21
	ds_load_u8 v16, v20 offset:32
	v_cmp_gt_i32_e64 s1, v13, v17
	s_waitcnt lgkmcnt(1)
	v_and_b32_e32 v19, 0xff, v15
	s_waitcnt lgkmcnt(0)
	v_and_b32_e32 v22, 0xff, v16
	s_delay_alu instid0(VALU_DEP_1) | instskip(NEXT) | instid1(VALU_DEP_1)
	v_cmp_lt_u16_e64 s0, v22, v19
                                        ; implicit-def: $vgpr19
	s_or_b32 s0, vcc_lo, s0
	s_delay_alu instid0(SALU_CYCLE_1) | instskip(NEXT) | instid1(SALU_CYCLE_1)
	s_and_b32 vcc_lo, s1, s0
	s_xor_b32 s0, vcc_lo, -1
	s_delay_alu instid0(SALU_CYCLE_1) | instskip(NEXT) | instid1(SALU_CYCLE_1)
	s_and_saveexec_b32 s1, s0
	s_xor_b32 s0, exec_lo, s1
	s_cbranch_execz .LBB117_70
; %bb.69:
	ds_load_u8 v19, v21 offset:1
	v_mov_b32_e32 v18, v16
                                        ; implicit-def: $vgpr20
.LBB117_70:
	s_and_not1_saveexec_b32 s0, s0
	s_cbranch_execz .LBB117_72
; %bb.71:
	ds_load_u8 v18, v20 offset:33
	s_waitcnt lgkmcnt(1)
	v_mov_b32_e32 v19, v15
.LBB117_72:
	s_or_b32 exec_lo, exec_lo, s0
	v_add_nc_u32_e32 v21, 1, v17
	v_add_nc_u32_e32 v20, 1, v6
	s_waitcnt lgkmcnt(0)
	v_and_b32_e32 v22, 0xff, v19
	v_and_b32_e32 v23, 0xff, v18
	s_delay_alu instid0(VALU_DEP_3) | instskip(NEXT) | instid1(VALU_DEP_2)
	v_dual_cndmask_b32 v21, v17, v21 :: v_dual_cndmask_b32 v20, v20, v6
	v_cmp_lt_u16_e64 s1, v23, v22
                                        ; implicit-def: $vgpr22
	s_delay_alu instid0(VALU_DEP_2) | instskip(NEXT) | instid1(VALU_DEP_3)
	v_cmp_lt_i32_e64 s2, v21, v13
	v_cmp_ge_i32_e64 s0, v20, v14
	s_delay_alu instid0(VALU_DEP_1)
	s_or_b32 s0, s0, s1
	s_delay_alu instid0(VALU_DEP_2) | instid1(SALU_CYCLE_1)
	s_and_b32 s0, s2, s0
	s_delay_alu instid0(SALU_CYCLE_1) | instskip(NEXT) | instid1(SALU_CYCLE_1)
	s_xor_b32 s1, s0, -1
	s_and_saveexec_b32 s2, s1
	s_delay_alu instid0(SALU_CYCLE_1)
	s_xor_b32 s1, exec_lo, s2
	s_cbranch_execz .LBB117_74
; %bb.73:
	v_add_nc_u32_e32 v22, v0, v20
	ds_load_u8 v22, v22 offset:1
.LBB117_74:
	s_or_saveexec_b32 s1, s1
	v_mov_b32_e32 v23, v18
	s_xor_b32 exec_lo, exec_lo, s1
	s_cbranch_execz .LBB117_76
; %bb.75:
	s_waitcnt lgkmcnt(0)
	v_add_nc_u32_e32 v22, v0, v21
	ds_load_u8 v23, v22 offset:1
	v_mov_b32_e32 v22, v19
.LBB117_76:
	s_or_b32 exec_lo, exec_lo, s1
	v_add_nc_u32_e32 v24, 1, v20
	v_add_nc_u32_e32 v25, 1, v21
	s_waitcnt lgkmcnt(0)
	v_and_b32_e32 v26, 0xff, v22
	v_and_b32_e32 v27, 0xff, v23
	v_cndmask_b32_e64 v24, v24, v20, s0
	v_cndmask_b32_e64 v25, v21, v25, s0
	s_delay_alu instid0(VALU_DEP_3) | instskip(NEXT) | instid1(VALU_DEP_3)
	v_cmp_lt_u16_e64 s2, v27, v26
                                        ; implicit-def: $vgpr26
	v_cmp_ge_i32_e64 s1, v24, v14
	s_delay_alu instid0(VALU_DEP_3) | instskip(NEXT) | instid1(VALU_DEP_2)
	v_cmp_lt_i32_e64 s3, v25, v13
	s_or_b32 s1, s1, s2
	s_delay_alu instid0(VALU_DEP_1) | instid1(SALU_CYCLE_1)
	s_and_b32 s1, s3, s1
	s_delay_alu instid0(SALU_CYCLE_1) | instskip(NEXT) | instid1(SALU_CYCLE_1)
	s_xor_b32 s2, s1, -1
	s_and_saveexec_b32 s3, s2
	s_delay_alu instid0(SALU_CYCLE_1)
	s_xor_b32 s2, exec_lo, s3
	s_cbranch_execz .LBB117_78
; %bb.77:
	v_add_nc_u32_e32 v26, v0, v24
	ds_load_u8 v26, v26 offset:1
.LBB117_78:
	s_or_saveexec_b32 s2, s2
	v_mov_b32_e32 v27, v23
	s_xor_b32 exec_lo, exec_lo, s2
	s_cbranch_execz .LBB117_80
; %bb.79:
	s_waitcnt lgkmcnt(0)
	v_add_nc_u32_e32 v26, v0, v25
	ds_load_u8 v27, v26 offset:1
	v_mov_b32_e32 v26, v22
.LBB117_80:
	s_or_b32 exec_lo, exec_lo, s2
	v_add_nc_u32_e32 v28, 1, v24
	v_add_nc_u32_e32 v29, 1, v25
	s_waitcnt lgkmcnt(0)
	v_and_b32_e32 v30, 0xff, v26
	v_and_b32_e32 v31, 0xff, v27
	v_cndmask_b32_e64 v28, v28, v24, s1
	v_cndmask_b32_e64 v29, v25, v29, s1
	s_delay_alu instid0(VALU_DEP_3) | instskip(NEXT) | instid1(VALU_DEP_3)
	v_cmp_lt_u16_e64 s3, v31, v30
                                        ; implicit-def: $vgpr30
	v_cmp_ge_i32_e64 s2, v28, v14
	s_delay_alu instid0(VALU_DEP_3) | instskip(NEXT) | instid1(VALU_DEP_2)
	v_cmp_lt_i32_e64 s4, v29, v13
	s_or_b32 s2, s2, s3
	s_delay_alu instid0(VALU_DEP_1) | instid1(SALU_CYCLE_1)
	s_and_b32 s2, s4, s2
	s_delay_alu instid0(SALU_CYCLE_1) | instskip(NEXT) | instid1(SALU_CYCLE_1)
	s_xor_b32 s3, s2, -1
	s_and_saveexec_b32 s4, s3
	s_delay_alu instid0(SALU_CYCLE_1)
	s_xor_b32 s3, exec_lo, s4
	s_cbranch_execz .LBB117_82
; %bb.81:
	v_add_nc_u32_e32 v30, v0, v28
	ds_load_u8 v30, v30 offset:1
.LBB117_82:
	s_or_saveexec_b32 s3, s3
	v_mov_b32_e32 v31, v27
	s_xor_b32 exec_lo, exec_lo, s3
	s_cbranch_execz .LBB117_84
; %bb.83:
	s_waitcnt lgkmcnt(0)
	v_add_nc_u32_e32 v30, v0, v29
	ds_load_u8 v31, v30 offset:1
	v_mov_b32_e32 v30, v26
.LBB117_84:
	s_or_b32 exec_lo, exec_lo, s3
	v_add_nc_u32_e32 v32, 1, v28
	v_add_nc_u32_e32 v33, 1, v29
	s_waitcnt lgkmcnt(0)
	v_and_b32_e32 v34, 0xff, v30
	v_and_b32_e32 v35, 0xff, v31
	v_cndmask_b32_e64 v32, v32, v28, s2
	v_cndmask_b32_e64 v33, v29, v33, s2
	s_delay_alu instid0(VALU_DEP_3) | instskip(NEXT) | instid1(VALU_DEP_3)
	v_cmp_lt_u16_e64 s4, v35, v34
                                        ; implicit-def: $vgpr34
	v_cmp_ge_i32_e64 s3, v32, v14
	s_delay_alu instid0(VALU_DEP_3) | instskip(NEXT) | instid1(VALU_DEP_2)
	v_cmp_lt_i32_e64 s5, v33, v13
	s_or_b32 s3, s3, s4
	s_delay_alu instid0(VALU_DEP_1) | instid1(SALU_CYCLE_1)
	s_and_b32 s3, s5, s3
	s_delay_alu instid0(SALU_CYCLE_1) | instskip(NEXT) | instid1(SALU_CYCLE_1)
	s_xor_b32 s4, s3, -1
	s_and_saveexec_b32 s5, s4
	s_delay_alu instid0(SALU_CYCLE_1)
	s_xor_b32 s4, exec_lo, s5
	s_cbranch_execz .LBB117_86
; %bb.85:
	v_add_nc_u32_e32 v34, v0, v32
	ds_load_u8 v34, v34 offset:1
.LBB117_86:
	s_or_saveexec_b32 s4, s4
	v_mov_b32_e32 v35, v31
	s_xor_b32 exec_lo, exec_lo, s4
	s_cbranch_execz .LBB117_88
; %bb.87:
	s_waitcnt lgkmcnt(0)
	v_add_nc_u32_e32 v34, v0, v33
	ds_load_u8 v35, v34 offset:1
	v_mov_b32_e32 v34, v30
.LBB117_88:
	s_or_b32 exec_lo, exec_lo, s4
	v_add_nc_u32_e32 v36, 1, v32
	v_add_nc_u32_e32 v37, 1, v33
	s_waitcnt lgkmcnt(0)
	v_and_b32_e32 v38, 0xff, v34
	v_and_b32_e32 v39, 0xff, v35
	v_cndmask_b32_e64 v36, v36, v32, s3
	v_cndmask_b32_e64 v37, v33, v37, s3
	s_delay_alu instid0(VALU_DEP_3) | instskip(NEXT) | instid1(VALU_DEP_3)
	v_cmp_lt_u16_e64 s5, v39, v38
                                        ; implicit-def: $vgpr39
	v_cmp_ge_i32_e64 s4, v36, v14
	s_delay_alu instid0(VALU_DEP_3) | instskip(NEXT) | instid1(VALU_DEP_2)
	v_cmp_lt_i32_e64 s6, v37, v13
	s_or_b32 s4, s4, s5
	s_delay_alu instid0(VALU_DEP_1) | instid1(SALU_CYCLE_1)
	s_and_b32 s4, s6, s4
	s_delay_alu instid0(SALU_CYCLE_1) | instskip(NEXT) | instid1(SALU_CYCLE_1)
	s_xor_b32 s5, s4, -1
	s_and_saveexec_b32 s6, s5
	s_delay_alu instid0(SALU_CYCLE_1)
	s_xor_b32 s5, exec_lo, s6
	s_cbranch_execz .LBB117_90
; %bb.89:
	v_add_nc_u32_e32 v38, v0, v36
	ds_load_u8 v39, v38 offset:1
.LBB117_90:
	s_or_saveexec_b32 s5, s5
	v_mov_b32_e32 v41, v35
	s_xor_b32 exec_lo, exec_lo, s5
	s_cbranch_execz .LBB117_92
; %bb.91:
	s_waitcnt lgkmcnt(0)
	v_dual_mov_b32 v39, v34 :: v_dual_add_nc_u32 v38, v0, v37
	ds_load_u8 v41, v38 offset:1
.LBB117_92:
	s_or_b32 exec_lo, exec_lo, s5
	v_add_nc_u32_e32 v38, 1, v36
	v_add_nc_u32_e32 v40, 1, v37
	s_waitcnt lgkmcnt(0)
	v_and_b32_e32 v44, 0xff, v39
	s_delay_alu instid0(VALU_DEP_3) | instskip(SKIP_2) | instid1(VALU_DEP_3)
	v_cndmask_b32_e64 v42, v38, v36, s4
	v_and_b32_e32 v38, 0xff, v41
	v_cndmask_b32_e64 v43, v37, v40, s4
	v_cmp_ge_i32_e64 s5, v42, v14
	s_delay_alu instid0(VALU_DEP_3) | instskip(NEXT) | instid1(VALU_DEP_3)
	v_cmp_lt_u16_e64 s6, v38, v44
	v_cmp_lt_i32_e64 s7, v43, v13
                                        ; implicit-def: $vgpr38
	s_delay_alu instid0(VALU_DEP_2)
	s_or_b32 s5, s5, s6
	s_delay_alu instid0(VALU_DEP_1) | instid1(SALU_CYCLE_1)
	s_and_b32 s5, s7, s5
	s_delay_alu instid0(SALU_CYCLE_1) | instskip(NEXT) | instid1(SALU_CYCLE_1)
	s_xor_b32 s6, s5, -1
	s_and_saveexec_b32 s7, s6
	s_delay_alu instid0(SALU_CYCLE_1)
	s_xor_b32 s6, exec_lo, s7
	s_cbranch_execz .LBB117_94
; %bb.93:
	v_add_nc_u32_e32 v38, v0, v42
	ds_load_u8 v38, v38 offset:1
.LBB117_94:
	s_or_saveexec_b32 s6, s6
	v_mov_b32_e32 v40, v41
	s_xor_b32 exec_lo, exec_lo, s6
	s_cbranch_execz .LBB117_96
; %bb.95:
	s_waitcnt lgkmcnt(0)
	v_add_nc_u32_e32 v38, v0, v43
	ds_load_u8 v40, v38 offset:1
	v_mov_b32_e32 v38, v39
.LBB117_96:
	s_or_b32 exec_lo, exec_lo, s6
	v_dual_cndmask_b32 v6, v6, v17 :: v_dual_add_nc_u32 v45, 1, v42
	v_cndmask_b32_e64 v39, v39, v41, s5
	v_cndmask_b32_e64 v41, v42, v43, s5
	v_dual_cndmask_b32 v15, v15, v16 :: v_dual_add_nc_u32 v44, 1, v43
	s_delay_alu instid0(VALU_DEP_4)
	v_cndmask_b32_e64 v42, v45, v42, s5
	s_waitcnt lgkmcnt(0)
	v_and_b32_e32 v16, 0xff, v40
	v_cndmask_b32_e64 v18, v19, v18, s0
	v_cndmask_b32_e64 v43, v43, v44, s5
	;; [unrolled: 1-line block ×3, first 2 shown]
	v_cmp_ge_i32_e32 vcc_lo, v42, v14
	v_and_b32_e32 v14, 0xff, v38
	v_cndmask_b32_e64 v22, v22, v23, s1
	v_cndmask_b32_e64 v23, v24, v25, s1
	v_cmp_lt_i32_e64 s1, v43, v13
	v_lshlrev_b16 v12, 8, v12
	v_cmp_lt_u16_e64 s0, v16, v14
	v_and_b32_e32 v10, 0xff, v10
	v_lshlrev_b16 v11, 8, v11
	v_lshlrev_b16 v8, 8, v8
	v_and_b32_e32 v2, 0xff, v2
	s_or_b32 s0, vcc_lo, s0
	v_lshlrev_b16 v7, 8, v7
	v_and_b32_e32 v1, 0xff, v1
	s_and_b32 vcc_lo, s1, s0
	v_and_b32_e32 v9, 0xff, v9
	v_or_b32_e32 v10, v10, v12
	v_or_b32_e32 v2, v2, v8
	;; [unrolled: 1-line block ×3, first 2 shown]
	v_add_nc_u32_e32 v16, v0, v5
	v_or_b32_e32 v9, v9, v11
	v_and_b32_e32 v7, 0xffff, v10
	v_cndmask_b32_e64 v26, v26, v27, s2
	v_lshlrev_b32_e32 v1, 16, v1
	v_cndmask_b32_e64 v27, v28, v29, s2
	v_lshlrev_b32_e32 v8, 16, v9
	v_and_b32_e32 v9, 0xffff, v2
	v_cndmask_b32_e64 v34, v34, v35, s4
	v_cndmask_b32_e64 v35, v36, v37, s4
	;; [unrolled: 1-line block ×3, first 2 shown]
	v_or_b32_e32 v2, v7, v8
	v_cndmask_b32_e32 v8, v42, v43, vcc_lo
	v_or_b32_e32 v1, v9, v1
	v_cndmask_b32_e64 v31, v32, v33, s3
	v_cndmask_b32_e32 v7, v38, v40, vcc_lo
	; wave barrier
	ds_store_b64 v16, v[1:2]
	v_add_nc_u32_e32 v1, v0, v6
	v_add_nc_u32_e32 v6, v0, v19
	;; [unrolled: 1-line block ×6, first 2 shown]
	; wave barrier
	v_add_nc_u32_e32 v13, v0, v41
	v_add_nc_u32_e32 v8, v0, v8
	v_lshlrev_b16 v14, 8, v18
	v_and_b32_e32 v18, 0xff, v22
	v_lshlrev_b16 v22, 8, v7
	ds_load_u8 v2, v1
	ds_load_u8 v7, v6
	;; [unrolled: 1-line block ×8, first 2 shown]
	v_and_b32_e32 v15, 0xff, v15
	v_lshlrev_b16 v17, 8, v26
	v_lshlrev_b16 v19, 8, v34
	v_and_b32_e32 v20, 0xff, v30
	v_and_b32_e32 v21, 0xff, v39
	v_or_b32_e32 v8, v15, v14
	v_or_b32_e32 v13, v18, v17
	s_mov_b32 s0, exec_lo
	v_or_b32_e32 v14, v20, v19
	v_or_b32_e32 v15, v21, v22
	v_and_b32_e32 v17, 0xffff, v8
	v_lshlrev_b32_e32 v18, 16, v13
	v_sub_nc_u32_e64 v8, v5, 64 clamp
	v_and_b32_e32 v19, 0xffff, v14
	v_lshlrev_b32_e32 v15, 16, v15
	v_min_i32_e32 v13, 64, v5
	v_or_b32_e32 v14, v17, v18
	; wave barrier
	s_delay_alu instid0(VALU_DEP_3)
	v_or_b32_e32 v15, v19, v15
	ds_store_b64 v16, v[14:15]
	; wave barrier
	v_cmpx_lt_u32_e64 v8, v13
	s_cbranch_execz .LBB117_100
; %bb.97:
	s_mov_b32 s1, 0
	.p2align	6
.LBB117_98:                             ; =>This Inner Loop Header: Depth=1
	v_sub_nc_u32_e32 v14, v13, v8
	s_delay_alu instid0(VALU_DEP_1) | instskip(NEXT) | instid1(VALU_DEP_1)
	v_lshrrev_b32_e32 v15, 31, v14
	v_add_nc_u32_e32 v14, v14, v15
	s_delay_alu instid0(VALU_DEP_1) | instskip(NEXT) | instid1(VALU_DEP_1)
	v_ashrrev_i32_e32 v14, 1, v14
	v_add_nc_u32_e32 v14, v14, v8
	s_delay_alu instid0(VALU_DEP_1)
	v_add_nc_u32_e32 v17, 1, v14
	v_add_nc_u32_e32 v15, v0, v14
	v_xad_u32 v16, v14, -1, v4
	ds_load_u8 v15, v15
	ds_load_u8 v16, v16 offset:64
	s_waitcnt lgkmcnt(0)
	v_cmp_lt_u16_e32 vcc_lo, v16, v15
	v_cndmask_b32_e32 v8, v17, v8, vcc_lo
	v_cndmask_b32_e32 v13, v13, v14, vcc_lo
	s_delay_alu instid0(VALU_DEP_1) | instskip(SKIP_1) | instid1(SALU_CYCLE_1)
	v_cmp_ge_i32_e32 vcc_lo, v8, v13
	s_or_b32 s1, vcc_lo, s1
	s_and_not1_b32 exec_lo, exec_lo, s1
	s_cbranch_execnz .LBB117_98
; %bb.99:
	s_or_b32 exec_lo, exec_lo, s1
.LBB117_100:
	s_delay_alu instid0(SALU_CYCLE_1) | instskip(SKIP_3) | instid1(VALU_DEP_3)
	s_or_b32 exec_lo, exec_lo, s0
	v_sub_nc_u32_e32 v14, v5, v8
	v_add_nc_u32_e32 v18, v0, v8
	v_cmp_lt_i32_e32 vcc_lo, 63, v8
	v_add_nc_u32_e32 v17, v0, v14
	v_add_nc_u32_e32 v16, 64, v14
                                        ; implicit-def: $vgpr14
	ds_load_u8 v5, v18
	ds_load_u8 v13, v17 offset:64
	v_cmp_gt_i32_e64 s1, 0x80, v16
	s_waitcnt lgkmcnt(1)
	v_and_b32_e32 v15, 0xff, v5
	s_waitcnt lgkmcnt(0)
	v_and_b32_e32 v19, 0xff, v13
	s_delay_alu instid0(VALU_DEP_1) | instskip(NEXT) | instid1(VALU_DEP_1)
	v_cmp_lt_u16_e64 s0, v19, v15
                                        ; implicit-def: $vgpr15
	s_or_b32 s0, vcc_lo, s0
	s_delay_alu instid0(SALU_CYCLE_1) | instskip(NEXT) | instid1(SALU_CYCLE_1)
	s_and_b32 vcc_lo, s1, s0
	s_xor_b32 s0, vcc_lo, -1
	s_delay_alu instid0(SALU_CYCLE_1) | instskip(NEXT) | instid1(SALU_CYCLE_1)
	s_and_saveexec_b32 s1, s0
	s_xor_b32 s0, exec_lo, s1
	s_cbranch_execz .LBB117_102
; %bb.101:
	ds_load_u8 v15, v18 offset:1
	v_mov_b32_e32 v14, v13
                                        ; implicit-def: $vgpr17
.LBB117_102:
	s_and_not1_saveexec_b32 s0, s0
	s_cbranch_execz .LBB117_104
; %bb.103:
	ds_load_u8 v14, v17 offset:65
	s_waitcnt lgkmcnt(1)
	v_mov_b32_e32 v15, v5
.LBB117_104:
	s_or_b32 exec_lo, exec_lo, s0
	v_add_nc_u32_e32 v18, 1, v16
	v_add_nc_u32_e32 v17, 1, v8
	s_waitcnt lgkmcnt(0)
	s_delay_alu instid0(VALU_DEP_2) | instskip(NEXT) | instid1(VALU_DEP_2)
	v_dual_cndmask_b32 v22, v16, v18 :: v_dual_and_b32 v19, 0xff, v15
	v_cndmask_b32_e32 v21, v17, v8, vcc_lo
	v_and_b32_e32 v17, 0xff, v14
	s_delay_alu instid0(VALU_DEP_3) | instskip(NEXT) | instid1(VALU_DEP_3)
	v_cmp_gt_i32_e64 s2, 0x80, v22
	v_cmp_lt_i32_e64 s0, 63, v21
	s_delay_alu instid0(VALU_DEP_3) | instskip(NEXT) | instid1(VALU_DEP_1)
	v_cmp_lt_u16_e64 s1, v17, v19
                                        ; implicit-def: $vgpr17
	s_or_b32 s0, s0, s1
	s_delay_alu instid0(VALU_DEP_3) | instid1(SALU_CYCLE_1)
	s_and_b32 s0, s2, s0
	s_delay_alu instid0(SALU_CYCLE_1) | instskip(NEXT) | instid1(SALU_CYCLE_1)
	s_xor_b32 s1, s0, -1
	s_and_saveexec_b32 s2, s1
	s_delay_alu instid0(SALU_CYCLE_1)
	s_xor_b32 s1, exec_lo, s2
	s_cbranch_execz .LBB117_106
; %bb.105:
	v_add_nc_u32_e32 v17, v0, v21
	ds_load_u8 v17, v17 offset:1
.LBB117_106:
	s_or_saveexec_b32 s1, s1
	v_mov_b32_e32 v18, v14
	s_xor_b32 exec_lo, exec_lo, s1
	s_cbranch_execz .LBB117_108
; %bb.107:
	s_waitcnt lgkmcnt(0)
	v_add_nc_u32_e32 v17, v0, v22
	ds_load_u8 v18, v17 offset:1
	v_mov_b32_e32 v17, v15
.LBB117_108:
	s_or_b32 exec_lo, exec_lo, s1
	v_add_nc_u32_e32 v19, 1, v21
	v_add_nc_u32_e32 v20, 1, v22
	s_waitcnt lgkmcnt(0)
	v_and_b32_e32 v23, 0xff, v17
	s_delay_alu instid0(VALU_DEP_3) | instskip(SKIP_2) | instid1(VALU_DEP_3)
	v_cndmask_b32_e64 v25, v19, v21, s0
	v_and_b32_e32 v19, 0xff, v18
	v_cndmask_b32_e64 v26, v22, v20, s0
	v_cmp_lt_i32_e64 s1, 63, v25
	s_delay_alu instid0(VALU_DEP_3) | instskip(NEXT) | instid1(VALU_DEP_3)
	v_cmp_lt_u16_e64 s2, v19, v23
	v_cmp_gt_i32_e64 s3, 0x80, v26
                                        ; implicit-def: $vgpr19
	s_delay_alu instid0(VALU_DEP_2)
	s_or_b32 s1, s1, s2
	s_delay_alu instid0(VALU_DEP_1) | instid1(SALU_CYCLE_1)
	s_and_b32 s1, s3, s1
	s_delay_alu instid0(SALU_CYCLE_1) | instskip(NEXT) | instid1(SALU_CYCLE_1)
	s_xor_b32 s2, s1, -1
	s_and_saveexec_b32 s3, s2
	s_delay_alu instid0(SALU_CYCLE_1)
	s_xor_b32 s2, exec_lo, s3
	s_cbranch_execz .LBB117_110
; %bb.109:
	v_add_nc_u32_e32 v19, v0, v25
	ds_load_u8 v19, v19 offset:1
.LBB117_110:
	s_or_saveexec_b32 s2, s2
	v_mov_b32_e32 v20, v18
	s_xor_b32 exec_lo, exec_lo, s2
	s_cbranch_execz .LBB117_112
; %bb.111:
	s_waitcnt lgkmcnt(0)
	v_add_nc_u32_e32 v19, v0, v26
	ds_load_u8 v20, v19 offset:1
	v_mov_b32_e32 v19, v17
.LBB117_112:
	s_or_b32 exec_lo, exec_lo, s2
	v_add_nc_u32_e32 v23, 1, v25
	v_add_nc_u32_e32 v24, 1, v26
	s_waitcnt lgkmcnt(0)
	v_and_b32_e32 v27, 0xff, v19
	s_delay_alu instid0(VALU_DEP_3) | instskip(SKIP_2) | instid1(VALU_DEP_3)
	v_cndmask_b32_e64 v29, v23, v25, s1
	v_and_b32_e32 v23, 0xff, v20
	v_cndmask_b32_e64 v30, v26, v24, s1
	v_cmp_lt_i32_e64 s2, 63, v29
	s_delay_alu instid0(VALU_DEP_3) | instskip(NEXT) | instid1(VALU_DEP_3)
	v_cmp_lt_u16_e64 s3, v23, v27
	v_cmp_gt_i32_e64 s4, 0x80, v30
                                        ; implicit-def: $vgpr23
	s_delay_alu instid0(VALU_DEP_2)
	s_or_b32 s2, s2, s3
	s_delay_alu instid0(VALU_DEP_1) | instid1(SALU_CYCLE_1)
	s_and_b32 s2, s4, s2
	s_delay_alu instid0(SALU_CYCLE_1) | instskip(NEXT) | instid1(SALU_CYCLE_1)
	s_xor_b32 s3, s2, -1
	s_and_saveexec_b32 s4, s3
	s_delay_alu instid0(SALU_CYCLE_1)
	s_xor_b32 s3, exec_lo, s4
	s_cbranch_execz .LBB117_114
; %bb.113:
	v_add_nc_u32_e32 v23, v0, v29
	ds_load_u8 v23, v23 offset:1
.LBB117_114:
	s_or_saveexec_b32 s3, s3
	v_mov_b32_e32 v24, v20
	s_xor_b32 exec_lo, exec_lo, s3
	s_cbranch_execz .LBB117_116
; %bb.115:
	s_waitcnt lgkmcnt(0)
	v_add_nc_u32_e32 v23, v0, v30
	ds_load_u8 v24, v23 offset:1
	v_mov_b32_e32 v23, v19
.LBB117_116:
	s_or_b32 exec_lo, exec_lo, s3
	v_add_nc_u32_e32 v27, 1, v29
	v_add_nc_u32_e32 v28, 1, v30
	s_waitcnt lgkmcnt(0)
	v_and_b32_e32 v33, 0xff, v23
	s_delay_alu instid0(VALU_DEP_3) | instskip(SKIP_2) | instid1(VALU_DEP_3)
	v_cndmask_b32_e64 v31, v27, v29, s2
	v_and_b32_e32 v27, 0xff, v24
	v_cndmask_b32_e64 v32, v30, v28, s2
	v_cmp_lt_i32_e64 s3, 63, v31
	s_delay_alu instid0(VALU_DEP_3) | instskip(NEXT) | instid1(VALU_DEP_3)
	v_cmp_lt_u16_e64 s4, v27, v33
	v_cmp_gt_i32_e64 s5, 0x80, v32
                                        ; implicit-def: $vgpr27
	s_delay_alu instid0(VALU_DEP_2)
	s_or_b32 s3, s3, s4
	s_delay_alu instid0(VALU_DEP_1) | instid1(SALU_CYCLE_1)
	s_and_b32 s3, s5, s3
	s_delay_alu instid0(SALU_CYCLE_1) | instskip(NEXT) | instid1(SALU_CYCLE_1)
	s_xor_b32 s4, s3, -1
	s_and_saveexec_b32 s5, s4
	s_delay_alu instid0(SALU_CYCLE_1)
	s_xor_b32 s4, exec_lo, s5
	s_cbranch_execz .LBB117_118
; %bb.117:
	v_add_nc_u32_e32 v27, v0, v31
	ds_load_u8 v27, v27 offset:1
.LBB117_118:
	s_or_saveexec_b32 s4, s4
	v_mov_b32_e32 v28, v24
	s_xor_b32 exec_lo, exec_lo, s4
	s_cbranch_execz .LBB117_120
; %bb.119:
	s_waitcnt lgkmcnt(0)
	v_add_nc_u32_e32 v27, v0, v32
	ds_load_u8 v28, v27 offset:1
	v_mov_b32_e32 v27, v23
.LBB117_120:
	s_or_b32 exec_lo, exec_lo, s4
	v_add_nc_u32_e32 v33, 1, v31
	v_add_nc_u32_e32 v34, 1, v32
	s_waitcnt lgkmcnt(0)
	v_and_b32_e32 v37, 0xff, v27
                                        ; implicit-def: $vgpr41
	s_delay_alu instid0(VALU_DEP_3) | instskip(SKIP_2) | instid1(VALU_DEP_3)
	v_cndmask_b32_e64 v35, v33, v31, s3
	v_and_b32_e32 v33, 0xff, v28
	v_cndmask_b32_e64 v36, v32, v34, s3
	v_cmp_lt_i32_e64 s4, 63, v35
	s_delay_alu instid0(VALU_DEP_3) | instskip(NEXT) | instid1(VALU_DEP_3)
	v_cmp_lt_u16_e64 s5, v33, v37
	v_cmp_gt_i32_e64 s6, 0x80, v36
	s_delay_alu instid0(VALU_DEP_2)
	s_or_b32 s4, s4, s5
	s_delay_alu instid0(VALU_DEP_1) | instid1(SALU_CYCLE_1)
	s_and_b32 s4, s6, s4
	s_delay_alu instid0(SALU_CYCLE_1) | instskip(NEXT) | instid1(SALU_CYCLE_1)
	s_xor_b32 s5, s4, -1
	s_and_saveexec_b32 s6, s5
	s_delay_alu instid0(SALU_CYCLE_1)
	s_xor_b32 s5, exec_lo, s6
	s_cbranch_execz .LBB117_122
; %bb.121:
	v_add_nc_u32_e32 v33, v0, v35
	ds_load_u8 v41, v33 offset:1
.LBB117_122:
	s_or_saveexec_b32 s5, s5
	v_mov_b32_e32 v33, v28
	s_xor_b32 exec_lo, exec_lo, s5
	s_cbranch_execz .LBB117_124
; %bb.123:
	v_add_nc_u32_e32 v33, v0, v36
	s_waitcnt lgkmcnt(0)
	v_mov_b32_e32 v41, v27
	ds_load_u8 v33, v33 offset:1
.LBB117_124:
	s_or_b32 exec_lo, exec_lo, s5
	v_add_nc_u32_e32 v34, 1, v35
	v_add_nc_u32_e32 v37, 1, v36
	s_waitcnt lgkmcnt(0)
	v_and_b32_e32 v38, 0xff, v41
                                        ; implicit-def: $vgpr39
	s_delay_alu instid0(VALU_DEP_3) | instskip(SKIP_2) | instid1(VALU_DEP_3)
	v_cndmask_b32_e64 v42, v34, v35, s4
	v_and_b32_e32 v34, 0xff, v33
	v_cndmask_b32_e64 v37, v36, v37, s4
	v_cmp_gt_i32_e64 s5, 64, v42
	s_delay_alu instid0(VALU_DEP_3) | instskip(NEXT) | instid1(VALU_DEP_3)
	v_cmp_ge_u16_e64 s6, v34, v38
	v_cmp_lt_i32_e64 s7, 0x7f, v37
                                        ; implicit-def: $vgpr38
	s_delay_alu instid0(VALU_DEP_2)
	s_and_b32 s5, s5, s6
	s_delay_alu instid0(VALU_DEP_1) | instid1(SALU_CYCLE_1)
	s_or_b32 s5, s7, s5
	s_delay_alu instid0(SALU_CYCLE_1) | instskip(NEXT) | instid1(SALU_CYCLE_1)
	s_and_saveexec_b32 s6, s5
	s_xor_b32 s5, exec_lo, s6
	s_cbranch_execz .LBB117_126
; %bb.125:
	v_add_nc_u32_e32 v34, v0, v42
	v_add_nc_u32_e32 v38, 1, v42
	ds_load_u8 v39, v34 offset:1
.LBB117_126:
	s_or_saveexec_b32 s5, s5
	v_mov_b32_e32 v34, v41
	v_mov_b32_e32 v40, v42
	s_xor_b32 exec_lo, exec_lo, s5
	s_cbranch_execz .LBB117_128
; %bb.127:
	s_waitcnt lgkmcnt(0)
	v_add_nc_u32_e32 v39, 1, v37
	v_add_nc_u32_e32 v34, v0, v37
	v_mov_b32_e32 v40, v37
	s_delay_alu instid0(VALU_DEP_3)
	v_dual_mov_b32 v38, v42 :: v_dual_mov_b32 v37, v39
	v_mov_b32_e32 v39, v41
	ds_load_u8 v43, v34 offset:1
	s_waitcnt lgkmcnt(0)
	v_dual_mov_b32 v34, v33 :: v_dual_mov_b32 v33, v43
.LBB117_128:
	s_or_b32 exec_lo, exec_lo, s5
	v_lshlrev_b16 v12, 8, v12
	v_and_b32_e32 v10, 0xff, v10
	v_lshlrev_b16 v11, 8, v11
	v_dual_cndmask_b32 v8, v8, v16 :: v_dual_and_b32 v9, 0xff, v9
	v_lshlrev_b16 v7, 8, v7
	v_and_b32_e32 v2, 0xff, v2
	v_lshlrev_b16 v6, 8, v6
	v_and_b32_e32 v1, 0xff, v1
	v_cndmask_b32_e64 v25, v25, v26, s1
	v_cndmask_b32_e64 v21, v21, v22, s0
	s_waitcnt lgkmcnt(0)
	v_dual_cndmask_b32 v5, v5, v13 :: v_dual_and_b32 v22, 0xff, v39
	v_and_b32_e32 v26, 0xff, v33
	v_or_b32_e32 v10, v10, v12
	v_or_b32_e32 v9, v9, v11
	;; [unrolled: 1-line block ×4, first 2 shown]
	v_cmp_lt_i32_e64 s5, 63, v38
	v_cmp_lt_u16_e64 s6, v26, v22
	v_and_b32_e32 v6, 0xffff, v10
	v_lshlrev_b32_e32 v7, 16, v9
	v_and_b32_e32 v9, 0xffff, v2
	v_lshlrev_b32_e32 v1, 16, v1
	v_cmp_gt_i32_e64 s7, 0x80, v37
	s_or_b32 s5, s5, s6
	v_or_b32_e32 v2, v6, v7
	v_cndmask_b32_e64 v29, v29, v30, s2
	v_or_b32_e32 v1, v9, v1
	s_and_b32 s5, s7, s5
	v_cndmask_b32_e64 v35, v35, v36, s4
	v_cndmask_b32_e64 v31, v31, v32, s3
	;; [unrolled: 1-line block ×3, first 2 shown]
	; wave barrier
	ds_store_b64 v4, v[1:2]
	v_add_nc_u32_e32 v1, v0, v8
	v_add_nc_u32_e32 v2, v0, v21
	;; [unrolled: 1-line block ×8, first 2 shown]
	; wave barrier
	ds_load_u8 v1, v1
	ds_load_u8 v2, v2
	;; [unrolled: 1-line block ×8, first 2 shown]
	v_cndmask_b32_e64 v6, v39, v33, s5
	v_cndmask_b32_e64 v11, v27, v28, s4
	;; [unrolled: 1-line block ×6, first 2 shown]
	s_add_u32 s0, s38, s40
	s_addc_u32 s1, s39, 0
	s_waitcnt lgkmcnt(7)
	v_add_nc_u16 v1, v1, v5
	s_waitcnt lgkmcnt(6)
	v_add_nc_u16 v2, v2, v12
	;; [unrolled: 2-line block ×8, first 2 shown]
	v_lshlrev_b16 v2, 8, v2
	v_and_b32_e32 v1, 0xff, v1
	v_lshlrev_b16 v5, 8, v5
	v_and_b32_e32 v4, 0xff, v4
	v_lshlrev_b16 v6, 8, v8
	v_and_b32_e32 v7, 0xff, v7
	v_lshlrev_b16 v0, 8, v0
	v_and_b32_e32 v8, 0xff, v9
	v_or_b32_e32 v1, v1, v2
	v_or_b32_e32 v2, v4, v5
	;; [unrolled: 1-line block ×3, first 2 shown]
	s_delay_alu instid0(VALU_DEP_4) | instskip(NEXT) | instid1(VALU_DEP_4)
	v_or_b32_e32 v0, v8, v0
	v_and_b32_e32 v5, 0xffff, v1
	s_delay_alu instid0(VALU_DEP_4) | instskip(NEXT) | instid1(VALU_DEP_4)
	v_lshlrev_b32_e32 v2, 16, v2
	v_and_b32_e32 v4, 0xffff, v4
	s_delay_alu instid0(VALU_DEP_4) | instskip(SKIP_1) | instid1(VALU_DEP_1)
	v_lshlrev_b32_e32 v6, 16, v0
	v_add_co_u32 v0, s0, s0, v3
	v_add_co_ci_u32_e64 v1, null, s1, 0, s0
	v_or_b32_e32 v2, v5, v2
	s_delay_alu instid0(VALU_DEP_4)
	v_or_b32_e32 v3, v4, v6
	global_store_b64 v[0:1], v[2:3], off
	s_nop 0
	s_sendmsg sendmsg(MSG_DEALLOC_VGPRS)
	s_endpgm
	.section	.rodata,"a",@progbits
	.p2align	6, 0x0
	.amdhsa_kernel _Z10sort_pairsILj256ELj16ELj8EhN10test_utils4lessEEvPKT2_PS2_T3_
		.amdhsa_group_segment_fixed_size 2064
		.amdhsa_private_segment_fixed_size 0
		.amdhsa_kernarg_size 20
		.amdhsa_user_sgpr_count 15
		.amdhsa_user_sgpr_dispatch_ptr 0
		.amdhsa_user_sgpr_queue_ptr 0
		.amdhsa_user_sgpr_kernarg_segment_ptr 1
		.amdhsa_user_sgpr_dispatch_id 0
		.amdhsa_user_sgpr_private_segment_size 0
		.amdhsa_wavefront_size32 1
		.amdhsa_uses_dynamic_stack 0
		.amdhsa_enable_private_segment 0
		.amdhsa_system_sgpr_workgroup_id_x 1
		.amdhsa_system_sgpr_workgroup_id_y 0
		.amdhsa_system_sgpr_workgroup_id_z 0
		.amdhsa_system_sgpr_workgroup_info 0
		.amdhsa_system_vgpr_workitem_id 0
		.amdhsa_next_free_vgpr 47
		.amdhsa_next_free_sgpr 41
		.amdhsa_reserve_vcc 1
		.amdhsa_float_round_mode_32 0
		.amdhsa_float_round_mode_16_64 0
		.amdhsa_float_denorm_mode_32 3
		.amdhsa_float_denorm_mode_16_64 3
		.amdhsa_dx10_clamp 1
		.amdhsa_ieee_mode 1
		.amdhsa_fp16_overflow 0
		.amdhsa_workgroup_processor_mode 1
		.amdhsa_memory_ordered 1
		.amdhsa_forward_progress 0
		.amdhsa_shared_vgpr_count 0
		.amdhsa_exception_fp_ieee_invalid_op 0
		.amdhsa_exception_fp_denorm_src 0
		.amdhsa_exception_fp_ieee_div_zero 0
		.amdhsa_exception_fp_ieee_overflow 0
		.amdhsa_exception_fp_ieee_underflow 0
		.amdhsa_exception_fp_ieee_inexact 0
		.amdhsa_exception_int_div_zero 0
	.end_amdhsa_kernel
	.section	.text._Z10sort_pairsILj256ELj16ELj8EhN10test_utils4lessEEvPKT2_PS2_T3_,"axG",@progbits,_Z10sort_pairsILj256ELj16ELj8EhN10test_utils4lessEEvPKT2_PS2_T3_,comdat
.Lfunc_end117:
	.size	_Z10sort_pairsILj256ELj16ELj8EhN10test_utils4lessEEvPKT2_PS2_T3_, .Lfunc_end117-_Z10sort_pairsILj256ELj16ELj8EhN10test_utils4lessEEvPKT2_PS2_T3_
                                        ; -- End function
	.section	.AMDGPU.csdata,"",@progbits
; Kernel info:
; codeLenInByte = 10772
; NumSgprs: 43
; NumVgprs: 47
; ScratchSize: 0
; MemoryBound: 0
; FloatMode: 240
; IeeeMode: 1
; LDSByteSize: 2064 bytes/workgroup (compile time only)
; SGPRBlocks: 5
; VGPRBlocks: 5
; NumSGPRsForWavesPerEU: 43
; NumVGPRsForWavesPerEU: 47
; Occupancy: 16
; WaveLimiterHint : 0
; COMPUTE_PGM_RSRC2:SCRATCH_EN: 0
; COMPUTE_PGM_RSRC2:USER_SGPR: 15
; COMPUTE_PGM_RSRC2:TRAP_HANDLER: 0
; COMPUTE_PGM_RSRC2:TGID_X_EN: 1
; COMPUTE_PGM_RSRC2:TGID_Y_EN: 0
; COMPUTE_PGM_RSRC2:TGID_Z_EN: 0
; COMPUTE_PGM_RSRC2:TIDIG_COMP_CNT: 0
	.section	.text._Z19sort_keys_segmentedILj256ELj16ELj8EhN10test_utils4lessEEvPKT2_PS2_PKjT3_,"axG",@progbits,_Z19sort_keys_segmentedILj256ELj16ELj8EhN10test_utils4lessEEvPKT2_PS2_PKjT3_,comdat
	.protected	_Z19sort_keys_segmentedILj256ELj16ELj8EhN10test_utils4lessEEvPKT2_PS2_PKjT3_ ; -- Begin function _Z19sort_keys_segmentedILj256ELj16ELj8EhN10test_utils4lessEEvPKT2_PS2_PKjT3_
	.globl	_Z19sort_keys_segmentedILj256ELj16ELj8EhN10test_utils4lessEEvPKT2_PS2_PKjT3_
	.p2align	8
	.type	_Z19sort_keys_segmentedILj256ELj16ELj8EhN10test_utils4lessEEvPKT2_PS2_PKjT3_,@function
_Z19sort_keys_segmentedILj256ELj16ELj8EhN10test_utils4lessEEvPKT2_PS2_PKjT3_: ; @_Z19sort_keys_segmentedILj256ELj16ELj8EhN10test_utils4lessEEvPKT2_PS2_PKjT3_
; %bb.0:
	s_clause 0x1
	s_load_b64 s[2:3], s[0:1], 0x10
	s_load_b128 s[16:19], s[0:1], 0x0
	v_lshrrev_b32_e32 v5, 4, v0
	v_mov_b32_e32 v1, 0
                                        ; implicit-def: $vgpr10
	s_delay_alu instid0(VALU_DEP_2) | instskip(NEXT) | instid1(VALU_DEP_1)
	v_lshl_or_b32 v0, s15, 4, v5
	v_lshlrev_b64 v[1:2], 2, v[0:1]
	v_lshlrev_b32_e32 v3, 7, v0
	s_waitcnt lgkmcnt(0)
	s_delay_alu instid0(VALU_DEP_2) | instskip(NEXT) | instid1(VALU_DEP_3)
	v_add_co_u32 v1, vcc_lo, s2, v1
	v_add_co_ci_u32_e32 v2, vcc_lo, s3, v2, vcc_lo
	s_delay_alu instid0(VALU_DEP_3) | instskip(SKIP_2) | instid1(VALU_DEP_1)
	v_add_co_u32 v0, s0, s16, v3
	global_load_b32 v4, v[1:2], off
	v_mbcnt_lo_u32_b32 v1, -1, 0
	v_lshlrev_b32_e32 v6, 3, v1
	v_add_co_ci_u32_e64 v1, null, s17, 0, s0
	s_delay_alu instid0(VALU_DEP_2) | instskip(NEXT) | instid1(VALU_DEP_1)
	v_and_b32_e32 v2, 0x78, v6
	v_add_co_u32 v0, vcc_lo, v0, v2
	s_delay_alu instid0(VALU_DEP_3)
	v_add_co_ci_u32_e32 v1, vcc_lo, 0, v1, vcc_lo
	s_waitcnt vmcnt(0)
	v_cmp_lt_u32_e32 vcc_lo, v2, v4
	s_and_saveexec_b32 s0, vcc_lo
	s_cbranch_execz .LBB118_2
; %bb.1:
	global_load_u8 v10, v[0:1], off
.LBB118_2:
	s_or_b32 exec_lo, exec_lo, s0
	v_or_b32_e32 v8, 1, v2
                                        ; implicit-def: $vgpr11
	s_delay_alu instid0(VALU_DEP_1) | instskip(NEXT) | instid1(VALU_DEP_1)
	v_cmp_lt_u32_e64 s0, v8, v4
	s_and_saveexec_b32 s1, s0
	s_cbranch_execz .LBB118_4
; %bb.3:
	global_load_u8 v11, v[0:1], off offset:1
.LBB118_4:
	s_or_b32 exec_lo, exec_lo, s1
	v_or_b32_e32 v7, 2, v2
                                        ; implicit-def: $vgpr12
	s_delay_alu instid0(VALU_DEP_1) | instskip(NEXT) | instid1(VALU_DEP_1)
	v_cmp_lt_u32_e64 s1, v7, v4
	s_and_saveexec_b32 s2, s1
	s_cbranch_execz .LBB118_6
; %bb.5:
	global_load_u8 v12, v[0:1], off offset:2
.LBB118_6:
	s_or_b32 exec_lo, exec_lo, s2
	v_or_b32_e32 v9, 3, v2
                                        ; implicit-def: $vgpr15
	s_delay_alu instid0(VALU_DEP_1) | instskip(NEXT) | instid1(VALU_DEP_1)
	v_cmp_lt_u32_e64 s2, v9, v4
	s_and_saveexec_b32 s3, s2
	s_cbranch_execz .LBB118_8
; %bb.7:
	global_load_u8 v15, v[0:1], off offset:3
.LBB118_8:
	s_or_b32 exec_lo, exec_lo, s3
	v_or_b32_e32 v13, 4, v2
                                        ; implicit-def: $vgpr16
	s_delay_alu instid0(VALU_DEP_1) | instskip(NEXT) | instid1(VALU_DEP_1)
	v_cmp_lt_u32_e64 s3, v13, v4
	s_and_saveexec_b32 s4, s3
	s_cbranch_execz .LBB118_10
; %bb.9:
	global_load_u8 v16, v[0:1], off offset:4
.LBB118_10:
	s_or_b32 exec_lo, exec_lo, s4
	v_or_b32_e32 v14, 5, v2
                                        ; implicit-def: $vgpr18
	s_delay_alu instid0(VALU_DEP_1) | instskip(NEXT) | instid1(VALU_DEP_1)
	v_cmp_lt_u32_e64 s4, v14, v4
	s_and_saveexec_b32 s5, s4
	s_cbranch_execz .LBB118_12
; %bb.11:
	global_load_u8 v18, v[0:1], off offset:5
.LBB118_12:
	s_or_b32 exec_lo, exec_lo, s5
	v_or_b32_e32 v17, 6, v2
                                        ; implicit-def: $vgpr20
	s_delay_alu instid0(VALU_DEP_1) | instskip(NEXT) | instid1(VALU_DEP_1)
	v_cmp_lt_u32_e64 s5, v17, v4
	s_and_saveexec_b32 s6, s5
	s_cbranch_execz .LBB118_14
; %bb.13:
	global_load_u8 v20, v[0:1], off offset:6
.LBB118_14:
	s_or_b32 exec_lo, exec_lo, s6
	v_or_b32_e32 v19, 7, v2
                                        ; implicit-def: $vgpr21
	s_delay_alu instid0(VALU_DEP_1) | instskip(NEXT) | instid1(VALU_DEP_1)
	v_cmp_lt_u32_e64 s6, v19, v4
	s_and_saveexec_b32 s7, s6
	s_cbranch_execz .LBB118_16
; %bb.15:
	global_load_u8 v21, v[0:1], off offset:7
.LBB118_16:
	s_or_b32 exec_lo, exec_lo, s7
	s_waitcnt vmcnt(0)
	v_and_b32_e32 v0, 0xff, v10
	v_lshlrev_b16 v1, 8, v11
	v_and_b32_e32 v10, 0xff, v12
	v_lshlrev_b16 v11, 8, v15
	v_cmp_lt_i32_e64 s7, v8, v4
	v_and_b32_e32 v8, 0xff, v16
	v_or_b32_e32 v1, v0, v1
	v_or_b32_e32 v0, 0xffffff00, v0
	;; [unrolled: 1-line block ×3, first 2 shown]
	v_and_b32_e32 v12, 0xff, v20
	v_lshlrev_b16 v15, 8, v21
	v_and_b32_e32 v1, 0xffff, v1
	v_and_b32_e32 v0, 0xffff, v0
	v_lshlrev_b32_e32 v10, 16, v10
	v_cmp_lt_i32_e64 s8, v9, v4
	s_mov_b32 s9, exec_lo
	s_delay_alu instid0(VALU_DEP_2) | instskip(SKIP_2) | instid1(VALU_DEP_2)
	v_or_b32_e32 v11, v1, v10
	v_or_b32_e32 v0, v0, v10
	v_lshlrev_b16 v10, 8, v18
	v_cndmask_b32_e64 v0, v0, v11, s7
	s_delay_alu instid0(VALU_DEP_2) | instskip(SKIP_2) | instid1(VALU_DEP_4)
	v_or_b32_e32 v8, v8, v10
	v_or_b32_e32 v10, v12, v15
	v_cmp_lt_i32_e64 s7, v7, v4
	v_lshrrev_b32_e32 v1, 16, v0
	s_delay_alu instid0(VALU_DEP_3) | instskip(NEXT) | instid1(VALU_DEP_2)
	v_lshlrev_b32_e32 v10, 16, v10
	v_or_b32_e32 v1, 0xff, v1
	s_delay_alu instid0(VALU_DEP_1) | instskip(NEXT) | instid1(VALU_DEP_1)
	v_lshlrev_b32_e32 v1, 16, v1
	v_and_or_b32 v0, 0xffff, v0, v1
	v_and_b32_e32 v1, 0xffff, v8
	v_or_b32_e32 v8, 0xff, v8
	s_delay_alu instid0(VALU_DEP_3) | instskip(NEXT) | instid1(VALU_DEP_3)
	v_cndmask_b32_e64 v0, v0, v11, s7
	v_or_b32_e32 v1, v1, v10
	s_delay_alu instid0(VALU_DEP_3) | instskip(SKIP_1) | instid1(VALU_DEP_4)
	v_and_b32_e32 v7, 0xffff, v8
	v_cmp_lt_i32_e64 s7, v13, v4
	v_lshrrev_b32_e32 v8, 16, v0
	s_delay_alu instid0(VALU_DEP_3) | instskip(NEXT) | instid1(VALU_DEP_2)
	v_and_or_b32 v7, 0xffff0000, v1, v7
	v_or_b32_e32 v8, 0xffffff00, v8
	s_delay_alu instid0(VALU_DEP_2) | instskip(NEXT) | instid1(VALU_DEP_2)
	v_cndmask_b32_e64 v7, v7, v1, s7
	v_lshlrev_b32_e32 v8, 16, v8
	s_delay_alu instid0(VALU_DEP_2) | instskip(NEXT) | instid1(VALU_DEP_2)
	v_or_b32_e32 v10, 0xffffff00, v7
	v_and_or_b32 v0, 0xffff, v0, v8
	s_delay_alu instid0(VALU_DEP_2) | instskip(NEXT) | instid1(VALU_DEP_2)
	v_and_b32_e32 v8, 0xffff, v10
	v_cndmask_b32_e64 v0, v0, v11, s8
	s_delay_alu instid0(VALU_DEP_2) | instskip(NEXT) | instid1(VALU_DEP_2)
	v_and_or_b32 v7, 0xffff0000, v7, v8
	v_cndmask_b32_e64 v0, v0, v11, s7
	v_cmp_lt_i32_e64 s7, v14, v4
	s_delay_alu instid0(VALU_DEP_1) | instskip(NEXT) | instid1(VALU_DEP_3)
	v_cndmask_b32_e64 v7, v7, v1, s7
	v_cndmask_b32_e64 v0, v0, v11, s7
	v_cmp_lt_i32_e64 s7, v17, v4
	s_delay_alu instid0(VALU_DEP_3) | instskip(NEXT) | instid1(VALU_DEP_2)
	v_lshrrev_b32_e32 v8, 16, v7
	v_cndmask_b32_e64 v0, v0, v11, s7
	s_delay_alu instid0(VALU_DEP_2) | instskip(NEXT) | instid1(VALU_DEP_1)
	v_or_b32_e32 v8, 0xff, v8
	v_lshlrev_b32_e32 v8, 16, v8
	s_delay_alu instid0(VALU_DEP_1) | instskip(NEXT) | instid1(VALU_DEP_1)
	v_and_or_b32 v7, 0xffff, v7, v8
	v_cndmask_b32_e64 v7, v7, v1, s7
	v_cmp_lt_i32_e64 s7, v19, v4
	s_delay_alu instid0(VALU_DEP_2) | instskip(NEXT) | instid1(VALU_DEP_2)
	v_lshrrev_b32_e32 v8, 16, v7
	v_cndmask_b32_e64 v0, v0, v11, s7
	s_delay_alu instid0(VALU_DEP_2) | instskip(NEXT) | instid1(VALU_DEP_1)
	v_or_b32_e32 v8, 0xffffff00, v8
	v_lshlrev_b32_e32 v8, 16, v8
	s_delay_alu instid0(VALU_DEP_1) | instskip(NEXT) | instid1(VALU_DEP_1)
	v_and_or_b32 v7, 0xffff, v7, v8
	v_cndmask_b32_e64 v1, v7, v1, s7
	v_cmpx_lt_i32_e64 v2, v4
	s_cbranch_execz .LBB118_18
; %bb.17:
	v_lshrrev_b32_e32 v7, 8, v0
	v_perm_b32 v8, 0, v0, 0xc0c0001
	v_and_b32_e32 v9, 0xff, v0
	v_and_b32_e32 v16, 0xff, v1
	s_delay_alu instid0(VALU_DEP_4) | instskip(NEXT) | instid1(VALU_DEP_4)
	v_and_b32_e32 v7, 0xff, v7
	v_and_or_b32 v8, 0xffff0000, v0, v8
	s_delay_alu instid0(VALU_DEP_2) | instskip(SKIP_2) | instid1(VALU_DEP_3)
	v_cmp_lt_u16_e64 s7, v7, v9
	v_max_u16 v13, v7, v9
	v_min_u16 v7, v7, v9
	v_cndmask_b32_e64 v0, v0, v8, s7
	s_delay_alu instid0(VALU_DEP_1) | instskip(SKIP_1) | instid1(VALU_DEP_2)
	v_lshrrev_b32_e32 v8, 16, v0
	v_lshrrev_b32_e32 v11, 24, v0
	v_perm_b32 v10, 0, v8, 0xc0c0001
	v_and_b32_e32 v8, 0xff, v8
	s_delay_alu instid0(VALU_DEP_2) | instskip(NEXT) | instid1(VALU_DEP_2)
	v_lshlrev_b32_e32 v10, 16, v10
	v_cmp_lt_u16_e64 s7, v11, v8
	s_delay_alu instid0(VALU_DEP_2) | instskip(NEXT) | instid1(VALU_DEP_1)
	v_and_or_b32 v10, 0xffff, v0, v10
	v_cndmask_b32_e64 v0, v0, v10, s7
	v_min_u16 v10, v11, v8
	v_max_u16 v8, v11, v8
	s_delay_alu instid0(VALU_DEP_3) | instskip(NEXT) | instid1(VALU_DEP_3)
	v_lshrrev_b32_e32 v12, 16, v0
	v_lshlrev_b16 v14, 8, v10
	v_and_b32_e32 v15, 0xff, v0
	v_cmp_lt_u16_e64 s7, v10, v13
	v_cmp_lt_u16_e64 s8, v10, v7
	v_and_b32_e32 v12, 0xffffff00, v12
	s_delay_alu instid0(VALU_DEP_4) | instskip(SKIP_1) | instid1(VALU_DEP_3)
	v_or_b32_e32 v14, v15, v14
	v_lshrrev_b32_e32 v15, 8, v1
	v_or_b32_e32 v12, v13, v12
	s_delay_alu instid0(VALU_DEP_3) | instskip(NEXT) | instid1(VALU_DEP_2)
	v_and_b32_e32 v14, 0xffff, v14
	v_lshlrev_b32_e32 v12, 16, v12
	s_delay_alu instid0(VALU_DEP_1) | instskip(SKIP_2) | instid1(VALU_DEP_3)
	v_or_b32_e32 v12, v14, v12
	v_and_b32_e32 v14, 0xff, v15
	v_perm_b32 v15, v1, v1, 0x7060405
	v_cndmask_b32_e64 v0, v0, v12, s7
	s_delay_alu instid0(VALU_DEP_3) | instskip(SKIP_1) | instid1(VALU_DEP_2)
	v_cmp_lt_u16_e64 s7, v14, v16
	v_min_u16 v12, v14, v16
	v_cndmask_b32_e64 v1, v1, v15, s7
	s_delay_alu instid0(VALU_DEP_4) | instskip(NEXT) | instid1(VALU_DEP_3)
	v_lshrrev_b32_e32 v15, 16, v0
	v_lshlrev_b16 v19, 8, v12
	s_delay_alu instid0(VALU_DEP_3) | instskip(SKIP_1) | instid1(VALU_DEP_4)
	v_lshrrev_b32_e32 v17, 16, v1
	v_lshrrev_b32_e32 v18, 24, v1
	v_and_b32_e32 v15, 0xff, v15
	v_perm_b32 v20, v1, v1, 0x6070504
	s_delay_alu instid0(VALU_DEP_4) | instskip(NEXT) | instid1(VALU_DEP_3)
	v_and_b32_e32 v17, 0xff, v17
	v_or_b32_e32 v9, v15, v19
	v_lshlrev_b16 v15, 8, v7
	v_min_u16 v19, v10, v13
	s_delay_alu instid0(VALU_DEP_4) | instskip(SKIP_2) | instid1(VALU_DEP_4)
	v_cmp_lt_u16_e64 s7, v18, v17
	v_max_u16 v13, v10, v13
	v_lshlrev_b32_e32 v9, 16, v9
	v_or_b32_e32 v15, v19, v15
	s_delay_alu instid0(VALU_DEP_4) | instskip(SKIP_1) | instid1(VALU_DEP_4)
	v_cndmask_b32_e64 v1, v1, v20, s7
	v_cmp_lt_u16_e64 s7, v12, v8
	v_and_or_b32 v9, 0xffff, v0, v9
	v_min_u16 v20, v12, v8
	v_lshlrev_b16 v21, 8, v13
	v_and_b32_e32 v11, 0xffffff00, v1
	v_and_b32_e32 v15, 0xffff, v15
	v_cndmask_b32_e64 v0, v0, v9, s7
	v_max_u16 v9, v14, v16
	v_or_b32_e32 v14, v20, v21
	v_or_b32_e32 v11, v8, v11
	v_max_u16 v8, v12, v8
	v_and_or_b32 v15, 0xffff0000, v0, v15
	v_max_u16 v16, v18, v17
	v_lshlrev_b32_e32 v14, 16, v14
	v_and_b32_e32 v11, 0xffff, v11
	v_min_u16 v17, v18, v17
	v_cndmask_b32_e64 v0, v0, v15, s8
	v_min_u16 v18, v20, v13
	v_lshlrev_b16 v21, 8, v8
	v_and_or_b32 v11, 0xffff0000, v1, v11
	v_lshlrev_b16 v10, 8, v17
	v_and_or_b32 v12, 0xffff, v0, v14
	v_min_u16 v14, v17, v9
	v_lshlrev_b16 v22, 8, v18
	v_cndmask_b32_e64 v1, v1, v11, s7
	v_cmp_lt_u16_e64 s7, v20, v13
	v_max_u16 v11, v17, v9
	v_or_b32_e32 v21, v14, v21
	v_max_u16 v13, v20, v13
	v_lshrrev_b32_e32 v15, 16, v1
	v_cndmask_b32_e64 v0, v0, v12, s7
	v_and_b32_e32 v12, 0xff, v1
	v_cmp_lt_u16_e64 s7, v17, v9
	s_delay_alu instid0(VALU_DEP_4) | instskip(NEXT) | instid1(VALU_DEP_4)
	v_and_b32_e32 v15, 0xffffff00, v15
	v_lshrrev_b32_e32 v23, 16, v0
	s_delay_alu instid0(VALU_DEP_4) | instskip(SKIP_1) | instid1(VALU_DEP_4)
	v_or_b32_e32 v10, v12, v10
	v_and_b32_e32 v24, 0xff, v0
	v_or_b32_e32 v12, v9, v15
	v_cndmask_b32_e64 v15, v19, v7, s8
	v_and_b32_e32 v23, 0xffffff00, v23
	v_and_b32_e32 v10, 0xffff, v10
	v_or_b32_e32 v22, v24, v22
	v_lshlrev_b32_e32 v12, 16, v12
	v_lshlrev_b16 v24, 8, v11
	v_or_b32_e32 v23, v15, v23
	v_cndmask_b32_e64 v7, v7, v19, s8
	s_delay_alu instid0(VALU_DEP_4) | instskip(SKIP_3) | instid1(VALU_DEP_4)
	v_or_b32_e32 v10, v10, v12
	v_and_b32_e32 v12, 0xffff, v21
	v_and_b32_e32 v21, 0xffff, v22
	v_lshlrev_b32_e32 v22, 16, v23
	v_cndmask_b32_e64 v1, v1, v10, s7
	v_cmp_lt_u16_e64 s7, v18, v15
	v_or_b32_e32 v10, v16, v24
	s_delay_alu instid0(VALU_DEP_4) | instskip(NEXT) | instid1(VALU_DEP_4)
	v_or_b32_e32 v17, v21, v22
	v_and_or_b32 v12, 0xffff0000, v1, v12
	s_delay_alu instid0(VALU_DEP_3) | instskip(NEXT) | instid1(VALU_DEP_3)
	v_lshlrev_b32_e32 v10, 16, v10
	v_cndmask_b32_e64 v0, v0, v17, s7
	v_cmp_lt_u16_e64 s7, v14, v8
	s_delay_alu instid0(VALU_DEP_2) | instskip(NEXT) | instid1(VALU_DEP_2)
	v_lshrrev_b32_e32 v17, 16, v0
	v_cndmask_b32_e64 v1, v1, v12, s7
	v_min_u16 v12, v14, v8
	v_cmp_gt_u16_e64 s7, v9, v16
	v_max_u16 v8, v14, v8
	v_and_b32_e32 v17, 0xff, v17
	v_and_or_b32 v10, 0xffff, v1, v10
	v_lshlrev_b16 v20, 8, v12
	v_cmp_lt_u16_e64 s8, v12, v13
	v_max_u16 v19, v12, v13
	s_delay_alu instid0(VALU_DEP_4) | instskip(NEXT) | instid1(VALU_DEP_4)
	v_cndmask_b32_e64 v1, v1, v10, s7
	v_or_b32_e32 v9, v17, v20
	v_min_u16 v10, v18, v15
	v_lshlrev_b16 v17, 8, v7
	v_max_u16 v15, v18, v15
	v_and_b32_e32 v14, 0xffffff00, v1
	v_lshlrev_b32_e32 v9, 16, v9
	v_min_u16 v18, v12, v13
	v_or_b32_e32 v17, v10, v17
	v_lshlrev_b16 v20, 8, v15
	v_or_b32_e32 v14, v13, v14
	v_and_or_b32 v9, 0xffff, v0, v9
	v_lshlrev_b16 v13, 8, v19
	v_and_b32_e32 v17, 0xffff, v17
	s_delay_alu instid0(VALU_DEP_4) | instskip(NEXT) | instid1(VALU_DEP_4)
	v_and_b32_e32 v14, 0xffff, v14
	v_cndmask_b32_e64 v0, v0, v9, s8
	v_or_b32_e32 v9, v18, v20
	s_delay_alu instid0(VALU_DEP_3) | instskip(NEXT) | instid1(VALU_DEP_3)
	v_and_or_b32 v12, 0xffff0000, v1, v14
	v_and_or_b32 v17, 0xffff0000, v0, v17
	s_delay_alu instid0(VALU_DEP_3) | instskip(SKIP_1) | instid1(VALU_DEP_4)
	v_lshlrev_b32_e32 v9, 16, v9
	v_min_u16 v14, v18, v15
	v_cndmask_b32_e64 v1, v1, v12, s8
	v_cmp_lt_u16_e64 s8, v10, v7
	v_cndmask_b32_e64 v12, v11, v16, s7
	v_cndmask_b32_e64 v11, v16, v11, s7
	v_cmp_lt_u16_e64 s7, v18, v15
	v_lshrrev_b32_e32 v20, 16, v1
	v_cndmask_b32_e64 v0, v0, v17, s8
	v_lshlrev_b16 v22, 8, v12
	v_and_b32_e32 v23, 0xff, v1
	v_max_u16 v17, v10, v7
	v_and_b32_e32 v20, 0xffffff00, v20
	v_and_or_b32 v9, 0xffff, v0, v9
	v_lshlrev_b16 v21, 8, v14
	v_min_u16 v7, v10, v7
	s_delay_alu instid0(VALU_DEP_4) | instskip(NEXT) | instid1(VALU_DEP_4)
	v_or_b32_e32 v16, v8, v20
	v_cndmask_b32_e64 v0, v0, v9, s7
	v_or_b32_e32 v9, v23, v22
	v_min_u16 v20, v12, v8
	v_cmp_lt_u16_e64 s7, v12, v8
	v_lshlrev_b32_e32 v16, 16, v16
	v_lshrrev_b32_e32 v23, 16, v0
	v_and_b32_e32 v9, 0xffff, v9
	v_or_b32_e32 v13, v20, v13
	v_and_b32_e32 v24, 0xff, v0
	v_max_u16 v22, v12, v8
	v_and_b32_e32 v23, 0xffffff00, v23
	v_or_b32_e32 v9, v9, v16
	v_and_b32_e32 v13, 0xffff, v13
	v_or_b32_e32 v16, v24, v21
	v_lshlrev_b16 v25, 8, v22
	v_or_b32_e32 v21, v17, v23
	v_cndmask_b32_e64 v1, v1, v9, s7
	v_cmp_lt_u16_e64 s7, v20, v19
	v_and_b32_e32 v9, 0xffff, v16
	v_or_b32_e32 v8, v11, v25
	v_lshlrev_b32_e32 v12, 16, v21
	v_and_or_b32 v13, 0xffff0000, v1, v13
	v_min_u16 v10, v20, v19
	s_delay_alu instid0(VALU_DEP_4) | instskip(NEXT) | instid1(VALU_DEP_4)
	v_lshlrev_b32_e32 v8, 16, v8
	v_or_b32_e32 v9, v9, v12
	s_delay_alu instid0(VALU_DEP_4) | instskip(SKIP_2) | instid1(VALU_DEP_3)
	v_cndmask_b32_e64 v1, v1, v13, s7
	v_cmp_lt_u16_e64 s7, v14, v17
	v_lshlrev_b16 v13, 8, v10
	v_and_or_b32 v8, 0xffff, v1, v8
	s_delay_alu instid0(VALU_DEP_3)
	v_cndmask_b32_e64 v0, v0, v9, s7
	v_cmp_lt_u16_e64 s7, v11, v22
	v_max_u16 v9, v18, v15
	v_lshlrev_b16 v15, 8, v7
	v_max_u16 v18, v20, v19
	v_lshrrev_b32_e32 v12, 16, v0
	v_cndmask_b32_e64 v1, v1, v8, s7
	v_min_u16 v8, v14, v17
	v_max_u16 v17, v14, v17
	v_cmp_lt_u16_e64 s7, v10, v9
	v_and_b32_e32 v12, 0xff, v12
	v_and_b32_e32 v16, 0xffffff00, v1
	v_min_u16 v20, v10, v9
	v_max_u16 v19, v11, v22
	v_min_u16 v11, v11, v22
	v_or_b32_e32 v12, v12, v13
	v_or_b32_e32 v13, v8, v15
	;; [unrolled: 1-line block ×3, first 2 shown]
	v_lshlrev_b16 v16, 8, v17
	v_max_u16 v9, v10, v9
	v_lshlrev_b32_e32 v12, 16, v12
	v_and_b32_e32 v13, 0xffff, v13
	v_and_b32_e32 v15, 0xffff, v15
	v_or_b32_e32 v10, v20, v16
	v_cmp_lt_u16_e64 s8, v20, v17
	v_and_or_b32 v12, 0xffff, v0, v12
	v_lshlrev_b16 v21, 8, v9
	v_and_or_b32 v15, 0xffff0000, v1, v15
	v_lshlrev_b32_e32 v10, 16, v10
	v_min_u16 v22, v20, v17
	v_cndmask_b32_e64 v0, v0, v12, s7
	v_lshlrev_b16 v12, 8, v11
	v_cndmask_b32_e64 v1, v1, v15, s7
	v_cmp_lt_u16_e64 s7, v14, v7
	v_max_u16 v15, v11, v18
	v_and_or_b32 v13, 0xffff0000, v0, v13
	v_lshlrev_b16 v23, 8, v22
	v_lshrrev_b32_e32 v16, 16, v1
	v_and_b32_e32 v14, 0xff, v1
	v_cndmask_b32_e64 v7, v8, v7, s7
	v_cndmask_b32_e64 v0, v0, v13, s7
	v_min_u16 v13, v11, v18
	v_and_b32_e32 v16, 0xffffff00, v16
	v_or_b32_e32 v12, v14, v12
	v_cmp_lt_u16_e64 s7, v11, v18
	v_and_or_b32 v10, 0xffff, v0, v10
	s_delay_alu instid0(VALU_DEP_4) | instskip(NEXT) | instid1(VALU_DEP_4)
	v_or_b32_e32 v14, v18, v16
	v_and_b32_e32 v12, 0xffff, v12
	v_or_b32_e32 v16, v13, v21
	s_delay_alu instid0(VALU_DEP_4) | instskip(SKIP_2) | instid1(VALU_DEP_4)
	v_cndmask_b32_e64 v0, v0, v10, s8
	v_lshlrev_b16 v10, 8, v15
	v_lshlrev_b32_e32 v14, 16, v14
	v_and_b32_e32 v16, 0xffff, v16
	s_delay_alu instid0(VALU_DEP_4) | instskip(NEXT) | instid1(VALU_DEP_4)
	v_lshrrev_b32_e32 v21, 16, v0
	v_or_b32_e32 v10, v19, v10
	s_delay_alu instid0(VALU_DEP_4) | instskip(SKIP_1) | instid1(VALU_DEP_4)
	v_or_b32_e32 v8, v12, v14
	v_and_b32_e32 v12, 0xff, v0
	v_and_b32_e32 v14, 0xffffff00, v21
	s_delay_alu instid0(VALU_DEP_4) | instskip(NEXT) | instid1(VALU_DEP_4)
	v_lshlrev_b32_e32 v10, 16, v10
	v_cndmask_b32_e64 v1, v1, v8, s7
	s_delay_alu instid0(VALU_DEP_4) | instskip(SKIP_2) | instid1(VALU_DEP_4)
	v_or_b32_e32 v8, v12, v23
	v_cmp_lt_u16_e64 s7, v13, v9
	v_or_b32_e32 v11, v7, v14
	v_and_or_b32 v12, 0xffff0000, v1, v16
	s_delay_alu instid0(VALU_DEP_4) | instskip(NEXT) | instid1(VALU_DEP_3)
	v_and_b32_e32 v8, 0xffff, v8
	v_lshlrev_b32_e32 v11, 16, v11
	s_delay_alu instid0(VALU_DEP_3) | instskip(SKIP_2) | instid1(VALU_DEP_4)
	v_cndmask_b32_e64 v1, v1, v12, s7
	v_cmp_lt_u16_e64 s7, v22, v7
	v_min_u16 v7, v13, v9
	v_or_b32_e32 v8, v8, v11
	v_max_u16 v9, v13, v9
	v_and_or_b32 v10, 0xffff, v1, v10
	s_delay_alu instid0(VALU_DEP_4) | instskip(NEXT) | instid1(VALU_DEP_4)
	v_lshlrev_b16 v11, 8, v7
	v_cndmask_b32_e64 v0, v0, v8, s7
	v_cmp_gt_u16_e64 s7, v18, v19
	s_delay_alu instid0(VALU_DEP_2) | instskip(NEXT) | instid1(VALU_DEP_2)
	v_lshrrev_b32_e32 v8, 16, v0
	v_cndmask_b32_e64 v1, v1, v10, s7
	v_max_u16 v10, v20, v17
	s_delay_alu instid0(VALU_DEP_3) | instskip(NEXT) | instid1(VALU_DEP_3)
	v_and_b32_e32 v8, 0xff, v8
	v_and_b32_e32 v12, 0xffffff00, v1
	s_delay_alu instid0(VALU_DEP_3) | instskip(SKIP_1) | instid1(VALU_DEP_4)
	v_cmp_lt_u16_e64 s8, v7, v10
	v_cndmask_b32_e64 v7, v15, v19, s7
	v_or_b32_e32 v8, v8, v11
	s_delay_alu instid0(VALU_DEP_4) | instskip(NEXT) | instid1(VALU_DEP_3)
	v_or_b32_e32 v12, v10, v12
	v_cmp_lt_u16_e64 s7, v7, v9
	s_delay_alu instid0(VALU_DEP_3) | instskip(NEXT) | instid1(VALU_DEP_3)
	v_lshlrev_b32_e32 v8, 16, v8
	v_and_b32_e32 v11, 0xffff, v12
	s_delay_alu instid0(VALU_DEP_2) | instskip(NEXT) | instid1(VALU_DEP_2)
	v_and_or_b32 v8, 0xffff, v0, v8
	v_and_or_b32 v11, 0xffff0000, v1, v11
	s_delay_alu instid0(VALU_DEP_2) | instskip(NEXT) | instid1(VALU_DEP_2)
	v_cndmask_b32_e64 v0, v0, v8, s8
	v_cndmask_b32_e64 v1, v1, v11, s8
	v_lshlrev_b16 v11, 8, v7
	s_delay_alu instid0(VALU_DEP_2) | instskip(SKIP_1) | instid1(VALU_DEP_2)
	v_lshrrev_b32_e32 v8, 16, v1
	v_and_b32_e32 v10, 0xff, v1
	v_and_b32_e32 v8, 0xffffff00, v8
	s_delay_alu instid0(VALU_DEP_2) | instskip(NEXT) | instid1(VALU_DEP_2)
	v_or_b32_e32 v10, v10, v11
	v_or_b32_e32 v8, v9, v8
	s_delay_alu instid0(VALU_DEP_2) | instskip(NEXT) | instid1(VALU_DEP_2)
	v_and_b32_e32 v10, 0xffff, v10
	v_lshlrev_b32_e32 v8, 16, v8
	s_delay_alu instid0(VALU_DEP_1) | instskip(NEXT) | instid1(VALU_DEP_1)
	v_or_b32_e32 v8, v10, v8
	v_cndmask_b32_e64 v1, v1, v8, s7
.LBB118_18:
	s_or_b32 exec_lo, exec_lo, s9
	v_and_b32_e32 v7, 0x70, v6
	v_and_b32_e32 v10, 8, v6
	s_mov_b32 s8, exec_lo
	; wave barrier
	s_delay_alu instid0(VALU_DEP_2) | instskip(NEXT) | instid1(VALU_DEP_2)
	v_min_i32_e32 v9, v4, v7
	v_min_i32_e32 v10, v4, v10
	s_delay_alu instid0(VALU_DEP_2) | instskip(NEXT) | instid1(VALU_DEP_1)
	v_add_nc_u32_e32 v7, 8, v9
	v_min_i32_e32 v8, v4, v7
	s_delay_alu instid0(VALU_DEP_1) | instskip(SKIP_1) | instid1(VALU_DEP_2)
	v_add_nc_u32_e32 v7, 8, v8
	v_sub_nc_u32_e32 v13, v8, v9
	v_min_i32_e32 v7, v4, v7
	s_delay_alu instid0(VALU_DEP_1) | instskip(NEXT) | instid1(VALU_DEP_1)
	v_sub_nc_u32_e32 v11, v7, v8
	v_sub_nc_u32_e32 v12, v10, v11
	v_cmp_ge_i32_e64 s7, v10, v11
	s_delay_alu instid0(VALU_DEP_1)
	v_cndmask_b32_e64 v11, 0, v12, s7
	v_min_i32_e32 v12, v10, v13
	v_mad_u32_u24 v13, 0x81, v5, v2
	v_mul_u32_u24_e32 v5, 0x81, v5
	ds_store_b64 v13, v[0:1]
	; wave barrier
	v_cmpx_lt_i32_e64 v11, v12
	s_cbranch_execz .LBB118_22
; %bb.19:
	v_add_nc_u32_e32 v0, v5, v9
	v_add3_u32 v1, v5, v8, v10
	s_mov_b32 s9, 0
	.p2align	6
.LBB118_20:                             ; =>This Inner Loop Header: Depth=1
	v_sub_nc_u32_e32 v13, v12, v11
	s_delay_alu instid0(VALU_DEP_1) | instskip(NEXT) | instid1(VALU_DEP_1)
	v_lshrrev_b32_e32 v14, 31, v13
	v_add_nc_u32_e32 v13, v13, v14
	s_delay_alu instid0(VALU_DEP_1) | instskip(NEXT) | instid1(VALU_DEP_1)
	v_ashrrev_i32_e32 v13, 1, v13
	v_add_nc_u32_e32 v13, v13, v11
	s_delay_alu instid0(VALU_DEP_1)
	v_add_nc_u32_e32 v14, v0, v13
	v_xad_u32 v15, v13, -1, v1
	v_add_nc_u32_e32 v16, 1, v13
	ds_load_u8 v14, v14
	ds_load_u8 v15, v15
	s_waitcnt lgkmcnt(0)
	v_cmp_lt_u16_e64 s7, v15, v14
	s_delay_alu instid0(VALU_DEP_1) | instskip(SKIP_1) | instid1(VALU_DEP_1)
	v_cndmask_b32_e64 v12, v12, v13, s7
	v_cndmask_b32_e64 v11, v16, v11, s7
	v_cmp_ge_i32_e64 s7, v11, v12
	s_delay_alu instid0(VALU_DEP_1) | instskip(NEXT) | instid1(SALU_CYCLE_1)
	s_or_b32 s9, s7, s9
	s_and_not1_b32 exec_lo, exec_lo, s9
	s_cbranch_execnz .LBB118_20
; %bb.21:
	s_or_b32 exec_lo, exec_lo, s9
.LBB118_22:
	s_delay_alu instid0(SALU_CYCLE_1) | instskip(SKIP_2) | instid1(VALU_DEP_2)
	s_or_b32 exec_lo, exec_lo, s8
	v_add_nc_u32_e32 v0, v8, v10
	v_add_nc_u32_e32 v12, v11, v9
	v_sub_nc_u32_e32 v11, v0, v11
	s_delay_alu instid0(VALU_DEP_2) | instskip(SKIP_1) | instid1(VALU_DEP_3)
	v_add_nc_u32_e32 v14, v5, v12
	v_cmp_le_i32_e64 s7, v8, v12
	v_add_nc_u32_e32 v13, v5, v11
	v_cmp_gt_i32_e64 s9, v7, v11
	ds_load_u8 v0, v14
	ds_load_u8 v1, v13
	s_waitcnt lgkmcnt(1)
	v_and_b32_e32 v9, 0xff, v0
	s_waitcnt lgkmcnt(0)
	v_and_b32_e32 v10, 0xff, v1
	s_delay_alu instid0(VALU_DEP_1) | instskip(NEXT) | instid1(VALU_DEP_1)
	v_cmp_lt_u16_e64 s8, v10, v9
                                        ; implicit-def: $vgpr9
                                        ; implicit-def: $vgpr10
	s_or_b32 s7, s7, s8
	s_delay_alu instid0(SALU_CYCLE_1) | instskip(NEXT) | instid1(SALU_CYCLE_1)
	s_and_b32 s7, s9, s7
	s_xor_b32 s8, s7, -1
	s_delay_alu instid0(SALU_CYCLE_1) | instskip(NEXT) | instid1(SALU_CYCLE_1)
	s_and_saveexec_b32 s9, s8
	s_xor_b32 s8, exec_lo, s9
	s_cbranch_execz .LBB118_24
; %bb.23:
	ds_load_u8 v10, v14 offset:1
	v_mov_b32_e32 v9, v1
                                        ; implicit-def: $vgpr13
.LBB118_24:
	s_and_not1_saveexec_b32 s8, s8
	s_cbranch_execz .LBB118_26
; %bb.25:
	ds_load_u8 v9, v13 offset:1
	s_waitcnt lgkmcnt(1)
	v_mov_b32_e32 v10, v0
.LBB118_26:
	s_or_b32 exec_lo, exec_lo, s8
	v_add_nc_u32_e32 v13, 1, v12
	v_add_nc_u32_e32 v15, 1, v11
	s_waitcnt lgkmcnt(0)
	v_and_b32_e32 v16, 0xff, v10
	s_delay_alu instid0(VALU_DEP_3) | instskip(SKIP_2) | instid1(VALU_DEP_3)
	v_cndmask_b32_e64 v14, v13, v12, s7
	v_and_b32_e32 v12, 0xff, v9
	v_cndmask_b32_e64 v13, v11, v15, s7
                                        ; implicit-def: $vgpr11
	v_cmp_ge_i32_e64 s8, v14, v8
	s_delay_alu instid0(VALU_DEP_3) | instskip(NEXT) | instid1(VALU_DEP_3)
	v_cmp_lt_u16_e64 s9, v12, v16
	v_cmp_lt_i32_e64 s10, v13, v7
	s_delay_alu instid0(VALU_DEP_2)
	s_or_b32 s8, s8, s9
	s_delay_alu instid0(VALU_DEP_1) | instid1(SALU_CYCLE_1)
	s_and_b32 s8, s10, s8
	s_delay_alu instid0(SALU_CYCLE_1) | instskip(NEXT) | instid1(SALU_CYCLE_1)
	s_xor_b32 s9, s8, -1
	s_and_saveexec_b32 s10, s9
	s_delay_alu instid0(SALU_CYCLE_1)
	s_xor_b32 s9, exec_lo, s10
	s_cbranch_execz .LBB118_28
; %bb.27:
	v_add_nc_u32_e32 v11, v5, v14
	ds_load_u8 v11, v11 offset:1
.LBB118_28:
	s_or_saveexec_b32 s9, s9
	v_mov_b32_e32 v12, v9
	s_xor_b32 exec_lo, exec_lo, s9
	s_cbranch_execz .LBB118_30
; %bb.29:
	s_waitcnt lgkmcnt(0)
	v_add_nc_u32_e32 v11, v5, v13
	ds_load_u8 v12, v11 offset:1
	v_mov_b32_e32 v11, v10
.LBB118_30:
	s_or_b32 exec_lo, exec_lo, s9
	v_add_nc_u32_e32 v15, 1, v14
	v_add_nc_u32_e32 v17, 1, v13
	s_waitcnt lgkmcnt(0)
	v_and_b32_e32 v18, 0xff, v11
	s_delay_alu instid0(VALU_DEP_3) | instskip(SKIP_2) | instid1(VALU_DEP_3)
	v_cndmask_b32_e64 v16, v15, v14, s8
	v_and_b32_e32 v14, 0xff, v12
	v_cndmask_b32_e64 v15, v13, v17, s8
                                        ; implicit-def: $vgpr13
	v_cmp_ge_i32_e64 s9, v16, v8
	s_delay_alu instid0(VALU_DEP_3) | instskip(NEXT) | instid1(VALU_DEP_3)
	v_cmp_lt_u16_e64 s10, v14, v18
	v_cmp_lt_i32_e64 s11, v15, v7
	s_delay_alu instid0(VALU_DEP_2)
	s_or_b32 s9, s9, s10
	s_delay_alu instid0(VALU_DEP_1) | instid1(SALU_CYCLE_1)
	s_and_b32 s9, s11, s9
	s_delay_alu instid0(SALU_CYCLE_1) | instskip(NEXT) | instid1(SALU_CYCLE_1)
	s_xor_b32 s10, s9, -1
	s_and_saveexec_b32 s11, s10
	s_delay_alu instid0(SALU_CYCLE_1)
	s_xor_b32 s10, exec_lo, s11
	s_cbranch_execz .LBB118_32
; %bb.31:
	v_add_nc_u32_e32 v13, v5, v16
	ds_load_u8 v13, v13 offset:1
.LBB118_32:
	s_or_saveexec_b32 s10, s10
	v_mov_b32_e32 v14, v12
	s_xor_b32 exec_lo, exec_lo, s10
	s_cbranch_execz .LBB118_34
; %bb.33:
	s_waitcnt lgkmcnt(0)
	v_add_nc_u32_e32 v13, v5, v15
	ds_load_u8 v14, v13 offset:1
	v_mov_b32_e32 v13, v11
.LBB118_34:
	s_or_b32 exec_lo, exec_lo, s10
	v_add_nc_u32_e32 v17, 1, v16
	v_add_nc_u32_e32 v19, 1, v15
	s_waitcnt lgkmcnt(0)
	v_and_b32_e32 v20, 0xff, v13
	s_delay_alu instid0(VALU_DEP_3) | instskip(SKIP_2) | instid1(VALU_DEP_3)
	v_cndmask_b32_e64 v18, v17, v16, s9
	v_and_b32_e32 v16, 0xff, v14
	v_cndmask_b32_e64 v17, v15, v19, s9
                                        ; implicit-def: $vgpr15
	v_cmp_ge_i32_e64 s10, v18, v8
	s_delay_alu instid0(VALU_DEP_3) | instskip(NEXT) | instid1(VALU_DEP_3)
	v_cmp_lt_u16_e64 s11, v16, v20
	v_cmp_lt_i32_e64 s12, v17, v7
	s_delay_alu instid0(VALU_DEP_2)
	s_or_b32 s10, s10, s11
	s_delay_alu instid0(VALU_DEP_1) | instid1(SALU_CYCLE_1)
	s_and_b32 s10, s12, s10
	s_delay_alu instid0(SALU_CYCLE_1) | instskip(NEXT) | instid1(SALU_CYCLE_1)
	s_xor_b32 s11, s10, -1
	s_and_saveexec_b32 s12, s11
	s_delay_alu instid0(SALU_CYCLE_1)
	s_xor_b32 s11, exec_lo, s12
	s_cbranch_execz .LBB118_36
; %bb.35:
	v_add_nc_u32_e32 v15, v5, v18
	ds_load_u8 v15, v15 offset:1
.LBB118_36:
	s_or_saveexec_b32 s11, s11
	v_mov_b32_e32 v16, v14
	s_xor_b32 exec_lo, exec_lo, s11
	s_cbranch_execz .LBB118_38
; %bb.37:
	s_waitcnt lgkmcnt(0)
	v_add_nc_u32_e32 v15, v5, v17
	ds_load_u8 v16, v15 offset:1
	v_mov_b32_e32 v15, v13
.LBB118_38:
	s_or_b32 exec_lo, exec_lo, s11
	v_add_nc_u32_e32 v19, 1, v18
	v_add_nc_u32_e32 v21, 1, v17
	s_waitcnt lgkmcnt(0)
	v_and_b32_e32 v22, 0xff, v15
	s_delay_alu instid0(VALU_DEP_3) | instskip(SKIP_2) | instid1(VALU_DEP_3)
	v_cndmask_b32_e64 v20, v19, v18, s10
	v_and_b32_e32 v18, 0xff, v16
	v_cndmask_b32_e64 v19, v17, v21, s10
                                        ; implicit-def: $vgpr17
	v_cmp_ge_i32_e64 s11, v20, v8
	s_delay_alu instid0(VALU_DEP_3) | instskip(NEXT) | instid1(VALU_DEP_3)
	v_cmp_lt_u16_e64 s12, v18, v22
	v_cmp_lt_i32_e64 s13, v19, v7
	s_delay_alu instid0(VALU_DEP_2)
	s_or_b32 s11, s11, s12
	s_delay_alu instid0(VALU_DEP_1) | instid1(SALU_CYCLE_1)
	s_and_b32 s11, s13, s11
	s_delay_alu instid0(SALU_CYCLE_1) | instskip(NEXT) | instid1(SALU_CYCLE_1)
	s_xor_b32 s12, s11, -1
	s_and_saveexec_b32 s13, s12
	s_delay_alu instid0(SALU_CYCLE_1)
	s_xor_b32 s12, exec_lo, s13
	s_cbranch_execz .LBB118_40
; %bb.39:
	v_add_nc_u32_e32 v17, v5, v20
	ds_load_u8 v17, v17 offset:1
.LBB118_40:
	s_or_saveexec_b32 s12, s12
	v_mov_b32_e32 v18, v16
	s_xor_b32 exec_lo, exec_lo, s12
	s_cbranch_execz .LBB118_42
; %bb.41:
	s_waitcnt lgkmcnt(0)
	v_add_nc_u32_e32 v17, v5, v19
	ds_load_u8 v18, v17 offset:1
	v_mov_b32_e32 v17, v15
.LBB118_42:
	s_or_b32 exec_lo, exec_lo, s12
	v_add_nc_u32_e32 v21, 1, v20
	v_add_nc_u32_e32 v22, 1, v19
	s_waitcnt lgkmcnt(0)
	v_and_b32_e32 v23, 0xff, v17
	s_delay_alu instid0(VALU_DEP_3) | instskip(SKIP_2) | instid1(VALU_DEP_3)
	v_cndmask_b32_e64 v20, v21, v20, s11
	v_and_b32_e32 v21, 0xff, v18
	v_cndmask_b32_e64 v19, v19, v22, s11
	v_cmp_ge_i32_e64 s12, v20, v8
	s_delay_alu instid0(VALU_DEP_3) | instskip(NEXT) | instid1(VALU_DEP_3)
	v_cmp_lt_u16_e64 s13, v21, v23
	v_cmp_lt_i32_e64 s14, v19, v7
                                        ; implicit-def: $vgpr21
	s_delay_alu instid0(VALU_DEP_2)
	s_or_b32 s12, s12, s13
	s_delay_alu instid0(VALU_DEP_1) | instid1(SALU_CYCLE_1)
	s_and_b32 s12, s14, s12
	s_delay_alu instid0(SALU_CYCLE_1) | instskip(NEXT) | instid1(SALU_CYCLE_1)
	s_xor_b32 s13, s12, -1
	s_and_saveexec_b32 s14, s13
	s_delay_alu instid0(SALU_CYCLE_1)
	s_xor_b32 s13, exec_lo, s14
	s_cbranch_execz .LBB118_44
; %bb.43:
	v_add_nc_u32_e32 v21, v5, v20
	ds_load_u8 v21, v21 offset:1
.LBB118_44:
	s_or_saveexec_b32 s13, s13
	v_mov_b32_e32 v22, v18
	s_xor_b32 exec_lo, exec_lo, s13
	s_cbranch_execz .LBB118_46
; %bb.45:
	s_waitcnt lgkmcnt(0)
	v_add_nc_u32_e32 v21, v5, v19
	ds_load_u8 v22, v21 offset:1
	v_mov_b32_e32 v21, v17
.LBB118_46:
	s_or_b32 exec_lo, exec_lo, s13
	v_add_nc_u32_e32 v23, 1, v20
	v_add_nc_u32_e32 v24, 1, v19
	s_waitcnt lgkmcnt(0)
	v_and_b32_e32 v25, 0xff, v21
	s_delay_alu instid0(VALU_DEP_3) | instskip(SKIP_2) | instid1(VALU_DEP_3)
	v_cndmask_b32_e64 v23, v23, v20, s12
	v_and_b32_e32 v20, 0xff, v22
	v_cndmask_b32_e64 v24, v19, v24, s12
                                        ; implicit-def: $vgpr19
	v_cmp_ge_i32_e64 s13, v23, v8
	s_delay_alu instid0(VALU_DEP_3) | instskip(NEXT) | instid1(VALU_DEP_3)
	v_cmp_lt_u16_e64 s14, v20, v25
	v_cmp_lt_i32_e64 s15, v24, v7
	s_delay_alu instid0(VALU_DEP_2)
	s_or_b32 s13, s13, s14
	s_delay_alu instid0(VALU_DEP_1) | instid1(SALU_CYCLE_1)
	s_and_b32 s13, s15, s13
	s_delay_alu instid0(SALU_CYCLE_1) | instskip(NEXT) | instid1(SALU_CYCLE_1)
	s_xor_b32 s14, s13, -1
	s_and_saveexec_b32 s15, s14
	s_delay_alu instid0(SALU_CYCLE_1)
	s_xor_b32 s14, exec_lo, s15
	s_cbranch_execz .LBB118_48
; %bb.47:
	v_add_nc_u32_e32 v19, v5, v23
	ds_load_u8 v19, v19 offset:1
.LBB118_48:
	s_or_saveexec_b32 s14, s14
	v_mov_b32_e32 v20, v22
	s_xor_b32 exec_lo, exec_lo, s14
	s_cbranch_execz .LBB118_50
; %bb.49:
	s_waitcnt lgkmcnt(0)
	v_add_nc_u32_e32 v19, v5, v24
	ds_load_u8 v20, v19 offset:1
	v_mov_b32_e32 v19, v21
.LBB118_50:
	s_or_b32 exec_lo, exec_lo, s14
	v_add_nc_u32_e32 v25, 1, v24
	v_add_nc_u32_e32 v26, 1, v23
	v_cndmask_b32_e64 v21, v21, v22, s13
	v_cndmask_b32_e64 v17, v17, v18, s12
	v_cndmask_b32_e64 v11, v11, v12, s9
	v_cndmask_b32_e64 v18, v24, v25, s13
	v_cndmask_b32_e64 v22, v26, v23, s13
	v_and_b32_e32 v24, 0x60, v6
	v_cndmask_b32_e64 v15, v15, v16, s11
	s_waitcnt lgkmcnt(0)
	v_and_b32_e32 v16, 0xff, v19
	v_and_b32_e32 v23, 0xff, v20
	v_cmp_ge_i32_e64 s9, v22, v8
	v_min_i32_e32 v8, v4, v24
	v_cndmask_b32_e64 v9, v10, v9, s8
	v_cndmask_b32_e64 v0, v0, v1, s7
	;; [unrolled: 1-line block ×3, first 2 shown]
	v_cmp_lt_u16_e64 s10, v23, v16
	v_add_nc_u32_e32 v1, 16, v8
	v_cmp_lt_i32_e64 s7, v18, v7
	v_lshlrev_b16 v7, 8, v9
	v_and_b32_e32 v9, 0xff, v0
	s_or_b32 s8, s9, s10
	v_min_i32_e32 v1, v4, v1
	s_and_b32 s7, s7, s8
	v_lshlrev_b16 v10, 8, v13
	v_and_b32_e32 v11, 0xff, v11
	v_cndmask_b32_e64 v12, v19, v20, s7
	v_or_b32_e32 v13, v9, v7
	v_add_nc_u32_e32 v7, 16, v1
	v_lshlrev_b16 v9, 8, v17
	v_or_b32_e32 v10, v11, v10
	v_and_b32_e32 v11, 0xff, v15
	v_and_b32_e32 v14, 24, v6
	v_min_i32_e32 v7, v4, v7
	v_and_b32_e32 v15, 0xff, v21
	v_lshlrev_b16 v12, 8, v12
	v_or_b32_e32 v11, v11, v9
	v_min_i32_e32 v9, v4, v14
	v_sub_nc_u32_e32 v14, v7, v1
	v_and_b32_e32 v13, 0xffff, v13
	v_or_b32_e32 v12, v15, v12
	v_lshlrev_b32_e32 v10, 16, v10
	v_and_b32_e32 v15, 0xffff, v11
	v_sub_nc_u32_e32 v11, v9, v14
	v_sub_nc_u32_e32 v16, v1, v8
	v_lshlrev_b32_e32 v17, 16, v12
	v_cmp_ge_i32_e64 s7, v9, v14
	v_add_nc_u32_e32 v0, v5, v2
	v_or_b32_e32 v12, v13, v10
	s_mov_b32 s9, 0
	v_or_b32_e32 v13, v15, v17
	v_cndmask_b32_e64 v10, 0, v11, s7
	v_min_i32_e32 v11, v9, v16
	s_mov_b32 s8, exec_lo
	; wave barrier
	ds_store_b64 v0, v[12:13]
	; wave barrier
	v_cmpx_lt_i32_e64 v10, v11
	s_cbranch_execz .LBB118_54
; %bb.51:
	v_add_nc_u32_e32 v12, v5, v8
	v_add3_u32 v13, v5, v1, v9
	.p2align	6
.LBB118_52:                             ; =>This Inner Loop Header: Depth=1
	v_sub_nc_u32_e32 v14, v11, v10
	s_delay_alu instid0(VALU_DEP_1) | instskip(NEXT) | instid1(VALU_DEP_1)
	v_lshrrev_b32_e32 v15, 31, v14
	v_add_nc_u32_e32 v14, v14, v15
	s_delay_alu instid0(VALU_DEP_1) | instskip(NEXT) | instid1(VALU_DEP_1)
	v_ashrrev_i32_e32 v14, 1, v14
	v_add_nc_u32_e32 v14, v14, v10
	s_delay_alu instid0(VALU_DEP_1)
	v_add_nc_u32_e32 v15, v12, v14
	v_xad_u32 v16, v14, -1, v13
	v_add_nc_u32_e32 v17, 1, v14
	ds_load_u8 v15, v15
	ds_load_u8 v16, v16
	s_waitcnt lgkmcnt(0)
	v_cmp_lt_u16_e64 s7, v16, v15
	s_delay_alu instid0(VALU_DEP_1) | instskip(SKIP_1) | instid1(VALU_DEP_1)
	v_cndmask_b32_e64 v11, v11, v14, s7
	v_cndmask_b32_e64 v10, v17, v10, s7
	v_cmp_ge_i32_e64 s7, v10, v11
	s_delay_alu instid0(VALU_DEP_1) | instskip(NEXT) | instid1(SALU_CYCLE_1)
	s_or_b32 s9, s7, s9
	s_and_not1_b32 exec_lo, exec_lo, s9
	s_cbranch_execnz .LBB118_52
; %bb.53:
	s_or_b32 exec_lo, exec_lo, s9
.LBB118_54:
	s_delay_alu instid0(SALU_CYCLE_1) | instskip(SKIP_2) | instid1(VALU_DEP_2)
	s_or_b32 exec_lo, exec_lo, s8
	v_add_nc_u32_e32 v9, v1, v9
	v_add_nc_u32_e32 v13, v10, v8
	v_sub_nc_u32_e32 v12, v9, v10
	s_delay_alu instid0(VALU_DEP_2) | instskip(SKIP_1) | instid1(VALU_DEP_3)
	v_add_nc_u32_e32 v15, v5, v13
	v_cmp_le_i32_e64 s7, v1, v13
	v_add_nc_u32_e32 v14, v5, v12
	v_cmp_gt_i32_e64 s9, v7, v12
	ds_load_u8 v8, v15
	ds_load_u8 v9, v14
	s_waitcnt lgkmcnt(1)
	v_and_b32_e32 v10, 0xff, v8
	s_waitcnt lgkmcnt(0)
	v_and_b32_e32 v11, 0xff, v9
	s_delay_alu instid0(VALU_DEP_1) | instskip(NEXT) | instid1(VALU_DEP_1)
	v_cmp_lt_u16_e64 s8, v11, v10
                                        ; implicit-def: $vgpr10
                                        ; implicit-def: $vgpr11
	s_or_b32 s7, s7, s8
	s_delay_alu instid0(SALU_CYCLE_1) | instskip(NEXT) | instid1(SALU_CYCLE_1)
	s_and_b32 s7, s9, s7
	s_xor_b32 s8, s7, -1
	s_delay_alu instid0(SALU_CYCLE_1) | instskip(NEXT) | instid1(SALU_CYCLE_1)
	s_and_saveexec_b32 s9, s8
	s_xor_b32 s8, exec_lo, s9
	s_cbranch_execz .LBB118_56
; %bb.55:
	ds_load_u8 v11, v15 offset:1
	v_mov_b32_e32 v10, v9
                                        ; implicit-def: $vgpr14
.LBB118_56:
	s_and_not1_saveexec_b32 s8, s8
	s_cbranch_execz .LBB118_58
; %bb.57:
	ds_load_u8 v10, v14 offset:1
	s_waitcnt lgkmcnt(1)
	v_mov_b32_e32 v11, v8
.LBB118_58:
	s_or_b32 exec_lo, exec_lo, s8
	v_add_nc_u32_e32 v14, 1, v13
	v_add_nc_u32_e32 v16, 1, v12
	s_waitcnt lgkmcnt(0)
	v_and_b32_e32 v17, 0xff, v11
	s_delay_alu instid0(VALU_DEP_3) | instskip(SKIP_2) | instid1(VALU_DEP_3)
	v_cndmask_b32_e64 v15, v14, v13, s7
	v_and_b32_e32 v13, 0xff, v10
	v_cndmask_b32_e64 v14, v12, v16, s7
                                        ; implicit-def: $vgpr12
	v_cmp_ge_i32_e64 s8, v15, v1
	s_delay_alu instid0(VALU_DEP_3) | instskip(NEXT) | instid1(VALU_DEP_3)
	v_cmp_lt_u16_e64 s9, v13, v17
	v_cmp_lt_i32_e64 s10, v14, v7
	s_delay_alu instid0(VALU_DEP_2)
	s_or_b32 s8, s8, s9
	s_delay_alu instid0(VALU_DEP_1) | instid1(SALU_CYCLE_1)
	s_and_b32 s8, s10, s8
	s_delay_alu instid0(SALU_CYCLE_1) | instskip(NEXT) | instid1(SALU_CYCLE_1)
	s_xor_b32 s9, s8, -1
	s_and_saveexec_b32 s10, s9
	s_delay_alu instid0(SALU_CYCLE_1)
	s_xor_b32 s9, exec_lo, s10
	s_cbranch_execz .LBB118_60
; %bb.59:
	v_add_nc_u32_e32 v12, v5, v15
	ds_load_u8 v12, v12 offset:1
.LBB118_60:
	s_or_saveexec_b32 s9, s9
	v_mov_b32_e32 v13, v10
	s_xor_b32 exec_lo, exec_lo, s9
	s_cbranch_execz .LBB118_62
; %bb.61:
	s_waitcnt lgkmcnt(0)
	v_add_nc_u32_e32 v12, v5, v14
	ds_load_u8 v13, v12 offset:1
	v_mov_b32_e32 v12, v11
.LBB118_62:
	s_or_b32 exec_lo, exec_lo, s9
	v_add_nc_u32_e32 v16, 1, v15
	v_add_nc_u32_e32 v18, 1, v14
	s_waitcnt lgkmcnt(0)
	v_and_b32_e32 v19, 0xff, v12
	s_delay_alu instid0(VALU_DEP_3) | instskip(SKIP_2) | instid1(VALU_DEP_3)
	v_cndmask_b32_e64 v17, v16, v15, s8
	v_and_b32_e32 v15, 0xff, v13
	v_cndmask_b32_e64 v16, v14, v18, s8
                                        ; implicit-def: $vgpr14
	v_cmp_ge_i32_e64 s9, v17, v1
	s_delay_alu instid0(VALU_DEP_3) | instskip(NEXT) | instid1(VALU_DEP_3)
	v_cmp_lt_u16_e64 s10, v15, v19
	v_cmp_lt_i32_e64 s11, v16, v7
	s_delay_alu instid0(VALU_DEP_2)
	s_or_b32 s9, s9, s10
	s_delay_alu instid0(VALU_DEP_1) | instid1(SALU_CYCLE_1)
	s_and_b32 s9, s11, s9
	s_delay_alu instid0(SALU_CYCLE_1) | instskip(NEXT) | instid1(SALU_CYCLE_1)
	s_xor_b32 s10, s9, -1
	s_and_saveexec_b32 s11, s10
	s_delay_alu instid0(SALU_CYCLE_1)
	s_xor_b32 s10, exec_lo, s11
	s_cbranch_execz .LBB118_64
; %bb.63:
	v_add_nc_u32_e32 v14, v5, v17
	ds_load_u8 v14, v14 offset:1
.LBB118_64:
	s_or_saveexec_b32 s10, s10
	v_mov_b32_e32 v15, v13
	s_xor_b32 exec_lo, exec_lo, s10
	s_cbranch_execz .LBB118_66
; %bb.65:
	s_waitcnt lgkmcnt(0)
	v_add_nc_u32_e32 v14, v5, v16
	ds_load_u8 v15, v14 offset:1
	v_mov_b32_e32 v14, v12
.LBB118_66:
	s_or_b32 exec_lo, exec_lo, s10
	v_add_nc_u32_e32 v18, 1, v17
	v_add_nc_u32_e32 v20, 1, v16
	s_waitcnt lgkmcnt(0)
	v_and_b32_e32 v21, 0xff, v14
	s_delay_alu instid0(VALU_DEP_3) | instskip(SKIP_2) | instid1(VALU_DEP_3)
	v_cndmask_b32_e64 v19, v18, v17, s9
	v_and_b32_e32 v17, 0xff, v15
	v_cndmask_b32_e64 v18, v16, v20, s9
                                        ; implicit-def: $vgpr16
	v_cmp_ge_i32_e64 s10, v19, v1
	s_delay_alu instid0(VALU_DEP_3) | instskip(NEXT) | instid1(VALU_DEP_3)
	v_cmp_lt_u16_e64 s11, v17, v21
	v_cmp_lt_i32_e64 s12, v18, v7
	s_delay_alu instid0(VALU_DEP_2)
	s_or_b32 s10, s10, s11
	s_delay_alu instid0(VALU_DEP_1) | instid1(SALU_CYCLE_1)
	s_and_b32 s10, s12, s10
	s_delay_alu instid0(SALU_CYCLE_1) | instskip(NEXT) | instid1(SALU_CYCLE_1)
	s_xor_b32 s11, s10, -1
	s_and_saveexec_b32 s12, s11
	s_delay_alu instid0(SALU_CYCLE_1)
	s_xor_b32 s11, exec_lo, s12
	s_cbranch_execz .LBB118_68
; %bb.67:
	v_add_nc_u32_e32 v16, v5, v19
	ds_load_u8 v16, v16 offset:1
.LBB118_68:
	s_or_saveexec_b32 s11, s11
	v_mov_b32_e32 v17, v15
	s_xor_b32 exec_lo, exec_lo, s11
	s_cbranch_execz .LBB118_70
; %bb.69:
	s_waitcnt lgkmcnt(0)
	v_add_nc_u32_e32 v16, v5, v18
	ds_load_u8 v17, v16 offset:1
	v_mov_b32_e32 v16, v14
.LBB118_70:
	s_or_b32 exec_lo, exec_lo, s11
	v_add_nc_u32_e32 v20, 1, v19
	v_add_nc_u32_e32 v22, 1, v18
	s_waitcnt lgkmcnt(0)
	v_and_b32_e32 v23, 0xff, v16
	s_delay_alu instid0(VALU_DEP_3) | instskip(SKIP_2) | instid1(VALU_DEP_3)
	v_cndmask_b32_e64 v21, v20, v19, s10
	v_and_b32_e32 v19, 0xff, v17
	v_cndmask_b32_e64 v20, v18, v22, s10
                                        ; implicit-def: $vgpr18
	v_cmp_ge_i32_e64 s11, v21, v1
	s_delay_alu instid0(VALU_DEP_3) | instskip(NEXT) | instid1(VALU_DEP_3)
	v_cmp_lt_u16_e64 s12, v19, v23
	v_cmp_lt_i32_e64 s13, v20, v7
	s_delay_alu instid0(VALU_DEP_2)
	s_or_b32 s11, s11, s12
	s_delay_alu instid0(VALU_DEP_1) | instid1(SALU_CYCLE_1)
	s_and_b32 s11, s13, s11
	s_delay_alu instid0(SALU_CYCLE_1) | instskip(NEXT) | instid1(SALU_CYCLE_1)
	s_xor_b32 s12, s11, -1
	s_and_saveexec_b32 s13, s12
	s_delay_alu instid0(SALU_CYCLE_1)
	s_xor_b32 s12, exec_lo, s13
	s_cbranch_execz .LBB118_72
; %bb.71:
	v_add_nc_u32_e32 v18, v5, v21
	ds_load_u8 v18, v18 offset:1
.LBB118_72:
	s_or_saveexec_b32 s12, s12
	v_mov_b32_e32 v19, v17
	s_xor_b32 exec_lo, exec_lo, s12
	s_cbranch_execz .LBB118_74
; %bb.73:
	s_waitcnt lgkmcnt(0)
	v_add_nc_u32_e32 v18, v5, v20
	ds_load_u8 v19, v18 offset:1
	v_mov_b32_e32 v18, v16
.LBB118_74:
	s_or_b32 exec_lo, exec_lo, s12
	v_add_nc_u32_e32 v22, 1, v21
	v_add_nc_u32_e32 v23, 1, v20
	s_waitcnt lgkmcnt(0)
	v_and_b32_e32 v24, 0xff, v18
	s_delay_alu instid0(VALU_DEP_3) | instskip(SKIP_2) | instid1(VALU_DEP_3)
	v_cndmask_b32_e64 v21, v22, v21, s11
	v_and_b32_e32 v22, 0xff, v19
	v_cndmask_b32_e64 v20, v20, v23, s11
	v_cmp_ge_i32_e64 s12, v21, v1
	s_delay_alu instid0(VALU_DEP_3) | instskip(NEXT) | instid1(VALU_DEP_3)
	v_cmp_lt_u16_e64 s13, v22, v24
	v_cmp_lt_i32_e64 s14, v20, v7
                                        ; implicit-def: $vgpr22
	s_delay_alu instid0(VALU_DEP_2)
	s_or_b32 s12, s12, s13
	s_delay_alu instid0(VALU_DEP_1) | instid1(SALU_CYCLE_1)
	s_and_b32 s12, s14, s12
	s_delay_alu instid0(SALU_CYCLE_1) | instskip(NEXT) | instid1(SALU_CYCLE_1)
	s_xor_b32 s13, s12, -1
	s_and_saveexec_b32 s14, s13
	s_delay_alu instid0(SALU_CYCLE_1)
	s_xor_b32 s13, exec_lo, s14
	s_cbranch_execz .LBB118_76
; %bb.75:
	v_add_nc_u32_e32 v22, v5, v21
	ds_load_u8 v22, v22 offset:1
.LBB118_76:
	s_or_saveexec_b32 s13, s13
	v_mov_b32_e32 v23, v19
	s_xor_b32 exec_lo, exec_lo, s13
	s_cbranch_execz .LBB118_78
; %bb.77:
	s_waitcnt lgkmcnt(0)
	v_add_nc_u32_e32 v22, v5, v20
	ds_load_u8 v23, v22 offset:1
	v_mov_b32_e32 v22, v18
.LBB118_78:
	s_or_b32 exec_lo, exec_lo, s13
	v_add_nc_u32_e32 v24, 1, v21
	v_add_nc_u32_e32 v25, 1, v20
	s_waitcnt lgkmcnt(0)
	v_and_b32_e32 v26, 0xff, v22
	s_delay_alu instid0(VALU_DEP_3) | instskip(SKIP_2) | instid1(VALU_DEP_3)
	v_cndmask_b32_e64 v24, v24, v21, s12
	v_and_b32_e32 v21, 0xff, v23
	v_cndmask_b32_e64 v25, v20, v25, s12
                                        ; implicit-def: $vgpr20
	v_cmp_ge_i32_e64 s13, v24, v1
	s_delay_alu instid0(VALU_DEP_3) | instskip(NEXT) | instid1(VALU_DEP_3)
	v_cmp_lt_u16_e64 s14, v21, v26
	v_cmp_lt_i32_e64 s15, v25, v7
	s_delay_alu instid0(VALU_DEP_2)
	s_or_b32 s13, s13, s14
	s_delay_alu instid0(VALU_DEP_1) | instid1(SALU_CYCLE_1)
	s_and_b32 s13, s15, s13
	s_delay_alu instid0(SALU_CYCLE_1) | instskip(NEXT) | instid1(SALU_CYCLE_1)
	s_xor_b32 s14, s13, -1
	s_and_saveexec_b32 s15, s14
	s_delay_alu instid0(SALU_CYCLE_1)
	s_xor_b32 s14, exec_lo, s15
	s_cbranch_execz .LBB118_80
; %bb.79:
	v_add_nc_u32_e32 v20, v5, v24
	ds_load_u8 v20, v20 offset:1
.LBB118_80:
	s_or_saveexec_b32 s14, s14
	v_mov_b32_e32 v21, v23
	s_xor_b32 exec_lo, exec_lo, s14
	s_cbranch_execz .LBB118_82
; %bb.81:
	s_waitcnt lgkmcnt(0)
	v_add_nc_u32_e32 v20, v5, v25
	ds_load_u8 v21, v20 offset:1
	v_mov_b32_e32 v20, v22
.LBB118_82:
	s_or_b32 exec_lo, exec_lo, s14
	v_add_nc_u32_e32 v27, 1, v24
	v_add_nc_u32_e32 v26, 1, v25
	v_cndmask_b32_e64 v22, v22, v23, s13
	v_cndmask_b32_e64 v18, v18, v19, s12
	;; [unrolled: 1-line block ×4, first 2 shown]
	v_and_b32_e32 v24, 64, v6
	v_cndmask_b32_e64 v19, v25, v26, s13
	v_cndmask_b32_e64 v16, v16, v17, s11
	s_waitcnt lgkmcnt(0)
	v_and_b32_e32 v17, 0xff, v20
	v_and_b32_e32 v25, 0xff, v21
	v_min_i32_e32 v12, v4, v24
	v_cmp_ge_i32_e64 s9, v23, v1
	v_cndmask_b32_e64 v1, v11, v10, s8
	v_cndmask_b32_e64 v8, v8, v9, s7
	v_cmp_lt_i32_e64 s7, v19, v7
	v_add_nc_u32_e32 v7, 32, v12
	v_cndmask_b32_e64 v14, v14, v15, s10
	v_cmp_lt_u16_e64 s10, v25, v17
	v_lshlrev_b16 v9, 8, v1
	v_and_b32_e32 v8, 0xff, v8
	v_min_i32_e32 v1, v4, v7
	v_lshlrev_b16 v10, 8, v14
	s_or_b32 s8, s9, s10
	v_and_b32_e32 v7, 0xff, v13
	s_and_b32 s7, s7, s8
	v_or_b32_e32 v8, v8, v9
	v_cndmask_b32_e64 v11, v20, v21, s7
	v_add_nc_u32_e32 v9, 32, v1
	v_or_b32_e32 v10, v7, v10
	v_lshlrev_b16 v7, 8, v18
	v_and_b32_e32 v13, 0xff, v16
	v_and_b32_e32 v14, 56, v6
	v_min_i32_e32 v6, v4, v9
	v_and_b32_e32 v9, 0xff, v22
	v_lshlrev_b16 v11, 8, v11
	v_or_b32_e32 v13, v13, v7
	v_min_i32_e32 v7, v4, v14
	v_sub_nc_u32_e32 v14, v6, v1
	v_and_b32_e32 v8, 0xffff, v8
	v_or_b32_e32 v9, v9, v11
	v_lshlrev_b32_e32 v10, 16, v10
	v_and_b32_e32 v11, 0xffff, v13
	v_sub_nc_u32_e32 v13, v7, v14
	v_sub_nc_u32_e32 v15, v1, v12
	v_lshlrev_b32_e32 v16, 16, v9
	v_cmp_ge_i32_e64 s7, v7, v14
	v_or_b32_e32 v10, v8, v10
	s_mov_b32 s9, 0
	v_min_i32_e32 v9, v7, v15
	v_or_b32_e32 v11, v11, v16
	v_cndmask_b32_e64 v8, 0, v13, s7
	s_mov_b32 s8, exec_lo
	; wave barrier
	ds_store_b64 v0, v[10:11]
	; wave barrier
	v_cmpx_lt_i32_e64 v8, v9
	s_cbranch_execz .LBB118_86
; %bb.83:
	v_add_nc_u32_e32 v10, v5, v12
	v_add3_u32 v11, v5, v1, v7
	.p2align	6
.LBB118_84:                             ; =>This Inner Loop Header: Depth=1
	v_sub_nc_u32_e32 v13, v9, v8
	s_delay_alu instid0(VALU_DEP_1) | instskip(NEXT) | instid1(VALU_DEP_1)
	v_lshrrev_b32_e32 v14, 31, v13
	v_add_nc_u32_e32 v13, v13, v14
	s_delay_alu instid0(VALU_DEP_1) | instskip(NEXT) | instid1(VALU_DEP_1)
	v_ashrrev_i32_e32 v13, 1, v13
	v_add_nc_u32_e32 v13, v13, v8
	s_delay_alu instid0(VALU_DEP_1)
	v_add_nc_u32_e32 v14, v10, v13
	v_xad_u32 v15, v13, -1, v11
	v_add_nc_u32_e32 v16, 1, v13
	ds_load_u8 v14, v14
	ds_load_u8 v15, v15
	s_waitcnt lgkmcnt(0)
	v_cmp_lt_u16_e64 s7, v15, v14
	s_delay_alu instid0(VALU_DEP_1) | instskip(SKIP_1) | instid1(VALU_DEP_1)
	v_cndmask_b32_e64 v9, v9, v13, s7
	v_cndmask_b32_e64 v8, v16, v8, s7
	v_cmp_ge_i32_e64 s7, v8, v9
	s_delay_alu instid0(VALU_DEP_1) | instskip(NEXT) | instid1(SALU_CYCLE_1)
	s_or_b32 s9, s7, s9
	s_and_not1_b32 exec_lo, exec_lo, s9
	s_cbranch_execnz .LBB118_84
; %bb.85:
	s_or_b32 exec_lo, exec_lo, s9
.LBB118_86:
	s_delay_alu instid0(SALU_CYCLE_1) | instskip(SKIP_2) | instid1(VALU_DEP_2)
	s_or_b32 exec_lo, exec_lo, s8
	v_add_nc_u32_e32 v7, v1, v7
	v_add_nc_u32_e32 v12, v8, v12
	v_sub_nc_u32_e32 v11, v7, v8
	s_delay_alu instid0(VALU_DEP_2) | instskip(SKIP_1) | instid1(VALU_DEP_3)
	v_add_nc_u32_e32 v14, v5, v12
	v_cmp_le_i32_e64 s7, v1, v12
	v_add_nc_u32_e32 v13, v5, v11
	v_cmp_gt_i32_e64 s9, v6, v11
	ds_load_u8 v7, v14
	ds_load_u8 v8, v13
	s_waitcnt lgkmcnt(1)
	v_and_b32_e32 v9, 0xff, v7
	s_waitcnt lgkmcnt(0)
	v_and_b32_e32 v10, 0xff, v8
	s_delay_alu instid0(VALU_DEP_1) | instskip(NEXT) | instid1(VALU_DEP_1)
	v_cmp_lt_u16_e64 s8, v10, v9
                                        ; implicit-def: $vgpr9
                                        ; implicit-def: $vgpr10
	s_or_b32 s7, s7, s8
	s_delay_alu instid0(SALU_CYCLE_1) | instskip(NEXT) | instid1(SALU_CYCLE_1)
	s_and_b32 s7, s9, s7
	s_xor_b32 s8, s7, -1
	s_delay_alu instid0(SALU_CYCLE_1) | instskip(NEXT) | instid1(SALU_CYCLE_1)
	s_and_saveexec_b32 s9, s8
	s_xor_b32 s8, exec_lo, s9
	s_cbranch_execz .LBB118_88
; %bb.87:
	ds_load_u8 v10, v14 offset:1
	v_mov_b32_e32 v9, v8
                                        ; implicit-def: $vgpr13
.LBB118_88:
	s_and_not1_saveexec_b32 s8, s8
	s_cbranch_execz .LBB118_90
; %bb.89:
	ds_load_u8 v9, v13 offset:1
	s_waitcnt lgkmcnt(1)
	v_mov_b32_e32 v10, v7
.LBB118_90:
	s_or_b32 exec_lo, exec_lo, s8
	v_add_nc_u32_e32 v13, 1, v12
	v_add_nc_u32_e32 v15, 1, v11
	s_waitcnt lgkmcnt(0)
	v_and_b32_e32 v16, 0xff, v10
	s_delay_alu instid0(VALU_DEP_3) | instskip(SKIP_2) | instid1(VALU_DEP_3)
	v_cndmask_b32_e64 v14, v13, v12, s7
	v_and_b32_e32 v12, 0xff, v9
	v_cndmask_b32_e64 v13, v11, v15, s7
                                        ; implicit-def: $vgpr11
	v_cmp_ge_i32_e64 s8, v14, v1
	s_delay_alu instid0(VALU_DEP_3) | instskip(NEXT) | instid1(VALU_DEP_3)
	v_cmp_lt_u16_e64 s9, v12, v16
	v_cmp_lt_i32_e64 s10, v13, v6
	s_delay_alu instid0(VALU_DEP_2)
	s_or_b32 s8, s8, s9
	s_delay_alu instid0(VALU_DEP_1) | instid1(SALU_CYCLE_1)
	s_and_b32 s8, s10, s8
	s_delay_alu instid0(SALU_CYCLE_1) | instskip(NEXT) | instid1(SALU_CYCLE_1)
	s_xor_b32 s9, s8, -1
	s_and_saveexec_b32 s10, s9
	s_delay_alu instid0(SALU_CYCLE_1)
	s_xor_b32 s9, exec_lo, s10
	s_cbranch_execz .LBB118_92
; %bb.91:
	v_add_nc_u32_e32 v11, v5, v14
	ds_load_u8 v11, v11 offset:1
.LBB118_92:
	s_or_saveexec_b32 s9, s9
	v_mov_b32_e32 v12, v9
	s_xor_b32 exec_lo, exec_lo, s9
	s_cbranch_execz .LBB118_94
; %bb.93:
	s_waitcnt lgkmcnt(0)
	v_add_nc_u32_e32 v11, v5, v13
	ds_load_u8 v12, v11 offset:1
	v_mov_b32_e32 v11, v10
.LBB118_94:
	s_or_b32 exec_lo, exec_lo, s9
	v_add_nc_u32_e32 v15, 1, v14
	v_add_nc_u32_e32 v17, 1, v13
	s_waitcnt lgkmcnt(0)
	v_and_b32_e32 v18, 0xff, v11
	s_delay_alu instid0(VALU_DEP_3) | instskip(SKIP_2) | instid1(VALU_DEP_3)
	v_cndmask_b32_e64 v16, v15, v14, s8
	v_and_b32_e32 v14, 0xff, v12
	v_cndmask_b32_e64 v15, v13, v17, s8
                                        ; implicit-def: $vgpr13
	v_cmp_ge_i32_e64 s9, v16, v1
	s_delay_alu instid0(VALU_DEP_3) | instskip(NEXT) | instid1(VALU_DEP_3)
	v_cmp_lt_u16_e64 s10, v14, v18
	v_cmp_lt_i32_e64 s11, v15, v6
	s_delay_alu instid0(VALU_DEP_2)
	s_or_b32 s9, s9, s10
	s_delay_alu instid0(VALU_DEP_1) | instid1(SALU_CYCLE_1)
	s_and_b32 s9, s11, s9
	s_delay_alu instid0(SALU_CYCLE_1) | instskip(NEXT) | instid1(SALU_CYCLE_1)
	s_xor_b32 s10, s9, -1
	s_and_saveexec_b32 s11, s10
	s_delay_alu instid0(SALU_CYCLE_1)
	s_xor_b32 s10, exec_lo, s11
	s_cbranch_execz .LBB118_96
; %bb.95:
	v_add_nc_u32_e32 v13, v5, v16
	ds_load_u8 v13, v13 offset:1
.LBB118_96:
	s_or_saveexec_b32 s10, s10
	v_mov_b32_e32 v14, v12
	s_xor_b32 exec_lo, exec_lo, s10
	s_cbranch_execz .LBB118_98
; %bb.97:
	s_waitcnt lgkmcnt(0)
	v_add_nc_u32_e32 v13, v5, v15
	ds_load_u8 v14, v13 offset:1
	v_mov_b32_e32 v13, v11
.LBB118_98:
	s_or_b32 exec_lo, exec_lo, s10
	v_add_nc_u32_e32 v17, 1, v16
	v_add_nc_u32_e32 v19, 1, v15
	s_waitcnt lgkmcnt(0)
	v_and_b32_e32 v20, 0xff, v13
	s_delay_alu instid0(VALU_DEP_3) | instskip(SKIP_2) | instid1(VALU_DEP_3)
	v_cndmask_b32_e64 v18, v17, v16, s9
	v_and_b32_e32 v16, 0xff, v14
	v_cndmask_b32_e64 v17, v15, v19, s9
                                        ; implicit-def: $vgpr15
	v_cmp_ge_i32_e64 s10, v18, v1
	s_delay_alu instid0(VALU_DEP_3) | instskip(NEXT) | instid1(VALU_DEP_3)
	v_cmp_lt_u16_e64 s11, v16, v20
	v_cmp_lt_i32_e64 s12, v17, v6
	s_delay_alu instid0(VALU_DEP_2)
	s_or_b32 s10, s10, s11
	s_delay_alu instid0(VALU_DEP_1) | instid1(SALU_CYCLE_1)
	s_and_b32 s10, s12, s10
	s_delay_alu instid0(SALU_CYCLE_1) | instskip(NEXT) | instid1(SALU_CYCLE_1)
	s_xor_b32 s11, s10, -1
	s_and_saveexec_b32 s12, s11
	s_delay_alu instid0(SALU_CYCLE_1)
	s_xor_b32 s11, exec_lo, s12
	s_cbranch_execz .LBB118_100
; %bb.99:
	v_add_nc_u32_e32 v15, v5, v18
	ds_load_u8 v15, v15 offset:1
.LBB118_100:
	s_or_saveexec_b32 s11, s11
	v_mov_b32_e32 v16, v14
	s_xor_b32 exec_lo, exec_lo, s11
	s_cbranch_execz .LBB118_102
; %bb.101:
	s_waitcnt lgkmcnt(0)
	v_add_nc_u32_e32 v15, v5, v17
	ds_load_u8 v16, v15 offset:1
	v_mov_b32_e32 v15, v13
.LBB118_102:
	s_or_b32 exec_lo, exec_lo, s11
	v_add_nc_u32_e32 v19, 1, v18
	v_add_nc_u32_e32 v21, 1, v17
	s_waitcnt lgkmcnt(0)
	v_and_b32_e32 v22, 0xff, v15
	s_delay_alu instid0(VALU_DEP_3) | instskip(SKIP_2) | instid1(VALU_DEP_3)
	v_cndmask_b32_e64 v20, v19, v18, s10
	v_and_b32_e32 v18, 0xff, v16
	v_cndmask_b32_e64 v19, v17, v21, s10
                                        ; implicit-def: $vgpr17
	v_cmp_ge_i32_e64 s11, v20, v1
	s_delay_alu instid0(VALU_DEP_3) | instskip(NEXT) | instid1(VALU_DEP_3)
	v_cmp_lt_u16_e64 s12, v18, v22
	v_cmp_lt_i32_e64 s13, v19, v6
	s_delay_alu instid0(VALU_DEP_2)
	s_or_b32 s11, s11, s12
	s_delay_alu instid0(VALU_DEP_1) | instid1(SALU_CYCLE_1)
	s_and_b32 s11, s13, s11
	s_delay_alu instid0(SALU_CYCLE_1) | instskip(NEXT) | instid1(SALU_CYCLE_1)
	s_xor_b32 s12, s11, -1
	s_and_saveexec_b32 s13, s12
	s_delay_alu instid0(SALU_CYCLE_1)
	s_xor_b32 s12, exec_lo, s13
	s_cbranch_execz .LBB118_104
; %bb.103:
	v_add_nc_u32_e32 v17, v5, v20
	ds_load_u8 v17, v17 offset:1
.LBB118_104:
	s_or_saveexec_b32 s12, s12
	v_mov_b32_e32 v18, v16
	s_xor_b32 exec_lo, exec_lo, s12
	s_cbranch_execz .LBB118_106
; %bb.105:
	s_waitcnt lgkmcnt(0)
	v_add_nc_u32_e32 v17, v5, v19
	ds_load_u8 v18, v17 offset:1
	v_mov_b32_e32 v17, v15
.LBB118_106:
	s_or_b32 exec_lo, exec_lo, s12
	v_add_nc_u32_e32 v21, 1, v20
	v_add_nc_u32_e32 v22, 1, v19
	s_waitcnt lgkmcnt(0)
	v_and_b32_e32 v23, 0xff, v17
	s_delay_alu instid0(VALU_DEP_3) | instskip(SKIP_2) | instid1(VALU_DEP_3)
	v_cndmask_b32_e64 v21, v21, v20, s11
	v_and_b32_e32 v20, 0xff, v18
	v_cndmask_b32_e64 v19, v19, v22, s11
	v_cmp_ge_i32_e64 s12, v21, v1
	s_delay_alu instid0(VALU_DEP_3) | instskip(NEXT) | instid1(VALU_DEP_3)
	v_cmp_lt_u16_e64 s13, v20, v23
	v_cmp_lt_i32_e64 s14, v19, v6
                                        ; implicit-def: $vgpr20
	s_delay_alu instid0(VALU_DEP_2)
	s_or_b32 s12, s12, s13
	s_delay_alu instid0(VALU_DEP_1) | instid1(SALU_CYCLE_1)
	s_and_b32 s12, s14, s12
	s_delay_alu instid0(SALU_CYCLE_1) | instskip(NEXT) | instid1(SALU_CYCLE_1)
	s_xor_b32 s13, s12, -1
	s_and_saveexec_b32 s14, s13
	s_delay_alu instid0(SALU_CYCLE_1)
	s_xor_b32 s13, exec_lo, s14
	s_cbranch_execz .LBB118_108
; %bb.107:
	v_add_nc_u32_e32 v20, v5, v21
	ds_load_u8 v20, v20 offset:1
.LBB118_108:
	s_or_saveexec_b32 s13, s13
	v_mov_b32_e32 v22, v18
	s_xor_b32 exec_lo, exec_lo, s13
	s_cbranch_execz .LBB118_110
; %bb.109:
	s_waitcnt lgkmcnt(0)
	v_add_nc_u32_e32 v20, v5, v19
	ds_load_u8 v22, v20 offset:1
	v_mov_b32_e32 v20, v17
.LBB118_110:
	s_or_b32 exec_lo, exec_lo, s13
	v_add_nc_u32_e32 v23, 1, v21
	v_add_nc_u32_e32 v24, 1, v19
	s_waitcnt lgkmcnt(0)
	v_and_b32_e32 v25, 0xff, v20
	s_delay_alu instid0(VALU_DEP_3) | instskip(SKIP_2) | instid1(VALU_DEP_3)
	v_cndmask_b32_e64 v23, v23, v21, s12
	v_and_b32_e32 v21, 0xff, v22
	v_cndmask_b32_e64 v24, v19, v24, s12
                                        ; implicit-def: $vgpr19
	v_cmp_ge_i32_e64 s13, v23, v1
	s_delay_alu instid0(VALU_DEP_3) | instskip(NEXT) | instid1(VALU_DEP_3)
	v_cmp_lt_u16_e64 s14, v21, v25
	v_cmp_lt_i32_e64 s15, v24, v6
	s_delay_alu instid0(VALU_DEP_2)
	s_or_b32 s13, s13, s14
	s_delay_alu instid0(VALU_DEP_1) | instid1(SALU_CYCLE_1)
	s_and_b32 s13, s15, s13
	s_delay_alu instid0(SALU_CYCLE_1) | instskip(NEXT) | instid1(SALU_CYCLE_1)
	s_xor_b32 s14, s13, -1
	s_and_saveexec_b32 s15, s14
	s_delay_alu instid0(SALU_CYCLE_1)
	s_xor_b32 s14, exec_lo, s15
	s_cbranch_execz .LBB118_112
; %bb.111:
	v_add_nc_u32_e32 v19, v5, v23
	ds_load_u8 v19, v19 offset:1
.LBB118_112:
	s_or_saveexec_b32 s14, s14
	v_mov_b32_e32 v21, v22
	s_xor_b32 exec_lo, exec_lo, s14
	s_cbranch_execz .LBB118_114
; %bb.113:
	s_waitcnt lgkmcnt(0)
	v_add_nc_u32_e32 v19, v5, v24
	ds_load_u8 v21, v19 offset:1
	v_mov_b32_e32 v19, v20
.LBB118_114:
	s_or_b32 exec_lo, exec_lo, s14
	v_add_nc_u32_e32 v26, 1, v23
	v_add_nc_u32_e32 v25, 1, v24
	v_cndmask_b32_e64 v12, v11, v12, s9
	v_min_i32_e32 v11, 0, v4
	v_cndmask_b32_e64 v20, v20, v22, s13
	v_cndmask_b32_e64 v22, v26, v23, s13
	;; [unrolled: 1-line block ×3, first 2 shown]
	s_waitcnt lgkmcnt(0)
	v_and_b32_e32 v16, 0xff, v19
	v_and_b32_e32 v23, 0xff, v21
	v_cndmask_b32_e64 v17, v17, v18, s12
	v_cndmask_b32_e64 v18, v24, v25, s13
	;; [unrolled: 1-line block ×3, first 2 shown]
	v_add_nc_u32_e32 v8, 64, v11
	v_cndmask_b32_e64 v13, v13, v14, s10
	v_cmp_ge_i32_e64 s9, v22, v1
	v_cmp_lt_u16_e64 s10, v23, v16
	v_cmp_lt_i32_e64 s7, v18, v6
	v_cndmask_b32_e64 v1, v10, v9, s8
	v_min_i32_e32 v6, v4, v8
	v_and_b32_e32 v7, 0xff, v7
	s_or_b32 s8, s9, s10
	v_lshlrev_b16 v9, 8, v13
	s_and_b32 s7, s7, s8
	v_lshlrev_b16 v1, 8, v1
	v_cndmask_b32_e64 v8, v19, v21, s7
	v_and_b32_e32 v10, 0xff, v12
	v_add_nc_u32_e32 v12, 64, v6
	v_and_b32_e32 v14, 0xff, v15
	v_or_b32_e32 v13, v7, v1
	v_lshlrev_b16 v1, 8, v17
	v_or_b32_e32 v9, v10, v9
	v_min_i32_e32 v7, v4, v12
	v_and_b32_e32 v10, 0xff, v20
	v_lshlrev_b16 v8, 8, v8
	v_or_b32_e32 v12, v14, v1
	v_min_i32_e32 v1, v4, v2
	v_sub_nc_u32_e32 v4, v7, v6
	v_and_b32_e32 v13, 0xffff, v13
	v_or_b32_e32 v8, v10, v8
	v_lshlrev_b32_e32 v9, 16, v9
	v_and_b32_e32 v10, 0xffff, v12
	v_sub_nc_u32_e32 v12, v1, v4
	v_sub_nc_u32_e32 v14, v6, v11
	v_lshlrev_b32_e32 v15, 16, v8
	v_cmp_ge_i32_e64 s7, v1, v4
	v_or_b32_e32 v9, v13, v9
	s_mov_b32 s9, 0
	v_min_i32_e32 v8, v1, v14
	v_or_b32_e32 v10, v10, v15
	v_cndmask_b32_e64 v4, 0, v12, s7
	s_mov_b32 s8, exec_lo
	; wave barrier
	ds_store_b64 v0, v[9:10]
	; wave barrier
	v_cmpx_lt_i32_e64 v4, v8
	s_cbranch_execz .LBB118_118
; %bb.115:
	v_add_nc_u32_e32 v0, v5, v11
	v_add3_u32 v9, v5, v6, v1
	.p2align	6
.LBB118_116:                            ; =>This Inner Loop Header: Depth=1
	v_sub_nc_u32_e32 v10, v8, v4
	s_delay_alu instid0(VALU_DEP_1) | instskip(NEXT) | instid1(VALU_DEP_1)
	v_lshrrev_b32_e32 v12, 31, v10
	v_add_nc_u32_e32 v10, v10, v12
	s_delay_alu instid0(VALU_DEP_1) | instskip(NEXT) | instid1(VALU_DEP_1)
	v_ashrrev_i32_e32 v10, 1, v10
	v_add_nc_u32_e32 v10, v10, v4
	s_delay_alu instid0(VALU_DEP_1)
	v_add_nc_u32_e32 v12, v0, v10
	v_xad_u32 v13, v10, -1, v9
	v_add_nc_u32_e32 v14, 1, v10
	ds_load_u8 v12, v12
	ds_load_u8 v13, v13
	s_waitcnt lgkmcnt(0)
	v_cmp_lt_u16_e64 s7, v13, v12
	s_delay_alu instid0(VALU_DEP_1) | instskip(SKIP_1) | instid1(VALU_DEP_1)
	v_cndmask_b32_e64 v8, v8, v10, s7
	v_cndmask_b32_e64 v4, v14, v4, s7
	v_cmp_ge_i32_e64 s7, v4, v8
	s_delay_alu instid0(VALU_DEP_1) | instskip(NEXT) | instid1(SALU_CYCLE_1)
	s_or_b32 s9, s7, s9
	s_and_not1_b32 exec_lo, exec_lo, s9
	s_cbranch_execnz .LBB118_116
; %bb.117:
	s_or_b32 exec_lo, exec_lo, s9
.LBB118_118:
	s_delay_alu instid0(SALU_CYCLE_1) | instskip(SKIP_2) | instid1(VALU_DEP_2)
	s_or_b32 exec_lo, exec_lo, s8
	v_add_nc_u32_e32 v0, v6, v1
	v_add_nc_u32_e32 v1, v4, v11
	v_sub_nc_u32_e32 v0, v0, v4
	s_delay_alu instid0(VALU_DEP_2) | instskip(SKIP_1) | instid1(VALU_DEP_3)
	v_add_nc_u32_e32 v12, v5, v1
	v_cmp_le_i32_e64 s7, v6, v1
	v_add_nc_u32_e32 v11, v5, v0
	v_cmp_gt_i32_e64 s9, v7, v0
	ds_load_u8 v4, v12
	ds_load_u8 v8, v11
	s_waitcnt lgkmcnt(1)
	v_and_b32_e32 v9, 0xff, v4
	s_waitcnt lgkmcnt(0)
	v_and_b32_e32 v10, 0xff, v8
	s_delay_alu instid0(VALU_DEP_1) | instskip(NEXT) | instid1(VALU_DEP_1)
	v_cmp_lt_u16_e64 s8, v10, v9
                                        ; implicit-def: $vgpr9
                                        ; implicit-def: $vgpr10
	s_or_b32 s7, s7, s8
	s_delay_alu instid0(SALU_CYCLE_1) | instskip(NEXT) | instid1(SALU_CYCLE_1)
	s_and_b32 s7, s9, s7
	s_xor_b32 s8, s7, -1
	s_delay_alu instid0(SALU_CYCLE_1) | instskip(NEXT) | instid1(SALU_CYCLE_1)
	s_and_saveexec_b32 s9, s8
	s_xor_b32 s8, exec_lo, s9
	s_cbranch_execz .LBB118_120
; %bb.119:
	ds_load_u8 v10, v12 offset:1
	v_mov_b32_e32 v9, v8
                                        ; implicit-def: $vgpr11
.LBB118_120:
	s_and_not1_saveexec_b32 s8, s8
	s_cbranch_execz .LBB118_122
; %bb.121:
	ds_load_u8 v9, v11 offset:1
	s_waitcnt lgkmcnt(1)
	v_mov_b32_e32 v10, v4
.LBB118_122:
	s_or_b32 exec_lo, exec_lo, s8
	v_add_nc_u32_e32 v11, 1, v1
	v_add_nc_u32_e32 v12, 1, v0
	s_waitcnt lgkmcnt(0)
	v_and_b32_e32 v13, 0xff, v10
	s_delay_alu instid0(VALU_DEP_3) | instskip(SKIP_2) | instid1(VALU_DEP_3)
	v_cndmask_b32_e64 v1, v11, v1, s7
	v_and_b32_e32 v11, 0xff, v9
	v_cndmask_b32_e64 v0, v0, v12, s7
	v_cmp_ge_i32_e64 s8, v1, v6
	s_delay_alu instid0(VALU_DEP_3) | instskip(NEXT) | instid1(VALU_DEP_3)
	v_cmp_lt_u16_e64 s9, v11, v13
	v_cmp_lt_i32_e64 s10, v0, v7
                                        ; implicit-def: $vgpr11
	s_delay_alu instid0(VALU_DEP_2)
	s_or_b32 s8, s8, s9
	s_delay_alu instid0(VALU_DEP_1) | instid1(SALU_CYCLE_1)
	s_and_b32 s8, s10, s8
	s_delay_alu instid0(SALU_CYCLE_1) | instskip(NEXT) | instid1(SALU_CYCLE_1)
	s_xor_b32 s9, s8, -1
	s_and_saveexec_b32 s10, s9
	s_delay_alu instid0(SALU_CYCLE_1)
	s_xor_b32 s9, exec_lo, s10
	s_cbranch_execz .LBB118_124
; %bb.123:
	v_add_nc_u32_e32 v11, v5, v1
	ds_load_u8 v11, v11 offset:1
.LBB118_124:
	s_or_saveexec_b32 s9, s9
	v_mov_b32_e32 v12, v9
	s_xor_b32 exec_lo, exec_lo, s9
	s_cbranch_execz .LBB118_126
; %bb.125:
	s_waitcnt lgkmcnt(0)
	v_add_nc_u32_e32 v11, v5, v0
	ds_load_u8 v12, v11 offset:1
	v_mov_b32_e32 v11, v10
.LBB118_126:
	s_or_b32 exec_lo, exec_lo, s9
	v_add_nc_u32_e32 v13, 1, v1
	v_add_nc_u32_e32 v14, 1, v0
	s_waitcnt lgkmcnt(0)
	v_and_b32_e32 v15, 0xff, v11
	s_delay_alu instid0(VALU_DEP_3) | instskip(SKIP_2) | instid1(VALU_DEP_3)
	v_cndmask_b32_e64 v1, v13, v1, s8
	v_and_b32_e32 v13, 0xff, v12
	v_cndmask_b32_e64 v0, v0, v14, s8
	v_cmp_ge_i32_e64 s9, v1, v6
	s_delay_alu instid0(VALU_DEP_3) | instskip(NEXT) | instid1(VALU_DEP_3)
	v_cmp_lt_u16_e64 s10, v13, v15
	v_cmp_lt_i32_e64 s11, v0, v7
                                        ; implicit-def: $vgpr13
	s_delay_alu instid0(VALU_DEP_2)
	s_or_b32 s9, s9, s10
	s_delay_alu instid0(VALU_DEP_1) | instid1(SALU_CYCLE_1)
	s_and_b32 s9, s11, s9
	s_delay_alu instid0(SALU_CYCLE_1) | instskip(NEXT) | instid1(SALU_CYCLE_1)
	s_xor_b32 s10, s9, -1
	s_and_saveexec_b32 s11, s10
	s_delay_alu instid0(SALU_CYCLE_1)
	s_xor_b32 s10, exec_lo, s11
	s_cbranch_execz .LBB118_128
; %bb.127:
	v_add_nc_u32_e32 v13, v5, v1
	ds_load_u8 v13, v13 offset:1
.LBB118_128:
	s_or_saveexec_b32 s10, s10
	v_mov_b32_e32 v14, v12
	s_xor_b32 exec_lo, exec_lo, s10
	s_cbranch_execz .LBB118_130
; %bb.129:
	s_waitcnt lgkmcnt(0)
	v_add_nc_u32_e32 v13, v5, v0
	ds_load_u8 v14, v13 offset:1
	v_mov_b32_e32 v13, v11
.LBB118_130:
	s_or_b32 exec_lo, exec_lo, s10
	v_add_nc_u32_e32 v15, 1, v1
	v_add_nc_u32_e32 v16, 1, v0
	s_waitcnt lgkmcnt(0)
	v_and_b32_e32 v17, 0xff, v13
	s_delay_alu instid0(VALU_DEP_3) | instskip(SKIP_2) | instid1(VALU_DEP_3)
	v_cndmask_b32_e64 v1, v15, v1, s9
	v_and_b32_e32 v15, 0xff, v14
	v_cndmask_b32_e64 v0, v0, v16, s9
	v_cmp_ge_i32_e64 s10, v1, v6
	s_delay_alu instid0(VALU_DEP_3) | instskip(NEXT) | instid1(VALU_DEP_3)
	v_cmp_lt_u16_e64 s11, v15, v17
	v_cmp_lt_i32_e64 s12, v0, v7
                                        ; implicit-def: $vgpr15
	s_delay_alu instid0(VALU_DEP_2)
	s_or_b32 s10, s10, s11
	s_delay_alu instid0(VALU_DEP_1) | instid1(SALU_CYCLE_1)
	s_and_b32 s10, s12, s10
	s_delay_alu instid0(SALU_CYCLE_1) | instskip(NEXT) | instid1(SALU_CYCLE_1)
	s_xor_b32 s11, s10, -1
	s_and_saveexec_b32 s12, s11
	s_delay_alu instid0(SALU_CYCLE_1)
	s_xor_b32 s11, exec_lo, s12
	s_cbranch_execz .LBB118_132
; %bb.131:
	v_add_nc_u32_e32 v15, v5, v1
	ds_load_u8 v15, v15 offset:1
.LBB118_132:
	s_or_saveexec_b32 s11, s11
	v_mov_b32_e32 v16, v14
	s_xor_b32 exec_lo, exec_lo, s11
	s_cbranch_execz .LBB118_134
; %bb.133:
	s_waitcnt lgkmcnt(0)
	v_add_nc_u32_e32 v15, v5, v0
	ds_load_u8 v16, v15 offset:1
	v_mov_b32_e32 v15, v13
.LBB118_134:
	s_or_b32 exec_lo, exec_lo, s11
	v_add_nc_u32_e32 v17, 1, v1
	v_add_nc_u32_e32 v18, 1, v0
	s_waitcnt lgkmcnt(0)
	v_and_b32_e32 v19, 0xff, v15
	s_delay_alu instid0(VALU_DEP_3) | instskip(SKIP_2) | instid1(VALU_DEP_3)
	v_cndmask_b32_e64 v1, v17, v1, s10
	v_and_b32_e32 v17, 0xff, v16
	v_cndmask_b32_e64 v0, v0, v18, s10
	v_cmp_ge_i32_e64 s11, v1, v6
	s_delay_alu instid0(VALU_DEP_3) | instskip(NEXT) | instid1(VALU_DEP_3)
	v_cmp_lt_u16_e64 s12, v17, v19
	v_cmp_lt_i32_e64 s13, v0, v7
                                        ; implicit-def: $vgpr17
	s_delay_alu instid0(VALU_DEP_2)
	s_or_b32 s11, s11, s12
	s_delay_alu instid0(VALU_DEP_1) | instid1(SALU_CYCLE_1)
	s_and_b32 s11, s13, s11
	s_delay_alu instid0(SALU_CYCLE_1) | instskip(NEXT) | instid1(SALU_CYCLE_1)
	s_xor_b32 s12, s11, -1
	s_and_saveexec_b32 s13, s12
	s_delay_alu instid0(SALU_CYCLE_1)
	s_xor_b32 s12, exec_lo, s13
	s_cbranch_execz .LBB118_136
; %bb.135:
	v_add_nc_u32_e32 v17, v5, v1
	ds_load_u8 v17, v17 offset:1
.LBB118_136:
	s_or_saveexec_b32 s12, s12
	v_mov_b32_e32 v18, v16
	s_xor_b32 exec_lo, exec_lo, s12
	s_cbranch_execz .LBB118_138
; %bb.137:
	s_waitcnt lgkmcnt(0)
	v_add_nc_u32_e32 v17, v5, v0
	ds_load_u8 v18, v17 offset:1
	v_mov_b32_e32 v17, v15
.LBB118_138:
	s_or_b32 exec_lo, exec_lo, s12
	v_add_nc_u32_e32 v19, 1, v1
	v_add_nc_u32_e32 v20, 1, v0
	s_waitcnt lgkmcnt(0)
	v_and_b32_e32 v21, 0xff, v17
	s_delay_alu instid0(VALU_DEP_3) | instskip(SKIP_2) | instid1(VALU_DEP_3)
	v_cndmask_b32_e64 v1, v19, v1, s11
	v_and_b32_e32 v19, 0xff, v18
	v_cndmask_b32_e64 v0, v0, v20, s11
	v_cmp_ge_i32_e64 s12, v1, v6
	s_delay_alu instid0(VALU_DEP_3) | instskip(NEXT) | instid1(VALU_DEP_3)
	v_cmp_lt_u16_e64 s13, v19, v21
	v_cmp_lt_i32_e64 s14, v0, v7
                                        ; implicit-def: $vgpr19
	s_delay_alu instid0(VALU_DEP_2)
	s_or_b32 s12, s12, s13
	s_delay_alu instid0(VALU_DEP_1) | instid1(SALU_CYCLE_1)
	s_and_b32 s12, s14, s12
	s_delay_alu instid0(SALU_CYCLE_1) | instskip(NEXT) | instid1(SALU_CYCLE_1)
	s_xor_b32 s13, s12, -1
	s_and_saveexec_b32 s14, s13
	s_delay_alu instid0(SALU_CYCLE_1)
	s_xor_b32 s13, exec_lo, s14
	s_cbranch_execz .LBB118_140
; %bb.139:
	v_add_nc_u32_e32 v19, v5, v1
	ds_load_u8 v19, v19 offset:1
.LBB118_140:
	s_or_saveexec_b32 s13, s13
	v_mov_b32_e32 v20, v18
	s_xor_b32 exec_lo, exec_lo, s13
	s_cbranch_execz .LBB118_142
; %bb.141:
	s_waitcnt lgkmcnt(0)
	v_add_nc_u32_e32 v19, v5, v0
	ds_load_u8 v20, v19 offset:1
	v_mov_b32_e32 v19, v17
.LBB118_142:
	s_or_b32 exec_lo, exec_lo, s13
	v_add_nc_u32_e32 v21, 1, v1
	v_add_nc_u32_e32 v22, 1, v0
	s_waitcnt lgkmcnt(0)
	v_and_b32_e32 v23, 0xff, v19
	v_and_b32_e32 v24, 0xff, v20
	v_cndmask_b32_e64 v1, v21, v1, s12
	v_cndmask_b32_e64 v21, v0, v22, s12
                                        ; implicit-def: $vgpr22
	s_delay_alu instid0(VALU_DEP_3) | instskip(NEXT) | instid1(VALU_DEP_3)
	v_cmp_lt_u16_e64 s14, v24, v23
                                        ; implicit-def: $vgpr23
	v_cmp_ge_i32_e64 s13, v1, v6
	s_delay_alu instid0(VALU_DEP_3) | instskip(NEXT) | instid1(VALU_DEP_2)
	v_cmp_lt_i32_e64 s15, v21, v7
	s_or_b32 s13, s13, s14
	s_delay_alu instid0(VALU_DEP_1) | instid1(SALU_CYCLE_1)
	s_and_b32 s13, s15, s13
	s_delay_alu instid0(SALU_CYCLE_1) | instskip(NEXT) | instid1(SALU_CYCLE_1)
	s_xor_b32 s14, s13, -1
	s_and_saveexec_b32 s15, s14
	s_delay_alu instid0(SALU_CYCLE_1)
	s_xor_b32 s14, exec_lo, s15
	s_cbranch_execz .LBB118_144
; %bb.143:
	v_add_nc_u32_e32 v0, v5, v1
	v_add_nc_u32_e32 v23, 1, v1
                                        ; implicit-def: $vgpr1
                                        ; implicit-def: $vgpr5
	ds_load_u8 v22, v0 offset:1
.LBB118_144:
	s_or_saveexec_b32 s14, s14
	v_mov_b32_e32 v24, v20
	s_xor_b32 exec_lo, exec_lo, s14
	s_cbranch_execz .LBB118_146
; %bb.145:
	v_add_nc_u32_e32 v0, v5, v21
	s_waitcnt lgkmcnt(0)
	v_dual_mov_b32 v22, v19 :: v_dual_add_nc_u32 v21, 1, v21
	v_mov_b32_e32 v23, v1
	ds_load_u8 v24, v0 offset:1
.LBB118_146:
	s_or_b32 exec_lo, exec_lo, s14
	v_add_co_u32 v0, s14, s18, v3
	s_delay_alu instid0(VALU_DEP_1) | instskip(NEXT) | instid1(VALU_DEP_2)
	v_add_co_ci_u32_e64 v1, null, s19, 0, s14
	v_add_co_u32 v0, s14, v0, v2
	s_delay_alu instid0(VALU_DEP_1)
	v_add_co_ci_u32_e64 v1, s14, 0, v1, s14
	s_and_saveexec_b32 s14, vcc_lo
	s_cbranch_execnz .LBB118_155
; %bb.147:
	s_or_b32 exec_lo, exec_lo, s14
	s_and_saveexec_b32 s7, s0
	s_cbranch_execnz .LBB118_156
.LBB118_148:
	s_or_b32 exec_lo, exec_lo, s7
	s_and_saveexec_b32 s0, s1
	s_cbranch_execnz .LBB118_157
.LBB118_149:
	s_or_b32 exec_lo, exec_lo, s0
	s_and_saveexec_b32 s0, s2
	s_cbranch_execnz .LBB118_158
.LBB118_150:
	s_or_b32 exec_lo, exec_lo, s0
	s_and_saveexec_b32 s0, s3
	s_cbranch_execnz .LBB118_159
.LBB118_151:
	s_or_b32 exec_lo, exec_lo, s0
	s_and_saveexec_b32 s0, s4
	s_cbranch_execnz .LBB118_160
.LBB118_152:
	s_or_b32 exec_lo, exec_lo, s0
	s_and_saveexec_b32 s0, s5
	s_cbranch_execnz .LBB118_161
.LBB118_153:
	s_or_b32 exec_lo, exec_lo, s0
	s_and_saveexec_b32 s0, s6
	s_cbranch_execnz .LBB118_162
.LBB118_154:
	s_nop 0
	s_sendmsg sendmsg(MSG_DEALLOC_VGPRS)
	s_endpgm
.LBB118_155:
	v_cndmask_b32_e64 v2, v4, v8, s7
	global_store_b8 v[0:1], v2, off
	s_or_b32 exec_lo, exec_lo, s14
	s_and_saveexec_b32 s7, s0
	s_cbranch_execz .LBB118_148
.LBB118_156:
	v_cndmask_b32_e64 v2, v10, v9, s8
	global_store_b8 v[0:1], v2, off offset:1
	s_or_b32 exec_lo, exec_lo, s7
	s_and_saveexec_b32 s0, s1
	s_cbranch_execz .LBB118_149
.LBB118_157:
	v_cndmask_b32_e64 v2, v11, v12, s9
	global_store_b8 v[0:1], v2, off offset:2
	s_or_b32 exec_lo, exec_lo, s0
	s_and_saveexec_b32 s0, s2
	s_cbranch_execz .LBB118_150
.LBB118_158:
	v_cndmask_b32_e64 v2, v13, v14, s10
	global_store_b8 v[0:1], v2, off offset:3
	s_or_b32 exec_lo, exec_lo, s0
	s_and_saveexec_b32 s0, s3
	s_cbranch_execz .LBB118_151
.LBB118_159:
	v_cndmask_b32_e64 v2, v15, v16, s11
	global_store_b8 v[0:1], v2, off offset:4
	s_or_b32 exec_lo, exec_lo, s0
	s_and_saveexec_b32 s0, s4
	s_cbranch_execz .LBB118_152
.LBB118_160:
	v_cndmask_b32_e64 v2, v17, v18, s12
	global_store_b8 v[0:1], v2, off offset:5
	s_or_b32 exec_lo, exec_lo, s0
	s_and_saveexec_b32 s0, s5
	s_cbranch_execz .LBB118_153
.LBB118_161:
	v_cndmask_b32_e64 v2, v19, v20, s13
	global_store_b8 v[0:1], v2, off offset:6
	s_or_b32 exec_lo, exec_lo, s0
	s_and_saveexec_b32 s0, s6
	s_cbranch_execz .LBB118_154
.LBB118_162:
	s_waitcnt lgkmcnt(0)
	v_and_b32_e32 v2, 0xff, v22
	v_and_b32_e32 v3, 0xff, v24
	v_cmp_ge_i32_e32 vcc_lo, v23, v6
	v_cmp_lt_i32_e64 s1, v21, v7
	s_delay_alu instid0(VALU_DEP_3) | instskip(NEXT) | instid1(VALU_DEP_1)
	v_cmp_lt_u16_e64 s0, v3, v2
	s_or_b32 s0, vcc_lo, s0
	s_delay_alu instid0(VALU_DEP_2) | instid1(SALU_CYCLE_1)
	s_and_b32 vcc_lo, s1, s0
	v_cndmask_b32_e32 v2, v22, v24, vcc_lo
	global_store_b8 v[0:1], v2, off offset:7
	s_nop 0
	s_sendmsg sendmsg(MSG_DEALLOC_VGPRS)
	s_endpgm
	.section	.rodata,"a",@progbits
	.p2align	6, 0x0
	.amdhsa_kernel _Z19sort_keys_segmentedILj256ELj16ELj8EhN10test_utils4lessEEvPKT2_PS2_PKjT3_
		.amdhsa_group_segment_fixed_size 2064
		.amdhsa_private_segment_fixed_size 0
		.amdhsa_kernarg_size 28
		.amdhsa_user_sgpr_count 15
		.amdhsa_user_sgpr_dispatch_ptr 0
		.amdhsa_user_sgpr_queue_ptr 0
		.amdhsa_user_sgpr_kernarg_segment_ptr 1
		.amdhsa_user_sgpr_dispatch_id 0
		.amdhsa_user_sgpr_private_segment_size 0
		.amdhsa_wavefront_size32 1
		.amdhsa_uses_dynamic_stack 0
		.amdhsa_enable_private_segment 0
		.amdhsa_system_sgpr_workgroup_id_x 1
		.amdhsa_system_sgpr_workgroup_id_y 0
		.amdhsa_system_sgpr_workgroup_id_z 0
		.amdhsa_system_sgpr_workgroup_info 0
		.amdhsa_system_vgpr_workitem_id 0
		.amdhsa_next_free_vgpr 28
		.amdhsa_next_free_sgpr 20
		.amdhsa_reserve_vcc 1
		.amdhsa_float_round_mode_32 0
		.amdhsa_float_round_mode_16_64 0
		.amdhsa_float_denorm_mode_32 3
		.amdhsa_float_denorm_mode_16_64 3
		.amdhsa_dx10_clamp 1
		.amdhsa_ieee_mode 1
		.amdhsa_fp16_overflow 0
		.amdhsa_workgroup_processor_mode 1
		.amdhsa_memory_ordered 1
		.amdhsa_forward_progress 0
		.amdhsa_shared_vgpr_count 0
		.amdhsa_exception_fp_ieee_invalid_op 0
		.amdhsa_exception_fp_denorm_src 0
		.amdhsa_exception_fp_ieee_div_zero 0
		.amdhsa_exception_fp_ieee_overflow 0
		.amdhsa_exception_fp_ieee_underflow 0
		.amdhsa_exception_fp_ieee_inexact 0
		.amdhsa_exception_int_div_zero 0
	.end_amdhsa_kernel
	.section	.text._Z19sort_keys_segmentedILj256ELj16ELj8EhN10test_utils4lessEEvPKT2_PS2_PKjT3_,"axG",@progbits,_Z19sort_keys_segmentedILj256ELj16ELj8EhN10test_utils4lessEEvPKT2_PS2_PKjT3_,comdat
.Lfunc_end118:
	.size	_Z19sort_keys_segmentedILj256ELj16ELj8EhN10test_utils4lessEEvPKT2_PS2_PKjT3_, .Lfunc_end118-_Z19sort_keys_segmentedILj256ELj16ELj8EhN10test_utils4lessEEvPKT2_PS2_PKjT3_
                                        ; -- End function
	.section	.AMDGPU.csdata,"",@progbits
; Kernel info:
; codeLenInByte = 10092
; NumSgprs: 22
; NumVgprs: 28
; ScratchSize: 0
; MemoryBound: 0
; FloatMode: 240
; IeeeMode: 1
; LDSByteSize: 2064 bytes/workgroup (compile time only)
; SGPRBlocks: 2
; VGPRBlocks: 3
; NumSGPRsForWavesPerEU: 22
; NumVGPRsForWavesPerEU: 28
; Occupancy: 16
; WaveLimiterHint : 0
; COMPUTE_PGM_RSRC2:SCRATCH_EN: 0
; COMPUTE_PGM_RSRC2:USER_SGPR: 15
; COMPUTE_PGM_RSRC2:TRAP_HANDLER: 0
; COMPUTE_PGM_RSRC2:TGID_X_EN: 1
; COMPUTE_PGM_RSRC2:TGID_Y_EN: 0
; COMPUTE_PGM_RSRC2:TGID_Z_EN: 0
; COMPUTE_PGM_RSRC2:TIDIG_COMP_CNT: 0
	.section	.text._Z20sort_pairs_segmentedILj256ELj16ELj8EhN10test_utils4lessEEvPKT2_PS2_PKjT3_,"axG",@progbits,_Z20sort_pairs_segmentedILj256ELj16ELj8EhN10test_utils4lessEEvPKT2_PS2_PKjT3_,comdat
	.protected	_Z20sort_pairs_segmentedILj256ELj16ELj8EhN10test_utils4lessEEvPKT2_PS2_PKjT3_ ; -- Begin function _Z20sort_pairs_segmentedILj256ELj16ELj8EhN10test_utils4lessEEvPKT2_PS2_PKjT3_
	.globl	_Z20sort_pairs_segmentedILj256ELj16ELj8EhN10test_utils4lessEEvPKT2_PS2_PKjT3_
	.p2align	8
	.type	_Z20sort_pairs_segmentedILj256ELj16ELj8EhN10test_utils4lessEEvPKT2_PS2_PKjT3_,@function
_Z20sort_pairs_segmentedILj256ELj16ELj8EhN10test_utils4lessEEvPKT2_PS2_PKjT3_: ; @_Z20sort_pairs_segmentedILj256ELj16ELj8EhN10test_utils4lessEEvPKT2_PS2_PKjT3_
; %bb.0:
	s_clause 0x1
	s_load_b64 s[2:3], s[0:1], 0x10
	s_load_b128 s[16:19], s[0:1], 0x0
	v_lshrrev_b32_e32 v7, 4, v0
	v_mov_b32_e32 v1, 0
	s_delay_alu instid0(VALU_DEP_2) | instskip(NEXT) | instid1(VALU_DEP_1)
	v_lshl_or_b32 v0, s15, 4, v7
	v_lshlrev_b64 v[1:2], 2, v[0:1]
	v_lshlrev_b32_e32 v5, 7, v0
	s_waitcnt lgkmcnt(0)
	s_delay_alu instid0(VALU_DEP_2) | instskip(NEXT) | instid1(VALU_DEP_3)
	v_add_co_u32 v1, vcc_lo, s2, v1
	v_add_co_ci_u32_e32 v2, vcc_lo, s3, v2, vcc_lo
	s_delay_alu instid0(VALU_DEP_3) | instskip(SKIP_2) | instid1(VALU_DEP_1)
	v_add_co_u32 v0, s0, s16, v5
	global_load_b32 v6, v[1:2], off
	v_mbcnt_lo_u32_b32 v1, -1, 0
                                        ; implicit-def: $vgpr2
	v_lshlrev_b32_e32 v8, 3, v1
	v_add_co_ci_u32_e64 v1, null, s17, 0, s0
	s_delay_alu instid0(VALU_DEP_2) | instskip(NEXT) | instid1(VALU_DEP_1)
	v_and_b32_e32 v4, 0x78, v8
	v_add_co_u32 v0, vcc_lo, v0, v4
	s_delay_alu instid0(VALU_DEP_3)
	v_add_co_ci_u32_e32 v1, vcc_lo, 0, v1, vcc_lo
	s_waitcnt vmcnt(0)
	v_cmp_lt_u32_e32 vcc_lo, v4, v6
	s_and_saveexec_b32 s0, vcc_lo
	s_cbranch_execz .LBB119_2
; %bb.1:
	global_load_u8 v2, v[0:1], off
.LBB119_2:
	s_or_b32 exec_lo, exec_lo, s0
	v_or_b32_e32 v11, 1, v4
                                        ; implicit-def: $vgpr15
	s_delay_alu instid0(VALU_DEP_1) | instskip(NEXT) | instid1(VALU_DEP_1)
	v_cmp_lt_u32_e64 s0, v11, v6
	s_and_saveexec_b32 s1, s0
	s_cbranch_execz .LBB119_4
; %bb.3:
	global_load_u8 v15, v[0:1], off offset:1
.LBB119_4:
	s_or_b32 exec_lo, exec_lo, s1
	v_or_b32_e32 v9, 2, v4
                                        ; implicit-def: $vgpr3
	s_delay_alu instid0(VALU_DEP_1) | instskip(NEXT) | instid1(VALU_DEP_1)
	v_cmp_lt_u32_e64 s1, v9, v6
	s_and_saveexec_b32 s2, s1
	s_cbranch_execz .LBB119_6
; %bb.5:
	global_load_u8 v3, v[0:1], off offset:2
.LBB119_6:
	s_or_b32 exec_lo, exec_lo, s2
	v_or_b32_e32 v10, 3, v4
                                        ; implicit-def: $vgpr19
	s_delay_alu instid0(VALU_DEP_1) | instskip(NEXT) | instid1(VALU_DEP_1)
	v_cmp_lt_u32_e64 s2, v10, v6
	s_and_saveexec_b32 s3, s2
	s_cbranch_execz .LBB119_8
; %bb.7:
	global_load_u8 v19, v[0:1], off offset:3
.LBB119_8:
	s_or_b32 exec_lo, exec_lo, s3
	v_or_b32_e32 v12, 4, v4
                                        ; implicit-def: $vgpr16
	s_delay_alu instid0(VALU_DEP_1) | instskip(NEXT) | instid1(VALU_DEP_1)
	v_cmp_lt_u32_e64 s3, v12, v6
	s_and_saveexec_b32 s4, s3
	s_cbranch_execz .LBB119_10
; %bb.9:
	global_load_u8 v16, v[0:1], off offset:4
.LBB119_10:
	s_or_b32 exec_lo, exec_lo, s4
	v_or_b32_e32 v13, 5, v4
                                        ; implicit-def: $vgpr20
	s_delay_alu instid0(VALU_DEP_1) | instskip(NEXT) | instid1(VALU_DEP_1)
	v_cmp_lt_u32_e64 s4, v13, v6
	s_and_saveexec_b32 s5, s4
	s_cbranch_execz .LBB119_12
; %bb.11:
	global_load_u8 v20, v[0:1], off offset:5
.LBB119_12:
	s_or_b32 exec_lo, exec_lo, s5
	v_or_b32_e32 v14, 6, v4
                                        ; implicit-def: $vgpr18
	s_delay_alu instid0(VALU_DEP_1) | instskip(NEXT) | instid1(VALU_DEP_1)
	v_cmp_lt_u32_e64 s5, v14, v6
	s_and_saveexec_b32 s6, s5
	s_cbranch_execz .LBB119_14
; %bb.13:
	global_load_u8 v18, v[0:1], off offset:6
.LBB119_14:
	s_or_b32 exec_lo, exec_lo, s6
	v_or_b32_e32 v17, 7, v4
                                        ; implicit-def: $vgpr21
	s_delay_alu instid0(VALU_DEP_1) | instskip(NEXT) | instid1(VALU_DEP_1)
	v_cmp_lt_u32_e64 s6, v17, v6
	s_and_saveexec_b32 s7, s6
	s_cbranch_execz .LBB119_16
; %bb.15:
	global_load_u8 v21, v[0:1], off offset:7
.LBB119_16:
	s_or_b32 exec_lo, exec_lo, s7
	s_waitcnt vmcnt(0)
	v_and_b32_e32 v0, 0xff, v2
	v_lshlrev_b16 v1, 8, v15
	v_and_b32_e32 v15, 0xff, v3
	v_lshlrev_b16 v19, 8, v19
	v_cmp_lt_i32_e64 s7, v11, v6
	v_lshlrev_b16 v20, 8, v20
	v_or_b32_e32 v22, v0, v1
	v_or_b32_e32 v0, 0xffffff00, v0
	;; [unrolled: 1-line block ×3, first 2 shown]
	v_and_b32_e32 v23, 0xff, v18
	v_lshlrev_b16 v21, 8, v21
	v_and_b32_e32 v22, 0xffff, v22
	v_and_b32_e32 v0, 0xffff, v0
	v_lshlrev_b32_e32 v15, 16, v15
	v_add_nc_u16 v2, v2, 1
	v_or_b32_e32 v23, v23, v21
	v_cmp_lt_i32_e64 s8, v10, v6
	v_add_nc_u16 v3, v3, 1
	v_or_b32_e32 v22, v22, v15
	v_or_b32_e32 v0, v0, v15
	v_and_b32_e32 v15, 0xff, v16
	v_add_nc_u16 v16, v16, 1
	v_lshlrev_b32_e32 v23, 16, v23
	v_and_b32_e32 v2, 0xff, v2
	v_cndmask_b32_e64 v0, v0, v22, s7
	v_or_b32_e32 v15, v15, v20
	v_cmp_lt_i32_e64 s7, v9, v6
	v_perm_b32 v9, v16, 0, 0x3020104
	v_or_b32_e32 v1, v1, v2
	v_lshrrev_b32_e32 v11, 16, v0
	v_and_b32_e32 v3, 0xff, v3
	v_and_b32_e32 v2, 0xffff, v2
	v_cndmask_b32_e64 v9, 0, v9, s3
	v_add_nc_u16 v1, v1, 0x100
	v_or_b32_e32 v11, 0xff, v11
	v_lshlrev_b32_e32 v3, 16, v3
	s_mov_b32 s9, exec_lo
	s_delay_alu instid0(VALU_DEP_3) | instskip(NEXT) | instid1(VALU_DEP_3)
	v_and_b32_e32 v1, 0xffff, v1
	v_lshlrev_b32_e32 v11, 16, v11
	s_delay_alu instid0(VALU_DEP_2) | instskip(NEXT) | instid1(VALU_DEP_2)
	v_cndmask_b32_e64 v1, v2, v1, s0
	v_and_or_b32 v0, 0xffff, v0, v11
	v_and_b32_e32 v11, 0xffff, v15
	v_or_b32_e32 v15, 0xff, v15
	s_delay_alu instid0(VALU_DEP_4) | instskip(NEXT) | instid1(VALU_DEP_4)
	v_or_b32_e32 v3, v1, v3
	v_cndmask_b32_e64 v0, v0, v22, s7
	s_delay_alu instid0(VALU_DEP_4) | instskip(NEXT) | instid1(VALU_DEP_4)
	v_or_b32_e32 v11, v11, v23
	v_and_b32_e32 v15, 0xffff, v15
	v_cmp_lt_i32_e64 s7, v12, v6
	v_and_b32_e32 v23, 0xff, v9
	v_lshrrev_b32_e32 v16, 16, v0
	v_cndmask_b32_e64 v1, v1, v3, s1
	v_and_or_b32 v15, 0xffff0000, v11, v15
	s_delay_alu instid0(VALU_DEP_3) | instskip(NEXT) | instid1(VALU_DEP_2)
	v_or_b32_e32 v16, 0xffffff00, v16
	v_cndmask_b32_e64 v12, v15, v11, s7
	s_delay_alu instid0(VALU_DEP_2) | instskip(SKIP_1) | instid1(VALU_DEP_3)
	v_lshlrev_b32_e32 v15, 16, v16
	v_or_b32_e32 v16, v20, v23
	v_or_b32_e32 v20, 0xffffff00, v12
	s_delay_alu instid0(VALU_DEP_3) | instskip(NEXT) | instid1(VALU_DEP_3)
	v_and_or_b32 v0, 0xffff, v0, v15
	v_add_nc_u16 v15, v16, 0x100
	s_delay_alu instid0(VALU_DEP_3) | instskip(NEXT) | instid1(VALU_DEP_3)
	v_and_b32_e32 v16, 0xffff, v20
	v_cndmask_b32_e64 v0, v0, v22, s8
	s_delay_alu instid0(VALU_DEP_3) | instskip(NEXT) | instid1(VALU_DEP_3)
	v_and_b32_e32 v10, 0xffff, v15
	v_and_or_b32 v12, 0xffff0000, v12, v16
	s_delay_alu instid0(VALU_DEP_3) | instskip(SKIP_1) | instid1(VALU_DEP_4)
	v_cndmask_b32_e64 v0, v0, v22, s7
	v_cmp_lt_i32_e64 s7, v13, v6
	v_and_or_b32 v10, 0xffff0000, v9, v10
	v_add_nc_u16 v13, v18, 1
	s_delay_alu instid0(VALU_DEP_3) | instskip(NEXT) | instid1(VALU_DEP_3)
	v_cndmask_b32_e64 v12, v12, v11, s7
	v_cndmask_b32_e64 v2, v9, v10, s4
	;; [unrolled: 1-line block ×3, first 2 shown]
	v_cmp_lt_i32_e64 s7, v14, v6
	s_delay_alu instid0(VALU_DEP_4) | instskip(NEXT) | instid1(VALU_DEP_4)
	v_lshrrev_b32_e32 v9, 16, v12
	v_perm_b32 v10, v2, v13, 0x7000504
	s_delay_alu instid0(VALU_DEP_2) | instskip(NEXT) | instid1(VALU_DEP_2)
	v_or_b32_e32 v9, 0xff, v9
	v_cndmask_b32_e64 v2, v2, v10, s5
	s_delay_alu instid0(VALU_DEP_2) | instskip(SKIP_1) | instid1(VALU_DEP_3)
	v_lshlrev_b32_e32 v3, 16, v9
	v_lshrrev_b32_e32 v9, 16, v1
	v_lshrrev_b32_e32 v10, 16, v2
	s_delay_alu instid0(VALU_DEP_3) | instskip(NEXT) | instid1(VALU_DEP_3)
	v_and_or_b32 v3, 0xffff, v12, v3
	v_and_b32_e32 v9, 0xff, v9
	s_delay_alu instid0(VALU_DEP_3) | instskip(SKIP_1) | instid1(VALU_DEP_4)
	v_and_b32_e32 v10, 0xff, v10
	v_cndmask_b32_e64 v12, v0, v22, s7
	v_cndmask_b32_e64 v0, v3, v11, s7
	s_delay_alu instid0(VALU_DEP_4) | instskip(NEXT) | instid1(VALU_DEP_4)
	v_or_b32_e32 v3, v19, v9
	v_or_b32_e32 v9, v21, v10
	v_cmp_lt_i32_e64 s7, v17, v6
	s_delay_alu instid0(VALU_DEP_4) | instskip(NEXT) | instid1(VALU_DEP_4)
	v_lshrrev_b32_e32 v10, 16, v0
	v_add_nc_u16 v3, v3, 0x100
	s_delay_alu instid0(VALU_DEP_4) | instskip(NEXT) | instid1(VALU_DEP_3)
	v_add_nc_u16 v9, v9, 0x100
	v_or_b32_e32 v10, 0xffffff00, v10
	s_delay_alu instid0(VALU_DEP_3) | instskip(NEXT) | instid1(VALU_DEP_3)
	v_lshlrev_b32_e32 v3, 16, v3
	v_lshlrev_b32_e32 v9, 16, v9
	s_delay_alu instid0(VALU_DEP_3) | instskip(NEXT) | instid1(VALU_DEP_3)
	v_lshlrev_b32_e32 v10, 16, v10
	v_and_or_b32 v3, 0xffff, v1, v3
	s_delay_alu instid0(VALU_DEP_3) | instskip(NEXT) | instid1(VALU_DEP_3)
	v_and_or_b32 v9, 0xffff, v2, v9
	v_and_or_b32 v10, 0xffff, v0, v10
	s_delay_alu instid0(VALU_DEP_3) | instskip(NEXT) | instid1(VALU_DEP_3)
	v_cndmask_b32_e64 v0, v1, v3, s2
	v_cndmask_b32_e64 v1, v2, v9, s6
	;; [unrolled: 1-line block ×3, first 2 shown]
	s_delay_alu instid0(VALU_DEP_4)
	v_cndmask_b32_e64 v3, v10, v11, s7
	v_cmpx_lt_i32_e64 v4, v6
	s_cbranch_execz .LBB119_18
; %bb.17:
	s_delay_alu instid0(VALU_DEP_3)
	v_lshrrev_b32_e32 v9, 8, v2
	v_perm_b32 v11, 0, v2, 0xc0c0001
	v_and_b32_e32 v12, 0xff, v2
	v_perm_b32 v10, 0, v0, 0xc0c0001
	v_and_b32_e32 v14, 0xff, v3
	v_and_b32_e32 v9, 0xff, v9
	v_and_or_b32 v11, 0xffff0000, v2, v11
	s_delay_alu instid0(VALU_DEP_4) | instskip(NEXT) | instid1(VALU_DEP_3)
	v_and_or_b32 v10, 0xffff0000, v0, v10
	v_cmp_lt_u16_e64 s7, v9, v12
	v_lshrrev_b32_e32 v12, 8, v3
	s_delay_alu instid0(VALU_DEP_2) | instskip(NEXT) | instid1(VALU_DEP_4)
	v_cndmask_b32_e64 v2, v2, v11, s7
	v_cndmask_b32_e64 v0, v0, v10, s7
	s_delay_alu instid0(VALU_DEP_3) | instskip(NEXT) | instid1(VALU_DEP_3)
	v_and_b32_e32 v12, 0xff, v12
	v_lshrrev_b32_e32 v10, 16, v2
	s_delay_alu instid0(VALU_DEP_3) | instskip(SKIP_1) | instid1(VALU_DEP_4)
	v_lshrrev_b32_e32 v9, 16, v0
	v_lshrrev_b32_e32 v13, 24, v2
	v_cmp_lt_u16_e64 s8, v12, v14
	s_delay_alu instid0(VALU_DEP_4) | instskip(NEXT) | instid1(VALU_DEP_4)
	v_perm_b32 v11, 0, v10, 0xc0c0001
	v_perm_b32 v9, 0, v9, 0xc0c0001
	v_and_b32_e32 v10, 0xff, v10
	s_delay_alu instid0(VALU_DEP_3) | instskip(NEXT) | instid1(VALU_DEP_3)
	v_lshlrev_b32_e32 v11, 16, v11
	v_lshlrev_b32_e32 v9, 16, v9
	s_delay_alu instid0(VALU_DEP_3) | instskip(SKIP_4) | instid1(VALU_DEP_4)
	v_cmp_lt_u16_e64 s7, v13, v10
	v_perm_b32 v10, v1, v1, 0x7060405
	v_perm_b32 v13, v3, v3, 0x7060405
	v_and_or_b32 v11, 0xffff, v2, v11
	v_and_or_b32 v9, 0xffff, v0, v9
	v_cndmask_b32_e64 v1, v1, v10, s8
	s_delay_alu instid0(VALU_DEP_4) | instskip(NEXT) | instid1(VALU_DEP_4)
	v_cndmask_b32_e64 v3, v3, v13, s8
	v_cndmask_b32_e64 v2, v2, v11, s7
	s_delay_alu instid0(VALU_DEP_4) | instskip(NEXT) | instid1(VALU_DEP_3)
	v_cndmask_b32_e64 v0, v0, v9, s7
	v_lshrrev_b32_e32 v11, 16, v3
	s_delay_alu instid0(VALU_DEP_3)
	v_lshrrev_b32_e32 v9, 16, v2
	v_lshrrev_b32_e32 v10, 8, v2
	;; [unrolled: 1-line block ×3, first 2 shown]
	v_perm_b32 v13, v0, v0, 0x7050604
	v_and_b32_e32 v11, 0xff, v11
	v_and_b32_e32 v9, 0xff, v9
	;; [unrolled: 1-line block ×3, first 2 shown]
	v_perm_b32 v14, v2, v2, 0x7050604
	s_delay_alu instid0(VALU_DEP_4) | instskip(NEXT) | instid1(VALU_DEP_3)
	v_cmp_lt_u16_e64 s8, v12, v11
	v_cmp_lt_u16_e64 s7, v9, v10
	v_perm_b32 v9, v1, v1, 0x6070504
	v_perm_b32 v10, v3, v3, 0x6070504
	s_delay_alu instid0(VALU_DEP_3) | instskip(SKIP_1) | instid1(VALU_DEP_4)
	v_cndmask_b32_e64 v0, v0, v13, s7
	v_cndmask_b32_e64 v2, v2, v14, s7
	;; [unrolled: 1-line block ×3, first 2 shown]
	s_delay_alu instid0(VALU_DEP_4) | instskip(NEXT) | instid1(VALU_DEP_4)
	v_cndmask_b32_e64 v3, v3, v10, s8
	v_lshrrev_b32_e32 v9, 16, v0
	s_delay_alu instid0(VALU_DEP_4) | instskip(NEXT) | instid1(VALU_DEP_4)
	v_lshrrev_b32_e32 v10, 16, v2
	v_lshlrev_b16 v11, 8, v1
	s_delay_alu instid0(VALU_DEP_4) | instskip(NEXT) | instid1(VALU_DEP_4)
	v_lshlrev_b16 v12, 8, v3
	v_and_b32_e32 v9, 0xff, v9
	s_delay_alu instid0(VALU_DEP_4) | instskip(NEXT) | instid1(VALU_DEP_2)
	v_and_b32_e32 v10, 0xff, v10
	v_or_b32_e32 v9, v9, v11
	s_delay_alu instid0(VALU_DEP_2) | instskip(SKIP_2) | instid1(VALU_DEP_4)
	v_or_b32_e32 v10, v10, v12
	v_and_b32_e32 v11, 0xff, v3
	v_lshrrev_b32_e32 v12, 24, v2
	v_lshlrev_b32_e32 v9, 16, v9
	s_delay_alu instid0(VALU_DEP_4) | instskip(NEXT) | instid1(VALU_DEP_3)
	v_lshlrev_b32_e32 v10, 16, v10
	v_cmp_lt_u16_e64 s7, v11, v12
	v_perm_b32 v11, v0, v1, 0x3020107
	s_delay_alu instid0(VALU_DEP_4) | instskip(NEXT) | instid1(VALU_DEP_4)
	v_and_or_b32 v9, 0xffff, v0, v9
	v_and_or_b32 v10, 0xffff, v2, v10
	s_delay_alu instid0(VALU_DEP_3) | instskip(NEXT) | instid1(VALU_DEP_3)
	v_cndmask_b32_e64 v1, v1, v11, s7
	v_cndmask_b32_e64 v0, v0, v9, s7
	s_delay_alu instid0(VALU_DEP_3) | instskip(SKIP_1) | instid1(VALU_DEP_2)
	v_cndmask_b32_e64 v9, v2, v10, s7
	v_perm_b32 v2, v2, v3, 0x3020107
	v_lshrrev_b32_e32 v10, 8, v9
	s_delay_alu instid0(VALU_DEP_2)
	v_cndmask_b32_e64 v2, v3, v2, s7
	v_perm_b32 v3, 0, v0, 0xc0c0001
	v_perm_b32 v11, 0, v9, 0xc0c0001
	v_and_b32_e32 v12, 0xff, v9
	v_and_b32_e32 v10, 0xff, v10
	v_lshrrev_b32_e32 v13, 16, v2
	v_lshrrev_b32_e32 v14, 8, v2
	v_and_or_b32 v3, 0xffff0000, v0, v3
	v_and_or_b32 v11, 0xffff0000, v9, v11
	v_cmp_lt_u16_e64 s7, v10, v12
	v_and_b32_e32 v10, 0xff, v13
	v_and_b32_e32 v12, 0xff, v14
	v_perm_b32 v13, v2, v2, 0x7050604
	s_delay_alu instid0(VALU_DEP_4) | instskip(SKIP_3) | instid1(VALU_DEP_4)
	v_cndmask_b32_e64 v0, v0, v3, s7
	v_cndmask_b32_e64 v3, v9, v11, s7
	v_perm_b32 v9, v1, v1, 0x7050604
	v_cmp_lt_u16_e64 s7, v10, v12
	v_lshrrev_b32_e32 v10, 16, v0
	s_delay_alu instid0(VALU_DEP_4) | instskip(NEXT) | instid1(VALU_DEP_3)
	v_lshrrev_b32_e32 v11, 16, v3
	v_cndmask_b32_e64 v1, v1, v9, s7
	v_cndmask_b32_e64 v2, v2, v13, s7
	s_delay_alu instid0(VALU_DEP_4) | instskip(NEXT) | instid1(VALU_DEP_4)
	v_perm_b32 v9, 0, v10, 0xc0c0001
	v_perm_b32 v10, 0, v11, 0xc0c0001
	v_lshrrev_b32_e32 v13, 24, v3
	v_and_b32_e32 v11, 0xff, v11
	v_lshrrev_b32_e32 v12, 8, v2
	v_lshlrev_b32_e32 v9, 16, v9
	v_lshlrev_b32_e32 v10, 16, v10
	v_and_b32_e32 v14, 0xff, v2
	v_cmp_lt_u16_e64 s7, v13, v11
	v_and_b32_e32 v12, 0xff, v12
	v_and_or_b32 v9, 0xffff, v0, v9
	v_and_or_b32 v10, 0xffff, v3, v10
	v_perm_b32 v13, v2, v2, 0x7060405
	v_perm_b32 v11, v1, v1, 0x7060405
	v_cmp_lt_u16_e64 s8, v12, v14
	v_cndmask_b32_e64 v0, v0, v9, s7
	v_cndmask_b32_e64 v3, v3, v10, s7
	s_delay_alu instid0(VALU_DEP_3) | instskip(SKIP_1) | instid1(VALU_DEP_3)
	v_cndmask_b32_e64 v2, v2, v13, s8
	v_cndmask_b32_e64 v1, v1, v11, s8
	v_lshrrev_b32_e32 v9, 16, v3
	v_lshrrev_b32_e32 v10, 8, v3
	v_perm_b32 v13, v0, v0, 0x7050604
	v_lshrrev_b32_e32 v11, 16, v2
	v_lshrrev_b32_e32 v12, 24, v2
	v_and_b32_e32 v9, 0xff, v9
	v_and_b32_e32 v10, 0xff, v10
	v_perm_b32 v14, v3, v3, 0x7050604
	v_and_b32_e32 v11, 0xff, v11
	s_delay_alu instid0(VALU_DEP_3) | instskip(SKIP_2) | instid1(VALU_DEP_4)
	v_cmp_lt_u16_e64 s7, v9, v10
	v_perm_b32 v9, v1, v1, 0x6070504
	v_perm_b32 v10, v2, v2, 0x6070504
	v_cmp_lt_u16_e64 s8, v12, v11
	s_delay_alu instid0(VALU_DEP_4) | instskip(SKIP_1) | instid1(VALU_DEP_3)
	v_cndmask_b32_e64 v0, v0, v13, s7
	v_cndmask_b32_e64 v3, v3, v14, s7
	;; [unrolled: 1-line block ×4, first 2 shown]
	s_delay_alu instid0(VALU_DEP_4) | instskip(NEXT) | instid1(VALU_DEP_4)
	v_lshrrev_b32_e32 v9, 16, v0
	v_lshrrev_b32_e32 v10, 16, v3
	s_delay_alu instid0(VALU_DEP_4) | instskip(NEXT) | instid1(VALU_DEP_4)
	v_lshlrev_b16 v11, 8, v1
	v_lshlrev_b16 v12, 8, v2
	s_delay_alu instid0(VALU_DEP_4) | instskip(NEXT) | instid1(VALU_DEP_4)
	v_and_b32_e32 v9, 0xff, v9
	v_and_b32_e32 v10, 0xff, v10
	s_delay_alu instid0(VALU_DEP_2) | instskip(NEXT) | instid1(VALU_DEP_2)
	v_or_b32_e32 v9, v9, v11
	v_or_b32_e32 v10, v10, v12
	v_and_b32_e32 v11, 0xff, v2
	v_lshrrev_b32_e32 v12, 24, v3
	s_delay_alu instid0(VALU_DEP_4) | instskip(NEXT) | instid1(VALU_DEP_4)
	v_lshlrev_b32_e32 v9, 16, v9
	v_lshlrev_b32_e32 v10, 16, v10
	s_delay_alu instid0(VALU_DEP_3) | instskip(SKIP_1) | instid1(VALU_DEP_4)
	v_cmp_lt_u16_e64 s7, v11, v12
	v_perm_b32 v11, v0, v1, 0x3020107
	v_and_or_b32 v9, 0xffff, v0, v9
	s_delay_alu instid0(VALU_DEP_4) | instskip(NEXT) | instid1(VALU_DEP_3)
	v_and_or_b32 v10, 0xffff, v3, v10
	v_cndmask_b32_e64 v1, v1, v11, s7
	s_delay_alu instid0(VALU_DEP_3) | instskip(NEXT) | instid1(VALU_DEP_3)
	v_cndmask_b32_e64 v0, v0, v9, s7
	v_cndmask_b32_e64 v9, v3, v10, s7
	v_perm_b32 v3, v3, v2, 0x3020107
	s_delay_alu instid0(VALU_DEP_2) | instskip(NEXT) | instid1(VALU_DEP_2)
	v_lshrrev_b32_e32 v10, 8, v9
	v_cndmask_b32_e64 v2, v2, v3, s7
	v_perm_b32 v3, 0, v0, 0xc0c0001
	v_perm_b32 v11, 0, v9, 0xc0c0001
	v_and_b32_e32 v12, 0xff, v9
	v_and_b32_e32 v10, 0xff, v10
	v_lshrrev_b32_e32 v13, 16, v2
	v_lshrrev_b32_e32 v14, 8, v2
	v_and_or_b32 v3, 0xffff0000, v0, v3
	v_and_or_b32 v11, 0xffff0000, v9, v11
	v_cmp_lt_u16_e64 s7, v10, v12
	v_and_b32_e32 v10, 0xff, v13
	v_and_b32_e32 v12, 0xff, v14
	v_perm_b32 v13, v2, v2, 0x7050604
	s_delay_alu instid0(VALU_DEP_4) | instskip(SKIP_3) | instid1(VALU_DEP_4)
	v_cndmask_b32_e64 v0, v0, v3, s7
	v_cndmask_b32_e64 v3, v9, v11, s7
	v_perm_b32 v9, v1, v1, 0x7050604
	v_cmp_lt_u16_e64 s7, v10, v12
	v_lshrrev_b32_e32 v10, 16, v0
	s_delay_alu instid0(VALU_DEP_4) | instskip(NEXT) | instid1(VALU_DEP_3)
	v_lshrrev_b32_e32 v11, 16, v3
	v_cndmask_b32_e64 v1, v1, v9, s7
	v_cndmask_b32_e64 v2, v2, v13, s7
	s_delay_alu instid0(VALU_DEP_4) | instskip(NEXT) | instid1(VALU_DEP_4)
	v_perm_b32 v9, 0, v10, 0xc0c0001
	v_perm_b32 v10, 0, v11, 0xc0c0001
	v_lshrrev_b32_e32 v13, 24, v3
	v_and_b32_e32 v11, 0xff, v11
	v_lshrrev_b32_e32 v12, 8, v2
	v_lshlrev_b32_e32 v9, 16, v9
	v_lshlrev_b32_e32 v10, 16, v10
	v_and_b32_e32 v14, 0xff, v2
	v_cmp_lt_u16_e64 s7, v13, v11
	v_and_b32_e32 v12, 0xff, v12
	v_and_or_b32 v9, 0xffff, v0, v9
	v_and_or_b32 v10, 0xffff, v3, v10
	v_perm_b32 v13, v2, v2, 0x7060405
	v_perm_b32 v11, v1, v1, 0x7060405
	v_cmp_lt_u16_e64 s8, v12, v14
	v_cndmask_b32_e64 v0, v0, v9, s7
	v_cndmask_b32_e64 v3, v3, v10, s7
	s_delay_alu instid0(VALU_DEP_3) | instskip(SKIP_1) | instid1(VALU_DEP_3)
	v_cndmask_b32_e64 v2, v2, v13, s8
	v_cndmask_b32_e64 v1, v1, v11, s8
	v_lshrrev_b32_e32 v9, 16, v3
	v_lshrrev_b32_e32 v10, 8, v3
	v_perm_b32 v13, v0, v0, 0x7050604
	v_lshrrev_b32_e32 v11, 16, v2
	v_lshrrev_b32_e32 v12, 24, v2
	v_and_b32_e32 v9, 0xff, v9
	v_and_b32_e32 v10, 0xff, v10
	v_perm_b32 v14, v3, v3, 0x7050604
	v_and_b32_e32 v11, 0xff, v11
	s_delay_alu instid0(VALU_DEP_3) | instskip(SKIP_2) | instid1(VALU_DEP_4)
	v_cmp_lt_u16_e64 s7, v9, v10
	v_perm_b32 v9, v1, v1, 0x6070504
	v_perm_b32 v10, v2, v2, 0x6070504
	v_cmp_lt_u16_e64 s8, v12, v11
	s_delay_alu instid0(VALU_DEP_4) | instskip(SKIP_1) | instid1(VALU_DEP_3)
	v_cndmask_b32_e64 v0, v0, v13, s7
	v_cndmask_b32_e64 v3, v3, v14, s7
	;; [unrolled: 1-line block ×4, first 2 shown]
	s_delay_alu instid0(VALU_DEP_4) | instskip(NEXT) | instid1(VALU_DEP_4)
	v_lshrrev_b32_e32 v9, 16, v0
	v_lshrrev_b32_e32 v10, 16, v3
	s_delay_alu instid0(VALU_DEP_4) | instskip(NEXT) | instid1(VALU_DEP_4)
	v_lshlrev_b16 v11, 8, v1
	v_lshlrev_b16 v12, 8, v2
	s_delay_alu instid0(VALU_DEP_4) | instskip(NEXT) | instid1(VALU_DEP_4)
	v_and_b32_e32 v9, 0xff, v9
	v_and_b32_e32 v10, 0xff, v10
	s_delay_alu instid0(VALU_DEP_2) | instskip(NEXT) | instid1(VALU_DEP_2)
	v_or_b32_e32 v9, v9, v11
	v_or_b32_e32 v10, v10, v12
	v_and_b32_e32 v11, 0xff, v2
	v_lshrrev_b32_e32 v12, 24, v3
	s_delay_alu instid0(VALU_DEP_4) | instskip(NEXT) | instid1(VALU_DEP_4)
	v_lshlrev_b32_e32 v9, 16, v9
	v_lshlrev_b32_e32 v10, 16, v10
	s_delay_alu instid0(VALU_DEP_3) | instskip(SKIP_1) | instid1(VALU_DEP_4)
	v_cmp_lt_u16_e64 s7, v11, v12
	v_perm_b32 v11, v0, v1, 0x3020107
	v_and_or_b32 v9, 0xffff, v0, v9
	s_delay_alu instid0(VALU_DEP_4) | instskip(NEXT) | instid1(VALU_DEP_3)
	v_and_or_b32 v10, 0xffff, v3, v10
	v_cndmask_b32_e64 v1, v1, v11, s7
	s_delay_alu instid0(VALU_DEP_3) | instskip(NEXT) | instid1(VALU_DEP_3)
	v_cndmask_b32_e64 v0, v0, v9, s7
	v_cndmask_b32_e64 v9, v3, v10, s7
	v_perm_b32 v3, v3, v2, 0x3020107
	s_delay_alu instid0(VALU_DEP_2) | instskip(NEXT) | instid1(VALU_DEP_2)
	v_lshrrev_b32_e32 v10, 8, v9
	v_cndmask_b32_e64 v2, v2, v3, s7
	v_perm_b32 v3, 0, v0, 0xc0c0001
	v_perm_b32 v11, 0, v9, 0xc0c0001
	v_and_b32_e32 v12, 0xff, v9
	v_and_b32_e32 v10, 0xff, v10
	v_lshrrev_b32_e32 v13, 16, v2
	v_lshrrev_b32_e32 v14, 8, v2
	v_and_or_b32 v3, 0xffff0000, v0, v3
	v_and_or_b32 v11, 0xffff0000, v9, v11
	v_cmp_lt_u16_e64 s7, v10, v12
	v_and_b32_e32 v10, 0xff, v13
	v_and_b32_e32 v12, 0xff, v14
	v_perm_b32 v13, v2, v2, 0x7050604
	s_delay_alu instid0(VALU_DEP_4) | instskip(SKIP_3) | instid1(VALU_DEP_4)
	v_cndmask_b32_e64 v0, v0, v3, s7
	v_cndmask_b32_e64 v3, v9, v11, s7
	v_perm_b32 v9, v1, v1, 0x7050604
	v_cmp_lt_u16_e64 s7, v10, v12
	v_lshrrev_b32_e32 v10, 16, v0
	s_delay_alu instid0(VALU_DEP_4) | instskip(NEXT) | instid1(VALU_DEP_3)
	v_lshrrev_b32_e32 v11, 16, v3
	v_cndmask_b32_e64 v1, v1, v9, s7
	v_cndmask_b32_e64 v2, v2, v13, s7
	s_delay_alu instid0(VALU_DEP_4) | instskip(NEXT) | instid1(VALU_DEP_4)
	v_perm_b32 v9, 0, v10, 0xc0c0001
	v_perm_b32 v10, 0, v11, 0xc0c0001
	v_lshrrev_b32_e32 v13, 24, v3
	v_and_b32_e32 v11, 0xff, v11
	v_lshrrev_b32_e32 v12, 8, v2
	v_lshlrev_b32_e32 v9, 16, v9
	v_lshlrev_b32_e32 v10, 16, v10
	v_and_b32_e32 v14, 0xff, v2
	v_cmp_lt_u16_e64 s7, v13, v11
	v_and_b32_e32 v12, 0xff, v12
	v_and_or_b32 v9, 0xffff, v0, v9
	v_and_or_b32 v10, 0xffff, v3, v10
	v_perm_b32 v13, v2, v2, 0x7060405
	v_perm_b32 v11, v1, v1, 0x7060405
	v_cmp_lt_u16_e64 s8, v12, v14
	v_cndmask_b32_e64 v0, v0, v9, s7
	v_cndmask_b32_e64 v3, v3, v10, s7
	s_delay_alu instid0(VALU_DEP_3) | instskip(SKIP_1) | instid1(VALU_DEP_3)
	v_cndmask_b32_e64 v2, v2, v13, s8
	v_cndmask_b32_e64 v1, v1, v11, s8
	v_lshrrev_b32_e32 v9, 16, v3
	v_lshrrev_b32_e32 v10, 8, v3
	v_perm_b32 v12, v0, v0, 0x7050604
	v_lshrrev_b32_e32 v11, 16, v2
	v_lshrrev_b32_e32 v14, 24, v2
	v_and_b32_e32 v9, 0xff, v9
	v_and_b32_e32 v10, 0xff, v10
	v_perm_b32 v13, v1, v1, 0x6070504
	v_and_b32_e32 v11, 0xff, v11
	s_delay_alu instid0(VALU_DEP_3) | instskip(SKIP_1) | instid1(VALU_DEP_3)
	v_cmp_lt_u16_e64 s7, v9, v10
	v_perm_b32 v10, v2, v2, 0x6070504
	v_cmp_lt_u16_e64 s8, v14, v11
	s_delay_alu instid0(VALU_DEP_3) | instskip(SKIP_1) | instid1(VALU_DEP_3)
	v_cndmask_b32_e64 v9, v0, v12, s7
	v_perm_b32 v12, v3, v3, 0x7050604
	v_cndmask_b32_e64 v1, v1, v13, s8
	v_cndmask_b32_e64 v2, v2, v10, s8
	s_delay_alu instid0(VALU_DEP_4) | instskip(NEXT) | instid1(VALU_DEP_4)
	v_lshrrev_b32_e32 v0, 16, v9
	v_cndmask_b32_e64 v3, v3, v12, s7
	s_delay_alu instid0(VALU_DEP_4) | instskip(NEXT) | instid1(VALU_DEP_4)
	v_lshlrev_b16 v11, 8, v1
	v_and_b32_e32 v10, 0xff, v2
	s_delay_alu instid0(VALU_DEP_4) | instskip(NEXT) | instid1(VALU_DEP_4)
	v_and_b32_e32 v0, 0xff, v0
	v_perm_b32 v12, v3, v2, 0x3020107
	v_lshrrev_b32_e32 v13, 16, v3
	s_delay_alu instid0(VALU_DEP_3) | instskip(SKIP_1) | instid1(VALU_DEP_2)
	v_or_b32_e32 v0, v0, v11
	v_lshrrev_b32_e32 v11, 24, v3
	v_lshlrev_b32_e32 v0, 16, v0
	s_delay_alu instid0(VALU_DEP_2) | instskip(SKIP_2) | instid1(VALU_DEP_4)
	v_cmp_lt_u16_e64 s7, v10, v11
	v_lshlrev_b16 v10, 8, v2
	v_and_b32_e32 v11, 0xff, v13
	v_and_or_b32 v0, 0xffff, v9, v0
	s_delay_alu instid0(VALU_DEP_4) | instskip(NEXT) | instid1(VALU_DEP_3)
	v_cndmask_b32_e64 v12, v2, v12, s7
	v_or_b32_e32 v2, v11, v10
	s_delay_alu instid0(VALU_DEP_3) | instskip(SKIP_1) | instid1(VALU_DEP_4)
	v_cndmask_b32_e64 v0, v9, v0, s7
	v_perm_b32 v9, v9, v1, 0x3020107
	v_lshrrev_b32_e32 v10, 16, v12
	v_lshrrev_b32_e32 v11, 8, v12
	v_lshlrev_b32_e32 v2, 16, v2
	s_delay_alu instid0(VALU_DEP_4) | instskip(NEXT) | instid1(VALU_DEP_4)
	v_cndmask_b32_e64 v1, v1, v9, s7
	v_and_b32_e32 v9, 0xff, v10
	s_delay_alu instid0(VALU_DEP_4) | instskip(NEXT) | instid1(VALU_DEP_4)
	v_and_b32_e32 v10, 0xff, v11
	v_and_or_b32 v2, 0xffff, v3, v2
	v_perm_b32 v11, v12, v12, 0x7050604
	v_perm_b32 v13, v1, v1, 0x7050604
	s_delay_alu instid0(VALU_DEP_4) | instskip(NEXT) | instid1(VALU_DEP_4)
	v_cmp_lt_u16_e64 s8, v9, v10
	v_cndmask_b32_e64 v2, v3, v2, s7
	s_delay_alu instid0(VALU_DEP_2)
	v_cndmask_b32_e64 v1, v1, v13, s8
	v_cndmask_b32_e64 v3, v12, v11, s8
.LBB119_18:
	s_or_b32 exec_lo, exec_lo, s9
	v_and_b32_e32 v9, 0x70, v8
	v_and_b32_e32 v12, 8, v8
	s_mov_b32 s8, exec_lo
	; wave barrier
	s_delay_alu instid0(VALU_DEP_2) | instskip(NEXT) | instid1(VALU_DEP_2)
	v_min_i32_e32 v11, v6, v9
	v_min_i32_e32 v12, v6, v12
	s_delay_alu instid0(VALU_DEP_2) | instskip(NEXT) | instid1(VALU_DEP_1)
	v_add_nc_u32_e32 v9, 8, v11
	v_min_i32_e32 v9, v6, v9
	s_delay_alu instid0(VALU_DEP_1) | instskip(SKIP_1) | instid1(VALU_DEP_2)
	v_add_nc_u32_e32 v10, 8, v9
	v_sub_nc_u32_e32 v15, v9, v11
	v_min_i32_e32 v10, v6, v10
	s_delay_alu instid0(VALU_DEP_1) | instskip(NEXT) | instid1(VALU_DEP_1)
	v_sub_nc_u32_e32 v13, v10, v9
	v_sub_nc_u32_e32 v14, v12, v13
	v_cmp_ge_i32_e64 s7, v12, v13
	s_delay_alu instid0(VALU_DEP_1)
	v_cndmask_b32_e64 v13, 0, v14, s7
	v_min_i32_e32 v14, v12, v15
	v_mad_u32_u24 v15, 0x81, v7, v4
	v_mul_u32_u24_e32 v7, 0x81, v7
	ds_store_b64 v15, v[2:3]
	; wave barrier
	v_cmpx_lt_i32_e64 v13, v14
	s_cbranch_execz .LBB119_22
; %bb.19:
	v_add_nc_u32_e32 v2, v7, v11
	v_add3_u32 v3, v7, v9, v12
	s_mov_b32 s9, 0
	.p2align	6
.LBB119_20:                             ; =>This Inner Loop Header: Depth=1
	v_sub_nc_u32_e32 v15, v14, v13
	s_delay_alu instid0(VALU_DEP_1) | instskip(NEXT) | instid1(VALU_DEP_1)
	v_lshrrev_b32_e32 v16, 31, v15
	v_add_nc_u32_e32 v15, v15, v16
	s_delay_alu instid0(VALU_DEP_1) | instskip(NEXT) | instid1(VALU_DEP_1)
	v_ashrrev_i32_e32 v15, 1, v15
	v_add_nc_u32_e32 v15, v15, v13
	s_delay_alu instid0(VALU_DEP_1)
	v_add_nc_u32_e32 v16, v2, v15
	v_xad_u32 v17, v15, -1, v3
	v_add_nc_u32_e32 v18, 1, v15
	ds_load_u8 v16, v16
	ds_load_u8 v17, v17
	s_waitcnt lgkmcnt(0)
	v_cmp_lt_u16_e64 s7, v17, v16
	s_delay_alu instid0(VALU_DEP_1) | instskip(SKIP_1) | instid1(VALU_DEP_1)
	v_cndmask_b32_e64 v14, v14, v15, s7
	v_cndmask_b32_e64 v13, v18, v13, s7
	v_cmp_ge_i32_e64 s7, v13, v14
	s_delay_alu instid0(VALU_DEP_1) | instskip(NEXT) | instid1(SALU_CYCLE_1)
	s_or_b32 s9, s7, s9
	s_and_not1_b32 exec_lo, exec_lo, s9
	s_cbranch_execnz .LBB119_20
; %bb.21:
	s_or_b32 exec_lo, exec_lo, s9
.LBB119_22:
	s_delay_alu instid0(SALU_CYCLE_1) | instskip(SKIP_2) | instid1(VALU_DEP_2)
	s_or_b32 exec_lo, exec_lo, s8
	v_add_nc_u32_e32 v3, v9, v12
	v_add_nc_u32_e32 v2, v13, v11
	v_sub_nc_u32_e32 v3, v3, v13
	s_delay_alu instid0(VALU_DEP_2) | instskip(SKIP_1) | instid1(VALU_DEP_3)
	v_add_nc_u32_e32 v16, v7, v2
	v_cmp_le_i32_e64 s7, v9, v2
	v_add_nc_u32_e32 v15, v7, v3
	v_cmp_gt_i32_e64 s9, v10, v3
	ds_load_u8 v11, v16
	ds_load_u8 v12, v15
	s_waitcnt lgkmcnt(1)
	v_and_b32_e32 v13, 0xff, v11
	s_waitcnt lgkmcnt(0)
	v_and_b32_e32 v14, 0xff, v12
	s_delay_alu instid0(VALU_DEP_1) | instskip(NEXT) | instid1(VALU_DEP_1)
	v_cmp_lt_u16_e64 s8, v14, v13
                                        ; implicit-def: $vgpr13
                                        ; implicit-def: $vgpr14
	s_or_b32 s7, s7, s8
	s_delay_alu instid0(SALU_CYCLE_1) | instskip(NEXT) | instid1(SALU_CYCLE_1)
	s_and_b32 s7, s9, s7
	s_xor_b32 s8, s7, -1
	s_delay_alu instid0(SALU_CYCLE_1) | instskip(NEXT) | instid1(SALU_CYCLE_1)
	s_and_saveexec_b32 s9, s8
	s_xor_b32 s8, exec_lo, s9
	s_cbranch_execz .LBB119_24
; %bb.23:
	ds_load_u8 v14, v16 offset:1
	v_mov_b32_e32 v13, v12
                                        ; implicit-def: $vgpr15
.LBB119_24:
	s_and_not1_saveexec_b32 s8, s8
	s_cbranch_execz .LBB119_26
; %bb.25:
	ds_load_u8 v13, v15 offset:1
	s_waitcnt lgkmcnt(1)
	v_mov_b32_e32 v14, v11
.LBB119_26:
	s_or_b32 exec_lo, exec_lo, s8
	v_add_nc_u32_e32 v15, 1, v2
	v_add_nc_u32_e32 v16, 1, v3
	s_waitcnt lgkmcnt(0)
	v_and_b32_e32 v17, 0xff, v14
	v_and_b32_e32 v18, 0xff, v13
	v_cndmask_b32_e64 v15, v15, v2, s7
	v_cndmask_b32_e64 v16, v3, v16, s7
	s_delay_alu instid0(VALU_DEP_3) | instskip(NEXT) | instid1(VALU_DEP_3)
	v_cmp_lt_u16_e64 s9, v18, v17
                                        ; implicit-def: $vgpr17
	v_cmp_ge_i32_e64 s8, v15, v9
	s_delay_alu instid0(VALU_DEP_3) | instskip(NEXT) | instid1(VALU_DEP_2)
	v_cmp_lt_i32_e64 s10, v16, v10
	s_or_b32 s8, s8, s9
	s_delay_alu instid0(VALU_DEP_1) | instid1(SALU_CYCLE_1)
	s_and_b32 s8, s10, s8
	s_delay_alu instid0(SALU_CYCLE_1) | instskip(NEXT) | instid1(SALU_CYCLE_1)
	s_xor_b32 s9, s8, -1
	s_and_saveexec_b32 s10, s9
	s_delay_alu instid0(SALU_CYCLE_1)
	s_xor_b32 s9, exec_lo, s10
	s_cbranch_execz .LBB119_28
; %bb.27:
	v_add_nc_u32_e32 v17, v7, v15
	ds_load_u8 v17, v17 offset:1
.LBB119_28:
	s_or_saveexec_b32 s9, s9
	v_mov_b32_e32 v18, v13
	s_xor_b32 exec_lo, exec_lo, s9
	s_cbranch_execz .LBB119_30
; %bb.29:
	s_waitcnt lgkmcnt(0)
	v_add_nc_u32_e32 v17, v7, v16
	ds_load_u8 v18, v17 offset:1
	v_mov_b32_e32 v17, v14
.LBB119_30:
	s_or_b32 exec_lo, exec_lo, s9
	v_add_nc_u32_e32 v19, 1, v15
	v_add_nc_u32_e32 v20, 1, v16
	s_waitcnt lgkmcnt(0)
	v_and_b32_e32 v21, 0xff, v17
	v_and_b32_e32 v22, 0xff, v18
	v_cndmask_b32_e64 v19, v19, v15, s8
	v_cndmask_b32_e64 v20, v16, v20, s8
	s_delay_alu instid0(VALU_DEP_3) | instskip(NEXT) | instid1(VALU_DEP_3)
	v_cmp_lt_u16_e64 s10, v22, v21
                                        ; implicit-def: $vgpr21
	v_cmp_ge_i32_e64 s9, v19, v9
	s_delay_alu instid0(VALU_DEP_3) | instskip(NEXT) | instid1(VALU_DEP_2)
	v_cmp_lt_i32_e64 s11, v20, v10
	s_or_b32 s9, s9, s10
	s_delay_alu instid0(VALU_DEP_1) | instid1(SALU_CYCLE_1)
	s_and_b32 s9, s11, s9
	s_delay_alu instid0(SALU_CYCLE_1) | instskip(NEXT) | instid1(SALU_CYCLE_1)
	s_xor_b32 s10, s9, -1
	s_and_saveexec_b32 s11, s10
	s_delay_alu instid0(SALU_CYCLE_1)
	s_xor_b32 s10, exec_lo, s11
	s_cbranch_execz .LBB119_32
; %bb.31:
	v_add_nc_u32_e32 v21, v7, v19
	ds_load_u8 v21, v21 offset:1
.LBB119_32:
	s_or_saveexec_b32 s10, s10
	v_mov_b32_e32 v22, v18
	s_xor_b32 exec_lo, exec_lo, s10
	s_cbranch_execz .LBB119_34
; %bb.33:
	s_waitcnt lgkmcnt(0)
	v_add_nc_u32_e32 v21, v7, v20
	ds_load_u8 v22, v21 offset:1
	v_mov_b32_e32 v21, v17
.LBB119_34:
	s_or_b32 exec_lo, exec_lo, s10
	v_add_nc_u32_e32 v23, 1, v19
	v_add_nc_u32_e32 v24, 1, v20
	s_waitcnt lgkmcnt(0)
	v_and_b32_e32 v25, 0xff, v21
	v_and_b32_e32 v26, 0xff, v22
	v_cndmask_b32_e64 v23, v23, v19, s9
	v_cndmask_b32_e64 v24, v20, v24, s9
	s_delay_alu instid0(VALU_DEP_3) | instskip(NEXT) | instid1(VALU_DEP_3)
	v_cmp_lt_u16_e64 s11, v26, v25
                                        ; implicit-def: $vgpr25
	v_cmp_ge_i32_e64 s10, v23, v9
	s_delay_alu instid0(VALU_DEP_3) | instskip(NEXT) | instid1(VALU_DEP_2)
	v_cmp_lt_i32_e64 s12, v24, v10
	s_or_b32 s10, s10, s11
	s_delay_alu instid0(VALU_DEP_1) | instid1(SALU_CYCLE_1)
	s_and_b32 s10, s12, s10
	s_delay_alu instid0(SALU_CYCLE_1) | instskip(NEXT) | instid1(SALU_CYCLE_1)
	s_xor_b32 s11, s10, -1
	s_and_saveexec_b32 s12, s11
	s_delay_alu instid0(SALU_CYCLE_1)
	s_xor_b32 s11, exec_lo, s12
	s_cbranch_execz .LBB119_36
; %bb.35:
	v_add_nc_u32_e32 v25, v7, v23
	ds_load_u8 v25, v25 offset:1
.LBB119_36:
	s_or_saveexec_b32 s11, s11
	v_mov_b32_e32 v26, v22
	s_xor_b32 exec_lo, exec_lo, s11
	s_cbranch_execz .LBB119_38
; %bb.37:
	s_waitcnt lgkmcnt(0)
	v_add_nc_u32_e32 v25, v7, v24
	ds_load_u8 v26, v25 offset:1
	v_mov_b32_e32 v25, v21
.LBB119_38:
	s_or_b32 exec_lo, exec_lo, s11
	v_add_nc_u32_e32 v27, 1, v23
	v_add_nc_u32_e32 v28, 1, v24
	s_waitcnt lgkmcnt(0)
	v_and_b32_e32 v29, 0xff, v25
	v_and_b32_e32 v30, 0xff, v26
	v_cndmask_b32_e64 v27, v27, v23, s10
	v_cndmask_b32_e64 v28, v24, v28, s10
	s_delay_alu instid0(VALU_DEP_3) | instskip(NEXT) | instid1(VALU_DEP_3)
	v_cmp_lt_u16_e64 s12, v30, v29
                                        ; implicit-def: $vgpr29
	v_cmp_ge_i32_e64 s11, v27, v9
	s_delay_alu instid0(VALU_DEP_3) | instskip(NEXT) | instid1(VALU_DEP_2)
	v_cmp_lt_i32_e64 s13, v28, v10
	s_or_b32 s11, s11, s12
	s_delay_alu instid0(VALU_DEP_1) | instid1(SALU_CYCLE_1)
	s_and_b32 s11, s13, s11
	s_delay_alu instid0(SALU_CYCLE_1) | instskip(NEXT) | instid1(SALU_CYCLE_1)
	s_xor_b32 s12, s11, -1
	s_and_saveexec_b32 s13, s12
	s_delay_alu instid0(SALU_CYCLE_1)
	s_xor_b32 s12, exec_lo, s13
	s_cbranch_execz .LBB119_40
; %bb.39:
	v_add_nc_u32_e32 v29, v7, v27
	ds_load_u8 v29, v29 offset:1
.LBB119_40:
	s_or_saveexec_b32 s12, s12
	v_mov_b32_e32 v30, v26
	s_xor_b32 exec_lo, exec_lo, s12
	s_cbranch_execz .LBB119_42
; %bb.41:
	s_waitcnt lgkmcnt(0)
	v_add_nc_u32_e32 v29, v7, v28
	ds_load_u8 v30, v29 offset:1
	v_mov_b32_e32 v29, v25
.LBB119_42:
	s_or_b32 exec_lo, exec_lo, s12
	v_add_nc_u32_e32 v31, 1, v27
	v_add_nc_u32_e32 v32, 1, v28
	s_waitcnt lgkmcnt(0)
	v_and_b32_e32 v33, 0xff, v29
	v_and_b32_e32 v34, 0xff, v30
	v_cndmask_b32_e64 v31, v31, v27, s11
	v_cndmask_b32_e64 v32, v28, v32, s11
	s_delay_alu instid0(VALU_DEP_3) | instskip(NEXT) | instid1(VALU_DEP_3)
	v_cmp_lt_u16_e64 s13, v34, v33
                                        ; implicit-def: $vgpr33
	v_cmp_ge_i32_e64 s12, v31, v9
	s_delay_alu instid0(VALU_DEP_3) | instskip(NEXT) | instid1(VALU_DEP_2)
	v_cmp_lt_i32_e64 s14, v32, v10
	s_or_b32 s12, s12, s13
	s_delay_alu instid0(VALU_DEP_1) | instid1(SALU_CYCLE_1)
	s_and_b32 s12, s14, s12
	s_delay_alu instid0(SALU_CYCLE_1) | instskip(NEXT) | instid1(SALU_CYCLE_1)
	s_xor_b32 s13, s12, -1
	s_and_saveexec_b32 s14, s13
	s_delay_alu instid0(SALU_CYCLE_1)
	s_xor_b32 s13, exec_lo, s14
	s_cbranch_execz .LBB119_44
; %bb.43:
	v_add_nc_u32_e32 v33, v7, v31
	ds_load_u8 v33, v33 offset:1
.LBB119_44:
	s_or_saveexec_b32 s13, s13
	v_mov_b32_e32 v35, v30
	s_xor_b32 exec_lo, exec_lo, s13
	s_cbranch_execz .LBB119_46
; %bb.45:
	s_waitcnt lgkmcnt(0)
	v_add_nc_u32_e32 v33, v7, v32
	ds_load_u8 v35, v33 offset:1
	v_mov_b32_e32 v33, v29
.LBB119_46:
	s_or_b32 exec_lo, exec_lo, s13
	v_add_nc_u32_e32 v34, 1, v31
	v_add_nc_u32_e32 v36, 1, v32
	s_waitcnt lgkmcnt(0)
	v_and_b32_e32 v39, 0xff, v33
	s_delay_alu instid0(VALU_DEP_3) | instskip(SKIP_2) | instid1(VALU_DEP_3)
	v_cndmask_b32_e64 v37, v34, v31, s12
	v_and_b32_e32 v34, 0xff, v35
	v_cndmask_b32_e64 v38, v32, v36, s12
	v_cmp_ge_i32_e64 s13, v37, v9
	s_delay_alu instid0(VALU_DEP_3) | instskip(NEXT) | instid1(VALU_DEP_3)
	v_cmp_lt_u16_e64 s14, v34, v39
	v_cmp_lt_i32_e64 s15, v38, v10
                                        ; implicit-def: $vgpr34
	s_delay_alu instid0(VALU_DEP_2)
	s_or_b32 s13, s13, s14
	s_delay_alu instid0(VALU_DEP_1) | instid1(SALU_CYCLE_1)
	s_and_b32 s13, s15, s13
	s_delay_alu instid0(SALU_CYCLE_1) | instskip(NEXT) | instid1(SALU_CYCLE_1)
	s_xor_b32 s14, s13, -1
	s_and_saveexec_b32 s15, s14
	s_delay_alu instid0(SALU_CYCLE_1)
	s_xor_b32 s14, exec_lo, s15
	s_cbranch_execz .LBB119_48
; %bb.47:
	v_add_nc_u32_e32 v34, v7, v37
	ds_load_u8 v34, v34 offset:1
.LBB119_48:
	s_or_saveexec_b32 s14, s14
	v_mov_b32_e32 v36, v35
	s_xor_b32 exec_lo, exec_lo, s14
	s_cbranch_execz .LBB119_50
; %bb.49:
	s_waitcnt lgkmcnt(0)
	v_add_nc_u32_e32 v34, v7, v38
	ds_load_u8 v36, v34 offset:1
	v_mov_b32_e32 v34, v33
.LBB119_50:
	s_or_b32 exec_lo, exec_lo, s14
	v_add_nc_u32_e32 v40, 1, v37
	v_cndmask_b32_e64 v3, v2, v3, s7
	v_add_nc_u32_e32 v2, v7, v4
	v_add_nc_u32_e32 v39, 1, v38
	v_cndmask_b32_e64 v33, v33, v35, s13
	v_cndmask_b32_e64 v35, v37, v38, s13
	;; [unrolled: 1-line block ×5, first 2 shown]
	s_waitcnt lgkmcnt(0)
	v_and_b32_e32 v23, 0xff, v34
	v_and_b32_e32 v24, 0xff, v36
	; wave barrier
	ds_store_b64 v2, v[0:1]
	v_and_b32_e32 v0, 0x60, v8
	v_cndmask_b32_e64 v38, v38, v39, s13
	v_cndmask_b32_e64 v17, v17, v18, s9
	;; [unrolled: 1-line block ×3, first 2 shown]
	v_cmp_ge_i32_e64 s9, v37, v9
	v_cmp_lt_u16_e64 s10, v24, v23
	v_cndmask_b32_e64 v9, v15, v16, s8
	v_min_i32_e32 v16, v6, v0
	v_cndmask_b32_e64 v13, v14, v13, s8
	v_cmp_lt_i32_e64 s8, v38, v10
	v_cndmask_b32_e64 v10, v11, v12, s7
	s_or_b32 s7, s9, s10
	v_add_nc_u32_e32 v0, 16, v16
	v_cndmask_b32_e64 v25, v25, v26, s11
	s_and_b32 s7, s8, s7
	v_cndmask_b32_e64 v26, v27, v28, s11
	v_cndmask_b32_e64 v29, v29, v30, s12
	;; [unrolled: 1-line block ×4, first 2 shown]
	v_add_nc_u32_e32 v1, v7, v3
	v_add_nc_u32_e32 v9, v7, v9
	v_min_i32_e32 v15, v6, v0
	v_add_nc_u32_e32 v12, v7, v18
	v_add_nc_u32_e32 v14, v7, v22
	;; [unrolled: 1-line block ×3, first 2 shown]
	; wave barrier
	v_add_nc_u32_e32 v20, v7, v30
	v_add_nc_u32_e32 v22, v7, v35
	;; [unrolled: 1-line block ×3, first 2 shown]
	v_lshlrev_b16 v24, 8, v13
	v_and_b32_e32 v26, 0xff, v10
	ds_load_u8 v3, v1
	ds_load_u8 v10, v9
	;; [unrolled: 1-line block ×8, first 2 shown]
	v_cndmask_b32_e64 v19, v34, v36, s7
	v_lshlrev_b16 v21, 8, v21
	v_and_b32_e32 v17, 0xff, v17
	v_add_nc_u32_e32 v1, 16, v15
	v_and_b32_e32 v22, 24, v8
	v_and_b32_e32 v23, 0xff, v33
	v_lshlrev_b16 v19, 8, v19
	v_or_b32_e32 v20, v17, v21
	v_lshlrev_b16 v17, 8, v29
	v_and_b32_e32 v21, 0xff, v25
	v_min_i32_e32 v1, v6, v1
	v_or_b32_e32 v18, v26, v24
	v_or_b32_e32 v19, v23, v19
	v_lshlrev_b32_e32 v20, 16, v20
	v_or_b32_e32 v21, v21, v17
	v_min_i32_e32 v17, v6, v22
	v_sub_nc_u32_e32 v22, v1, v15
	v_and_b32_e32 v18, 0xffff, v18
	v_sub_nc_u32_e32 v24, v15, v16
	v_and_b32_e32 v21, 0xffff, v21
	v_lshlrev_b32_e32 v25, 16, v19
	v_sub_nc_u32_e32 v23, v17, v22
	v_cmp_ge_i32_e64 s7, v17, v22
	v_or_b32_e32 v20, v18, v20
	v_min_i32_e32 v19, v17, v24
	v_or_b32_e32 v21, v21, v25
	s_mov_b32 s9, 0
	v_cndmask_b32_e64 v18, 0, v23, s7
	s_mov_b32 s8, exec_lo
	; wave barrier
	ds_store_b64 v2, v[20:21]
	; wave barrier
	v_cmpx_lt_i32_e64 v18, v19
	s_cbranch_execz .LBB119_54
; %bb.51:
	v_add_nc_u32_e32 v20, v7, v16
	v_add3_u32 v21, v7, v15, v17
	.p2align	6
.LBB119_52:                             ; =>This Inner Loop Header: Depth=1
	v_sub_nc_u32_e32 v22, v19, v18
	s_delay_alu instid0(VALU_DEP_1) | instskip(NEXT) | instid1(VALU_DEP_1)
	v_lshrrev_b32_e32 v23, 31, v22
	v_add_nc_u32_e32 v22, v22, v23
	s_delay_alu instid0(VALU_DEP_1) | instskip(NEXT) | instid1(VALU_DEP_1)
	v_ashrrev_i32_e32 v22, 1, v22
	v_add_nc_u32_e32 v22, v22, v18
	s_delay_alu instid0(VALU_DEP_1)
	v_add_nc_u32_e32 v23, v20, v22
	v_xad_u32 v24, v22, -1, v21
	v_add_nc_u32_e32 v25, 1, v22
	ds_load_u8 v23, v23
	ds_load_u8 v24, v24
	s_waitcnt lgkmcnt(0)
	v_cmp_lt_u16_e64 s7, v24, v23
	s_delay_alu instid0(VALU_DEP_1) | instskip(SKIP_1) | instid1(VALU_DEP_1)
	v_cndmask_b32_e64 v19, v19, v22, s7
	v_cndmask_b32_e64 v18, v25, v18, s7
	v_cmp_ge_i32_e64 s7, v18, v19
	s_delay_alu instid0(VALU_DEP_1) | instskip(NEXT) | instid1(SALU_CYCLE_1)
	s_or_b32 s9, s7, s9
	s_and_not1_b32 exec_lo, exec_lo, s9
	s_cbranch_execnz .LBB119_52
; %bb.53:
	s_or_b32 exec_lo, exec_lo, s9
.LBB119_54:
	s_delay_alu instid0(SALU_CYCLE_1) | instskip(SKIP_2) | instid1(VALU_DEP_2)
	s_or_b32 exec_lo, exec_lo, s8
	v_add_nc_u32_e32 v17, v15, v17
	v_add_nc_u32_e32 v16, v18, v16
	v_sub_nc_u32_e32 v17, v17, v18
	s_delay_alu instid0(VALU_DEP_2) | instskip(SKIP_1) | instid1(VALU_DEP_3)
	v_add_nc_u32_e32 v23, v7, v16
	v_cmp_le_i32_e64 s7, v15, v16
	v_add_nc_u32_e32 v22, v7, v17
	v_cmp_gt_i32_e64 s9, v1, v17
	ds_load_u8 v18, v23
	ds_load_u8 v19, v22
	s_waitcnt lgkmcnt(1)
	v_and_b32_e32 v20, 0xff, v18
	s_waitcnt lgkmcnt(0)
	v_and_b32_e32 v21, 0xff, v19
	s_delay_alu instid0(VALU_DEP_1) | instskip(NEXT) | instid1(VALU_DEP_1)
	v_cmp_lt_u16_e64 s8, v21, v20
                                        ; implicit-def: $vgpr20
                                        ; implicit-def: $vgpr21
	s_or_b32 s7, s7, s8
	s_delay_alu instid0(SALU_CYCLE_1) | instskip(NEXT) | instid1(SALU_CYCLE_1)
	s_and_b32 s7, s9, s7
	s_xor_b32 s8, s7, -1
	s_delay_alu instid0(SALU_CYCLE_1) | instskip(NEXT) | instid1(SALU_CYCLE_1)
	s_and_saveexec_b32 s9, s8
	s_xor_b32 s8, exec_lo, s9
	s_cbranch_execz .LBB119_56
; %bb.55:
	ds_load_u8 v21, v23 offset:1
	v_mov_b32_e32 v20, v19
                                        ; implicit-def: $vgpr22
.LBB119_56:
	s_and_not1_saveexec_b32 s8, s8
	s_cbranch_execz .LBB119_58
; %bb.57:
	ds_load_u8 v20, v22 offset:1
	s_waitcnt lgkmcnt(1)
	v_mov_b32_e32 v21, v18
.LBB119_58:
	s_or_b32 exec_lo, exec_lo, s8
	v_add_nc_u32_e32 v22, 1, v16
	v_add_nc_u32_e32 v23, 1, v17
	s_waitcnt lgkmcnt(0)
	v_and_b32_e32 v24, 0xff, v21
	v_and_b32_e32 v25, 0xff, v20
	v_cndmask_b32_e64 v22, v22, v16, s7
	v_cndmask_b32_e64 v23, v17, v23, s7
	s_delay_alu instid0(VALU_DEP_3) | instskip(NEXT) | instid1(VALU_DEP_3)
	v_cmp_lt_u16_e64 s9, v25, v24
                                        ; implicit-def: $vgpr24
	v_cmp_ge_i32_e64 s8, v22, v15
	s_delay_alu instid0(VALU_DEP_3) | instskip(NEXT) | instid1(VALU_DEP_2)
	v_cmp_lt_i32_e64 s10, v23, v1
	s_or_b32 s8, s8, s9
	s_delay_alu instid0(VALU_DEP_1) | instid1(SALU_CYCLE_1)
	s_and_b32 s8, s10, s8
	s_delay_alu instid0(SALU_CYCLE_1) | instskip(NEXT) | instid1(SALU_CYCLE_1)
	s_xor_b32 s9, s8, -1
	s_and_saveexec_b32 s10, s9
	s_delay_alu instid0(SALU_CYCLE_1)
	s_xor_b32 s9, exec_lo, s10
	s_cbranch_execz .LBB119_60
; %bb.59:
	v_add_nc_u32_e32 v24, v7, v22
	ds_load_u8 v24, v24 offset:1
.LBB119_60:
	s_or_saveexec_b32 s9, s9
	v_mov_b32_e32 v25, v20
	s_xor_b32 exec_lo, exec_lo, s9
	s_cbranch_execz .LBB119_62
; %bb.61:
	s_waitcnt lgkmcnt(0)
	v_add_nc_u32_e32 v24, v7, v23
	ds_load_u8 v25, v24 offset:1
	v_mov_b32_e32 v24, v21
.LBB119_62:
	s_or_b32 exec_lo, exec_lo, s9
	v_add_nc_u32_e32 v26, 1, v22
	v_add_nc_u32_e32 v27, 1, v23
	s_waitcnt lgkmcnt(0)
	v_and_b32_e32 v28, 0xff, v24
	v_and_b32_e32 v29, 0xff, v25
	v_cndmask_b32_e64 v26, v26, v22, s8
	v_cndmask_b32_e64 v27, v23, v27, s8
	s_delay_alu instid0(VALU_DEP_3) | instskip(NEXT) | instid1(VALU_DEP_3)
	v_cmp_lt_u16_e64 s10, v29, v28
                                        ; implicit-def: $vgpr28
	v_cmp_ge_i32_e64 s9, v26, v15
	s_delay_alu instid0(VALU_DEP_3) | instskip(NEXT) | instid1(VALU_DEP_2)
	v_cmp_lt_i32_e64 s11, v27, v1
	s_or_b32 s9, s9, s10
	s_delay_alu instid0(VALU_DEP_1) | instid1(SALU_CYCLE_1)
	s_and_b32 s9, s11, s9
	s_delay_alu instid0(SALU_CYCLE_1) | instskip(NEXT) | instid1(SALU_CYCLE_1)
	s_xor_b32 s10, s9, -1
	s_and_saveexec_b32 s11, s10
	s_delay_alu instid0(SALU_CYCLE_1)
	s_xor_b32 s10, exec_lo, s11
	s_cbranch_execz .LBB119_64
; %bb.63:
	v_add_nc_u32_e32 v28, v7, v26
	ds_load_u8 v28, v28 offset:1
.LBB119_64:
	s_or_saveexec_b32 s10, s10
	v_mov_b32_e32 v29, v25
	s_xor_b32 exec_lo, exec_lo, s10
	s_cbranch_execz .LBB119_66
; %bb.65:
	s_waitcnt lgkmcnt(0)
	v_add_nc_u32_e32 v28, v7, v27
	ds_load_u8 v29, v28 offset:1
	v_mov_b32_e32 v28, v24
.LBB119_66:
	s_or_b32 exec_lo, exec_lo, s10
	v_add_nc_u32_e32 v30, 1, v26
	v_add_nc_u32_e32 v31, 1, v27
	s_waitcnt lgkmcnt(0)
	v_and_b32_e32 v32, 0xff, v28
	v_and_b32_e32 v33, 0xff, v29
	v_cndmask_b32_e64 v30, v30, v26, s9
	v_cndmask_b32_e64 v31, v27, v31, s9
	s_delay_alu instid0(VALU_DEP_3) | instskip(NEXT) | instid1(VALU_DEP_3)
	v_cmp_lt_u16_e64 s11, v33, v32
                                        ; implicit-def: $vgpr32
	v_cmp_ge_i32_e64 s10, v30, v15
	s_delay_alu instid0(VALU_DEP_3) | instskip(NEXT) | instid1(VALU_DEP_2)
	v_cmp_lt_i32_e64 s12, v31, v1
	s_or_b32 s10, s10, s11
	s_delay_alu instid0(VALU_DEP_1) | instid1(SALU_CYCLE_1)
	s_and_b32 s10, s12, s10
	s_delay_alu instid0(SALU_CYCLE_1) | instskip(NEXT) | instid1(SALU_CYCLE_1)
	s_xor_b32 s11, s10, -1
	s_and_saveexec_b32 s12, s11
	s_delay_alu instid0(SALU_CYCLE_1)
	s_xor_b32 s11, exec_lo, s12
	s_cbranch_execz .LBB119_68
; %bb.67:
	v_add_nc_u32_e32 v32, v7, v30
	ds_load_u8 v32, v32 offset:1
.LBB119_68:
	s_or_saveexec_b32 s11, s11
	v_mov_b32_e32 v33, v29
	s_xor_b32 exec_lo, exec_lo, s11
	s_cbranch_execz .LBB119_70
; %bb.69:
	s_waitcnt lgkmcnt(0)
	v_add_nc_u32_e32 v32, v7, v31
	ds_load_u8 v33, v32 offset:1
	v_mov_b32_e32 v32, v28
.LBB119_70:
	s_or_b32 exec_lo, exec_lo, s11
	v_add_nc_u32_e32 v34, 1, v30
	v_add_nc_u32_e32 v35, 1, v31
	s_waitcnt lgkmcnt(0)
	v_and_b32_e32 v36, 0xff, v32
	v_and_b32_e32 v37, 0xff, v33
	v_cndmask_b32_e64 v34, v34, v30, s10
	v_cndmask_b32_e64 v35, v31, v35, s10
	s_delay_alu instid0(VALU_DEP_3) | instskip(NEXT) | instid1(VALU_DEP_3)
	v_cmp_lt_u16_e64 s12, v37, v36
                                        ; implicit-def: $vgpr36
	v_cmp_ge_i32_e64 s11, v34, v15
	s_delay_alu instid0(VALU_DEP_3) | instskip(NEXT) | instid1(VALU_DEP_2)
	v_cmp_lt_i32_e64 s13, v35, v1
	s_or_b32 s11, s11, s12
	s_delay_alu instid0(VALU_DEP_1) | instid1(SALU_CYCLE_1)
	s_and_b32 s11, s13, s11
	s_delay_alu instid0(SALU_CYCLE_1) | instskip(NEXT) | instid1(SALU_CYCLE_1)
	s_xor_b32 s12, s11, -1
	s_and_saveexec_b32 s13, s12
	s_delay_alu instid0(SALU_CYCLE_1)
	s_xor_b32 s12, exec_lo, s13
	s_cbranch_execz .LBB119_72
; %bb.71:
	v_add_nc_u32_e32 v36, v7, v34
	ds_load_u8 v36, v36 offset:1
.LBB119_72:
	s_or_saveexec_b32 s12, s12
	v_mov_b32_e32 v37, v33
	s_xor_b32 exec_lo, exec_lo, s12
	s_cbranch_execz .LBB119_74
; %bb.73:
	s_waitcnt lgkmcnt(0)
	v_add_nc_u32_e32 v36, v7, v35
	ds_load_u8 v37, v36 offset:1
	v_mov_b32_e32 v36, v32
.LBB119_74:
	s_or_b32 exec_lo, exec_lo, s12
	v_add_nc_u32_e32 v38, 1, v34
	v_add_nc_u32_e32 v39, 1, v35
	s_waitcnt lgkmcnt(0)
	v_and_b32_e32 v40, 0xff, v36
	v_and_b32_e32 v41, 0xff, v37
	v_cndmask_b32_e64 v38, v38, v34, s11
	v_cndmask_b32_e64 v39, v35, v39, s11
	s_delay_alu instid0(VALU_DEP_3) | instskip(NEXT) | instid1(VALU_DEP_3)
	v_cmp_lt_u16_e64 s13, v41, v40
                                        ; implicit-def: $vgpr41
	v_cmp_ge_i32_e64 s12, v38, v15
	s_delay_alu instid0(VALU_DEP_3) | instskip(NEXT) | instid1(VALU_DEP_2)
	v_cmp_lt_i32_e64 s14, v39, v1
	s_or_b32 s12, s12, s13
	s_delay_alu instid0(VALU_DEP_1) | instid1(SALU_CYCLE_1)
	s_and_b32 s12, s14, s12
	s_delay_alu instid0(SALU_CYCLE_1) | instskip(NEXT) | instid1(SALU_CYCLE_1)
	s_xor_b32 s13, s12, -1
	s_and_saveexec_b32 s14, s13
	s_delay_alu instid0(SALU_CYCLE_1)
	s_xor_b32 s13, exec_lo, s14
	s_cbranch_execz .LBB119_76
; %bb.75:
	v_add_nc_u32_e32 v40, v7, v38
	ds_load_u8 v41, v40 offset:1
.LBB119_76:
	s_or_saveexec_b32 s13, s13
	v_mov_b32_e32 v43, v37
	s_xor_b32 exec_lo, exec_lo, s13
	s_cbranch_execz .LBB119_78
; %bb.77:
	s_waitcnt lgkmcnt(0)
	v_dual_mov_b32 v41, v36 :: v_dual_add_nc_u32 v40, v7, v39
	ds_load_u8 v43, v40 offset:1
.LBB119_78:
	s_or_b32 exec_lo, exec_lo, s13
	v_add_nc_u32_e32 v40, 1, v38
	v_add_nc_u32_e32 v42, 1, v39
	s_waitcnt lgkmcnt(0)
	v_and_b32_e32 v46, 0xff, v41
	s_delay_alu instid0(VALU_DEP_3) | instskip(SKIP_2) | instid1(VALU_DEP_3)
	v_cndmask_b32_e64 v44, v40, v38, s12
	v_and_b32_e32 v40, 0xff, v43
	v_cndmask_b32_e64 v45, v39, v42, s12
	v_cmp_ge_i32_e64 s13, v44, v15
	s_delay_alu instid0(VALU_DEP_3) | instskip(NEXT) | instid1(VALU_DEP_3)
	v_cmp_lt_u16_e64 s14, v40, v46
	v_cmp_lt_i32_e64 s15, v45, v1
                                        ; implicit-def: $vgpr40
	s_delay_alu instid0(VALU_DEP_2)
	s_or_b32 s13, s13, s14
	s_delay_alu instid0(VALU_DEP_1) | instid1(SALU_CYCLE_1)
	s_and_b32 s13, s15, s13
	s_delay_alu instid0(SALU_CYCLE_1) | instskip(NEXT) | instid1(SALU_CYCLE_1)
	s_xor_b32 s14, s13, -1
	s_and_saveexec_b32 s15, s14
	s_delay_alu instid0(SALU_CYCLE_1)
	s_xor_b32 s14, exec_lo, s15
	s_cbranch_execz .LBB119_80
; %bb.79:
	v_add_nc_u32_e32 v40, v7, v44
	ds_load_u8 v40, v40 offset:1
.LBB119_80:
	s_or_saveexec_b32 s14, s14
	v_mov_b32_e32 v42, v43
	s_xor_b32 exec_lo, exec_lo, s14
	s_cbranch_execz .LBB119_82
; %bb.81:
	s_waitcnt lgkmcnt(0)
	v_add_nc_u32_e32 v40, v7, v45
	ds_load_u8 v42, v40 offset:1
	v_mov_b32_e32 v40, v41
.LBB119_82:
	s_or_b32 exec_lo, exec_lo, s14
	v_lshlrev_b16 v14, 8, v14
	v_and_b32_e32 v12, 0xff, v12
	v_lshlrev_b16 v13, 8, v13
	v_and_b32_e32 v11, 0xff, v11
	;; [unrolled: 2-line block ×4, first 2 shown]
	v_add_nc_u32_e32 v46, 1, v45
	v_or_b32_e32 v12, v12, v14
	v_or_b32_e32 v11, v11, v13
	v_or_b32_e32 v3, v3, v10
	v_or_b32_e32 v0, v0, v9
	v_add_nc_u32_e32 v47, 1, v44
	v_cndmask_b32_e64 v41, v41, v43, s13
	v_cndmask_b32_e64 v43, v44, v45, s13
	;; [unrolled: 1-line block ×3, first 2 shown]
	v_and_b32_e32 v9, 0xffff, v12
	v_lshlrev_b32_e32 v10, 16, v11
	v_and_b32_e32 v3, 0xffff, v3
	v_lshlrev_b32_e32 v0, 16, v0
	v_cndmask_b32_e64 v44, v47, v44, s13
	v_cndmask_b32_e64 v28, v28, v29, s10
	;; [unrolled: 1-line block ×3, first 2 shown]
	v_cmp_lt_i32_e64 s10, v45, v1
	v_or_b32_e32 v1, v9, v10
	v_or_b32_e32 v0, v3, v0
	v_cndmask_b32_e64 v20, v21, v20, s8
	v_cndmask_b32_e64 v21, v22, v23, s8
	v_cndmask_b32_e64 v18, v18, v19, s7
	v_cmp_ge_i32_e64 s8, v44, v15
	s_waitcnt lgkmcnt(0)
	v_and_b32_e32 v15, 0xff, v40
	v_and_b32_e32 v19, 0xff, v42
	; wave barrier
	ds_store_b64 v2, v[0:1]
	v_and_b32_e32 v0, 64, v8
	v_cndmask_b32_e64 v24, v24, v25, s9
	v_cndmask_b32_e64 v25, v26, v27, s9
	v_cmp_lt_u16_e64 s9, v19, v15
	v_cndmask_b32_e64 v11, v16, v17, s7
	v_min_i32_e32 v16, v6, v0
	v_cndmask_b32_e64 v36, v36, v37, s12
	v_cndmask_b32_e64 v37, v38, v39, s12
	s_or_b32 s7, s8, s9
	v_cndmask_b32_e64 v32, v32, v33, s11
	v_add_nc_u32_e32 v0, 32, v16
	s_and_b32 s7, s10, s7
	v_cndmask_b32_e64 v33, v34, v35, s11
	v_cndmask_b32_e64 v3, v44, v45, s7
	v_add_nc_u32_e32 v1, v7, v11
	v_add_nc_u32_e32 v9, v7, v21
	v_min_i32_e32 v15, v6, v0
	v_add_nc_u32_e32 v11, v7, v25
	v_add_nc_u32_e32 v12, v7, v29
	;; [unrolled: 1-line block ×4, first 2 shown]
	; wave barrier
	v_add_nc_u32_e32 v19, v7, v43
	v_add_nc_u32_e32 v21, v7, v3
	ds_load_u8 v3, v1
	ds_load_u8 v10, v9
	;; [unrolled: 1-line block ×8, first 2 shown]
	v_cndmask_b32_e64 v17, v40, v42, s7
	v_lshlrev_b16 v20, 8, v20
	v_and_b32_e32 v18, 0xff, v18
	v_lshlrev_b16 v22, 8, v28
	v_and_b32_e32 v23, 0xff, v24
	v_add_nc_u32_e32 v1, 32, v15
	v_and_b32_e32 v21, 0xff, v32
	v_or_b32_e32 v18, v18, v20
	v_lshlrev_b16 v20, 8, v36
	v_or_b32_e32 v19, v23, v22
	v_and_b32_e32 v8, 56, v8
	v_min_i32_e32 v1, v6, v1
	v_and_b32_e32 v22, 0xff, v41
	v_lshlrev_b16 v17, 8, v17
	v_or_b32_e32 v20, v21, v20
	v_min_i32_e32 v8, v6, v8
	v_sub_nc_u32_e32 v21, v1, v15
	v_and_b32_e32 v18, 0xffff, v18
	v_or_b32_e32 v17, v22, v17
	v_lshlrev_b32_e32 v19, 16, v19
	v_and_b32_e32 v20, 0xffff, v20
	v_sub_nc_u32_e32 v22, v8, v21
	v_sub_nc_u32_e32 v23, v15, v16
	v_lshlrev_b32_e32 v24, 16, v17
	v_cmp_ge_i32_e64 s7, v8, v21
	v_or_b32_e32 v19, v18, v19
	s_mov_b32 s9, 0
	v_min_i32_e32 v18, v8, v23
	v_or_b32_e32 v20, v20, v24
	v_cndmask_b32_e64 v17, 0, v22, s7
	s_mov_b32 s8, exec_lo
	; wave barrier
	ds_store_b64 v2, v[19:20]
	; wave barrier
	v_cmpx_lt_i32_e64 v17, v18
	s_cbranch_execz .LBB119_86
; %bb.83:
	v_add_nc_u32_e32 v19, v7, v16
	v_add3_u32 v20, v7, v15, v8
	.p2align	6
.LBB119_84:                             ; =>This Inner Loop Header: Depth=1
	v_sub_nc_u32_e32 v21, v18, v17
	s_delay_alu instid0(VALU_DEP_1) | instskip(NEXT) | instid1(VALU_DEP_1)
	v_lshrrev_b32_e32 v22, 31, v21
	v_add_nc_u32_e32 v21, v21, v22
	s_delay_alu instid0(VALU_DEP_1) | instskip(NEXT) | instid1(VALU_DEP_1)
	v_ashrrev_i32_e32 v21, 1, v21
	v_add_nc_u32_e32 v21, v21, v17
	s_delay_alu instid0(VALU_DEP_1)
	v_add_nc_u32_e32 v22, v19, v21
	v_xad_u32 v23, v21, -1, v20
	v_add_nc_u32_e32 v24, 1, v21
	ds_load_u8 v22, v22
	ds_load_u8 v23, v23
	s_waitcnt lgkmcnt(0)
	v_cmp_lt_u16_e64 s7, v23, v22
	s_delay_alu instid0(VALU_DEP_1) | instskip(SKIP_1) | instid1(VALU_DEP_1)
	v_cndmask_b32_e64 v18, v18, v21, s7
	v_cndmask_b32_e64 v17, v24, v17, s7
	v_cmp_ge_i32_e64 s7, v17, v18
	s_delay_alu instid0(VALU_DEP_1) | instskip(NEXT) | instid1(SALU_CYCLE_1)
	s_or_b32 s9, s7, s9
	s_and_not1_b32 exec_lo, exec_lo, s9
	s_cbranch_execnz .LBB119_84
; %bb.85:
	s_or_b32 exec_lo, exec_lo, s9
.LBB119_86:
	s_delay_alu instid0(SALU_CYCLE_1) | instskip(SKIP_2) | instid1(VALU_DEP_2)
	s_or_b32 exec_lo, exec_lo, s8
	v_add_nc_u32_e32 v18, v15, v8
	v_add_nc_u32_e32 v8, v17, v16
	v_sub_nc_u32_e32 v16, v18, v17
	s_delay_alu instid0(VALU_DEP_2) | instskip(SKIP_1) | instid1(VALU_DEP_3)
	v_add_nc_u32_e32 v22, v7, v8
	v_cmp_le_i32_e64 s7, v15, v8
	v_add_nc_u32_e32 v21, v7, v16
	v_cmp_gt_i32_e64 s9, v1, v16
	ds_load_u8 v17, v22
	ds_load_u8 v18, v21
	s_waitcnt lgkmcnt(1)
	v_and_b32_e32 v19, 0xff, v17
	s_waitcnt lgkmcnt(0)
	v_and_b32_e32 v20, 0xff, v18
	s_delay_alu instid0(VALU_DEP_1) | instskip(NEXT) | instid1(VALU_DEP_1)
	v_cmp_lt_u16_e64 s8, v20, v19
                                        ; implicit-def: $vgpr19
                                        ; implicit-def: $vgpr20
	s_or_b32 s7, s7, s8
	s_delay_alu instid0(SALU_CYCLE_1) | instskip(NEXT) | instid1(SALU_CYCLE_1)
	s_and_b32 s7, s9, s7
	s_xor_b32 s8, s7, -1
	s_delay_alu instid0(SALU_CYCLE_1) | instskip(NEXT) | instid1(SALU_CYCLE_1)
	s_and_saveexec_b32 s9, s8
	s_xor_b32 s8, exec_lo, s9
	s_cbranch_execz .LBB119_88
; %bb.87:
	ds_load_u8 v20, v22 offset:1
	v_mov_b32_e32 v19, v18
                                        ; implicit-def: $vgpr21
.LBB119_88:
	s_and_not1_saveexec_b32 s8, s8
	s_cbranch_execz .LBB119_90
; %bb.89:
	ds_load_u8 v19, v21 offset:1
	s_waitcnt lgkmcnt(1)
	v_mov_b32_e32 v20, v17
.LBB119_90:
	s_or_b32 exec_lo, exec_lo, s8
	v_add_nc_u32_e32 v21, 1, v8
	v_add_nc_u32_e32 v22, 1, v16
	s_waitcnt lgkmcnt(0)
	v_and_b32_e32 v23, 0xff, v20
	v_and_b32_e32 v24, 0xff, v19
	v_cndmask_b32_e64 v21, v21, v8, s7
	v_cndmask_b32_e64 v22, v16, v22, s7
	s_delay_alu instid0(VALU_DEP_3) | instskip(NEXT) | instid1(VALU_DEP_3)
	v_cmp_lt_u16_e64 s9, v24, v23
                                        ; implicit-def: $vgpr23
	v_cmp_ge_i32_e64 s8, v21, v15
	s_delay_alu instid0(VALU_DEP_3) | instskip(NEXT) | instid1(VALU_DEP_2)
	v_cmp_lt_i32_e64 s10, v22, v1
	s_or_b32 s8, s8, s9
	s_delay_alu instid0(VALU_DEP_1) | instid1(SALU_CYCLE_1)
	s_and_b32 s8, s10, s8
	s_delay_alu instid0(SALU_CYCLE_1) | instskip(NEXT) | instid1(SALU_CYCLE_1)
	s_xor_b32 s9, s8, -1
	s_and_saveexec_b32 s10, s9
	s_delay_alu instid0(SALU_CYCLE_1)
	s_xor_b32 s9, exec_lo, s10
	s_cbranch_execz .LBB119_92
; %bb.91:
	v_add_nc_u32_e32 v23, v7, v21
	ds_load_u8 v23, v23 offset:1
.LBB119_92:
	s_or_saveexec_b32 s9, s9
	v_mov_b32_e32 v24, v19
	s_xor_b32 exec_lo, exec_lo, s9
	s_cbranch_execz .LBB119_94
; %bb.93:
	s_waitcnt lgkmcnt(0)
	v_add_nc_u32_e32 v23, v7, v22
	ds_load_u8 v24, v23 offset:1
	v_mov_b32_e32 v23, v20
.LBB119_94:
	s_or_b32 exec_lo, exec_lo, s9
	v_add_nc_u32_e32 v25, 1, v21
	v_add_nc_u32_e32 v26, 1, v22
	s_waitcnt lgkmcnt(0)
	v_and_b32_e32 v27, 0xff, v23
	v_and_b32_e32 v28, 0xff, v24
	v_cndmask_b32_e64 v25, v25, v21, s8
	v_cndmask_b32_e64 v26, v22, v26, s8
	s_delay_alu instid0(VALU_DEP_3) | instskip(NEXT) | instid1(VALU_DEP_3)
	v_cmp_lt_u16_e64 s10, v28, v27
                                        ; implicit-def: $vgpr27
	v_cmp_ge_i32_e64 s9, v25, v15
	s_delay_alu instid0(VALU_DEP_3) | instskip(NEXT) | instid1(VALU_DEP_2)
	v_cmp_lt_i32_e64 s11, v26, v1
	s_or_b32 s9, s9, s10
	s_delay_alu instid0(VALU_DEP_1) | instid1(SALU_CYCLE_1)
	s_and_b32 s9, s11, s9
	s_delay_alu instid0(SALU_CYCLE_1) | instskip(NEXT) | instid1(SALU_CYCLE_1)
	s_xor_b32 s10, s9, -1
	s_and_saveexec_b32 s11, s10
	s_delay_alu instid0(SALU_CYCLE_1)
	s_xor_b32 s10, exec_lo, s11
	s_cbranch_execz .LBB119_96
; %bb.95:
	v_add_nc_u32_e32 v27, v7, v25
	ds_load_u8 v27, v27 offset:1
.LBB119_96:
	s_or_saveexec_b32 s10, s10
	v_mov_b32_e32 v28, v24
	s_xor_b32 exec_lo, exec_lo, s10
	s_cbranch_execz .LBB119_98
; %bb.97:
	s_waitcnt lgkmcnt(0)
	v_add_nc_u32_e32 v27, v7, v26
	ds_load_u8 v28, v27 offset:1
	v_mov_b32_e32 v27, v23
.LBB119_98:
	s_or_b32 exec_lo, exec_lo, s10
	v_add_nc_u32_e32 v29, 1, v25
	v_add_nc_u32_e32 v30, 1, v26
	s_waitcnt lgkmcnt(0)
	v_and_b32_e32 v31, 0xff, v27
	v_and_b32_e32 v32, 0xff, v28
	v_cndmask_b32_e64 v29, v29, v25, s9
	v_cndmask_b32_e64 v30, v26, v30, s9
	s_delay_alu instid0(VALU_DEP_3) | instskip(NEXT) | instid1(VALU_DEP_3)
	v_cmp_lt_u16_e64 s11, v32, v31
                                        ; implicit-def: $vgpr31
	v_cmp_ge_i32_e64 s10, v29, v15
	s_delay_alu instid0(VALU_DEP_3) | instskip(NEXT) | instid1(VALU_DEP_2)
	v_cmp_lt_i32_e64 s12, v30, v1
	s_or_b32 s10, s10, s11
	s_delay_alu instid0(VALU_DEP_1) | instid1(SALU_CYCLE_1)
	s_and_b32 s10, s12, s10
	s_delay_alu instid0(SALU_CYCLE_1) | instskip(NEXT) | instid1(SALU_CYCLE_1)
	s_xor_b32 s11, s10, -1
	s_and_saveexec_b32 s12, s11
	s_delay_alu instid0(SALU_CYCLE_1)
	s_xor_b32 s11, exec_lo, s12
	s_cbranch_execz .LBB119_100
; %bb.99:
	v_add_nc_u32_e32 v31, v7, v29
	ds_load_u8 v31, v31 offset:1
.LBB119_100:
	s_or_saveexec_b32 s11, s11
	v_mov_b32_e32 v32, v28
	s_xor_b32 exec_lo, exec_lo, s11
	s_cbranch_execz .LBB119_102
; %bb.101:
	s_waitcnt lgkmcnt(0)
	v_add_nc_u32_e32 v31, v7, v30
	ds_load_u8 v32, v31 offset:1
	v_mov_b32_e32 v31, v27
.LBB119_102:
	s_or_b32 exec_lo, exec_lo, s11
	v_add_nc_u32_e32 v33, 1, v29
	v_add_nc_u32_e32 v34, 1, v30
	s_waitcnt lgkmcnt(0)
	v_and_b32_e32 v35, 0xff, v31
	v_and_b32_e32 v36, 0xff, v32
	v_cndmask_b32_e64 v33, v33, v29, s10
	v_cndmask_b32_e64 v34, v30, v34, s10
	s_delay_alu instid0(VALU_DEP_3) | instskip(NEXT) | instid1(VALU_DEP_3)
	v_cmp_lt_u16_e64 s12, v36, v35
                                        ; implicit-def: $vgpr35
	v_cmp_ge_i32_e64 s11, v33, v15
	s_delay_alu instid0(VALU_DEP_3) | instskip(NEXT) | instid1(VALU_DEP_2)
	v_cmp_lt_i32_e64 s13, v34, v1
	s_or_b32 s11, s11, s12
	s_delay_alu instid0(VALU_DEP_1) | instid1(SALU_CYCLE_1)
	s_and_b32 s11, s13, s11
	s_delay_alu instid0(SALU_CYCLE_1) | instskip(NEXT) | instid1(SALU_CYCLE_1)
	s_xor_b32 s12, s11, -1
	s_and_saveexec_b32 s13, s12
	s_delay_alu instid0(SALU_CYCLE_1)
	s_xor_b32 s12, exec_lo, s13
	s_cbranch_execz .LBB119_104
; %bb.103:
	v_add_nc_u32_e32 v35, v7, v33
	ds_load_u8 v35, v35 offset:1
.LBB119_104:
	s_or_saveexec_b32 s12, s12
	v_mov_b32_e32 v36, v32
	s_xor_b32 exec_lo, exec_lo, s12
	s_cbranch_execz .LBB119_106
; %bb.105:
	s_waitcnt lgkmcnt(0)
	v_add_nc_u32_e32 v35, v7, v34
	ds_load_u8 v36, v35 offset:1
	v_mov_b32_e32 v35, v31
.LBB119_106:
	s_or_b32 exec_lo, exec_lo, s12
	v_add_nc_u32_e32 v37, 1, v33
	v_add_nc_u32_e32 v38, 1, v34
	s_waitcnt lgkmcnt(0)
	v_and_b32_e32 v39, 0xff, v35
	v_and_b32_e32 v40, 0xff, v36
	v_cndmask_b32_e64 v37, v37, v33, s11
	v_cndmask_b32_e64 v38, v34, v38, s11
	s_delay_alu instid0(VALU_DEP_3) | instskip(NEXT) | instid1(VALU_DEP_3)
	v_cmp_lt_u16_e64 s13, v40, v39
                                        ; implicit-def: $vgpr40
	v_cmp_ge_i32_e64 s12, v37, v15
	s_delay_alu instid0(VALU_DEP_3) | instskip(NEXT) | instid1(VALU_DEP_2)
	v_cmp_lt_i32_e64 s14, v38, v1
	s_or_b32 s12, s12, s13
	s_delay_alu instid0(VALU_DEP_1) | instid1(SALU_CYCLE_1)
	s_and_b32 s12, s14, s12
	s_delay_alu instid0(SALU_CYCLE_1) | instskip(NEXT) | instid1(SALU_CYCLE_1)
	s_xor_b32 s13, s12, -1
	s_and_saveexec_b32 s14, s13
	s_delay_alu instid0(SALU_CYCLE_1)
	s_xor_b32 s13, exec_lo, s14
	s_cbranch_execz .LBB119_108
; %bb.107:
	v_add_nc_u32_e32 v39, v7, v37
	ds_load_u8 v40, v39 offset:1
.LBB119_108:
	s_or_saveexec_b32 s13, s13
	v_mov_b32_e32 v42, v36
	s_xor_b32 exec_lo, exec_lo, s13
	s_cbranch_execz .LBB119_110
; %bb.109:
	v_add_nc_u32_e32 v39, v7, v38
	s_waitcnt lgkmcnt(0)
	v_mov_b32_e32 v40, v35
	ds_load_u8 v42, v39 offset:1
.LBB119_110:
	s_or_b32 exec_lo, exec_lo, s13
	v_add_nc_u32_e32 v39, 1, v37
	v_add_nc_u32_e32 v41, 1, v38
	s_waitcnt lgkmcnt(0)
	v_and_b32_e32 v45, 0xff, v40
	s_delay_alu instid0(VALU_DEP_3) | instskip(SKIP_2) | instid1(VALU_DEP_3)
	v_cndmask_b32_e64 v43, v39, v37, s12
	v_and_b32_e32 v39, 0xff, v42
	v_cndmask_b32_e64 v44, v38, v41, s12
	v_cmp_ge_i32_e64 s13, v43, v15
	s_delay_alu instid0(VALU_DEP_3) | instskip(NEXT) | instid1(VALU_DEP_3)
	v_cmp_lt_u16_e64 s14, v39, v45
	v_cmp_lt_i32_e64 s15, v44, v1
                                        ; implicit-def: $vgpr39
	s_delay_alu instid0(VALU_DEP_2)
	s_or_b32 s13, s13, s14
	s_delay_alu instid0(VALU_DEP_1) | instid1(SALU_CYCLE_1)
	s_and_b32 s13, s15, s13
	s_delay_alu instid0(SALU_CYCLE_1) | instskip(NEXT) | instid1(SALU_CYCLE_1)
	s_xor_b32 s14, s13, -1
	s_and_saveexec_b32 s15, s14
	s_delay_alu instid0(SALU_CYCLE_1)
	s_xor_b32 s14, exec_lo, s15
	s_cbranch_execz .LBB119_112
; %bb.111:
	v_add_nc_u32_e32 v39, v7, v43
	ds_load_u8 v39, v39 offset:1
.LBB119_112:
	s_or_saveexec_b32 s14, s14
	v_mov_b32_e32 v41, v42
	s_xor_b32 exec_lo, exec_lo, s14
	s_cbranch_execz .LBB119_114
; %bb.113:
	s_waitcnt lgkmcnt(0)
	v_add_nc_u32_e32 v39, v7, v44
	ds_load_u8 v41, v39 offset:1
	v_mov_b32_e32 v39, v40
.LBB119_114:
	s_or_b32 exec_lo, exec_lo, s14
	v_add_nc_u32_e32 v46, 1, v43
	v_lshlrev_b16 v14, 8, v14
	v_and_b32_e32 v12, 0xff, v12
	v_lshlrev_b16 v13, 8, v13
	v_and_b32_e32 v11, 0xff, v11
	;; [unrolled: 2-line block ×4, first 2 shown]
	v_add_nc_u32_e32 v45, 1, v44
	v_cndmask_b32_e64 v40, v40, v42, s13
	v_cndmask_b32_e64 v42, v43, v44, s13
	v_cndmask_b32_e64 v43, v46, v43, s13
	v_or_b32_e32 v12, v12, v14
	v_or_b32_e32 v11, v11, v13
	;; [unrolled: 1-line block ×4, first 2 shown]
	v_cndmask_b32_e64 v44, v44, v45, s13
	v_cndmask_b32_e64 v19, v20, v19, s8
	v_cndmask_b32_e64 v20, v21, v22, s8
	v_cndmask_b32_e64 v17, v17, v18, s7
	v_cmp_ge_i32_e64 s8, v43, v15
	s_waitcnt lgkmcnt(0)
	v_and_b32_e32 v15, 0xff, v39
	v_and_b32_e32 v18, 0xff, v41
	;; [unrolled: 1-line block ×3, first 2 shown]
	v_lshlrev_b32_e32 v10, 16, v11
	v_and_b32_e32 v3, 0xffff, v3
	v_lshlrev_b32_e32 v0, 16, v0
	v_cndmask_b32_e64 v27, v27, v28, s10
	v_cndmask_b32_e64 v28, v29, v30, s10
	;; [unrolled: 1-line block ×4, first 2 shown]
	v_cmp_lt_u16_e64 s9, v18, v15
	v_cmp_lt_i32_e64 s10, v44, v1
	v_or_b32_e32 v1, v9, v10
	v_or_b32_e32 v0, v3, v0
	v_min_i32_e32 v15, 0, v6
	v_cndmask_b32_e64 v8, v8, v16, s7
	s_or_b32 s7, s8, s9
	; wave barrier
	ds_store_b64 v2, v[0:1]
	v_add_nc_u32_e32 v0, 64, v15
	s_and_b32 s7, s10, s7
	v_cndmask_b32_e64 v35, v35, v36, s12
	v_cndmask_b32_e64 v36, v37, v38, s12
	;; [unrolled: 1-line block ×5, first 2 shown]
	v_add_nc_u32_e32 v1, v7, v8
	v_add_nc_u32_e32 v9, v7, v20
	v_min_i32_e32 v0, v6, v0
	v_add_nc_u32_e32 v11, v7, v24
	v_add_nc_u32_e32 v12, v7, v28
	;; [unrolled: 1-line block ×4, first 2 shown]
	; wave barrier
	v_add_nc_u32_e32 v18, v7, v42
	v_add_nc_u32_e32 v3, v7, v3
	ds_load_u8 v8, v1
	ds_load_u8 v10, v9
	;; [unrolled: 1-line block ×8, first 2 shown]
	v_cndmask_b32_e64 v16, v39, v41, s7
	v_lshlrev_b16 v19, 8, v19
	v_and_b32_e32 v17, 0xff, v17
	v_lshlrev_b16 v3, 8, v27
	v_and_b32_e32 v18, 0xff, v23
	v_add_nc_u32_e32 v20, 64, v0
	v_and_b32_e32 v21, 0xff, v31
	v_or_b32_e32 v17, v17, v19
	v_lshlrev_b16 v19, 8, v35
	v_or_b32_e32 v18, v18, v3
	v_min_i32_e32 v3, v6, v20
	v_and_b32_e32 v20, 0xff, v40
	v_lshlrev_b16 v16, 8, v16
	v_or_b32_e32 v19, v21, v19
	v_min_i32_e32 v6, v6, v4
	v_sub_nc_u32_e32 v21, v3, v0
	v_and_b32_e32 v17, 0xffff, v17
	v_or_b32_e32 v16, v20, v16
	v_lshlrev_b32_e32 v18, 16, v18
	v_and_b32_e32 v19, 0xffff, v19
	v_sub_nc_u32_e32 v20, v6, v21
	v_sub_nc_u32_e32 v22, v0, v15
	v_lshlrev_b32_e32 v23, 16, v16
	v_cmp_ge_i32_e64 s7, v6, v21
	v_or_b32_e32 v18, v17, v18
	s_mov_b32 s9, 0
	v_min_i32_e32 v17, v6, v22
	v_or_b32_e32 v19, v19, v23
	v_cndmask_b32_e64 v16, 0, v20, s7
	s_mov_b32 s8, exec_lo
	; wave barrier
	ds_store_b64 v2, v[18:19]
	; wave barrier
	v_cmpx_lt_i32_e64 v16, v17
	s_cbranch_execz .LBB119_118
; %bb.115:
	v_add_nc_u32_e32 v18, v7, v15
	v_add3_u32 v19, v7, v0, v6
	.p2align	6
.LBB119_116:                            ; =>This Inner Loop Header: Depth=1
	v_sub_nc_u32_e32 v20, v17, v16
	s_delay_alu instid0(VALU_DEP_1) | instskip(NEXT) | instid1(VALU_DEP_1)
	v_lshrrev_b32_e32 v21, 31, v20
	v_add_nc_u32_e32 v20, v20, v21
	s_delay_alu instid0(VALU_DEP_1) | instskip(NEXT) | instid1(VALU_DEP_1)
	v_ashrrev_i32_e32 v20, 1, v20
	v_add_nc_u32_e32 v20, v20, v16
	s_delay_alu instid0(VALU_DEP_1)
	v_add_nc_u32_e32 v21, v18, v20
	v_xad_u32 v22, v20, -1, v19
	v_add_nc_u32_e32 v23, 1, v20
	ds_load_u8 v21, v21
	ds_load_u8 v22, v22
	s_waitcnt lgkmcnt(0)
	v_cmp_lt_u16_e64 s7, v22, v21
	s_delay_alu instid0(VALU_DEP_1) | instskip(SKIP_1) | instid1(VALU_DEP_1)
	v_cndmask_b32_e64 v17, v17, v20, s7
	v_cndmask_b32_e64 v16, v23, v16, s7
	v_cmp_ge_i32_e64 s7, v16, v17
	s_delay_alu instid0(VALU_DEP_1) | instskip(NEXT) | instid1(SALU_CYCLE_1)
	s_or_b32 s9, s7, s9
	s_and_not1_b32 exec_lo, exec_lo, s9
	s_cbranch_execnz .LBB119_116
; %bb.117:
	s_or_b32 exec_lo, exec_lo, s9
.LBB119_118:
	s_delay_alu instid0(SALU_CYCLE_1) | instskip(SKIP_2) | instid1(VALU_DEP_2)
	s_or_b32 exec_lo, exec_lo, s8
	v_add_nc_u32_e32 v17, v0, v6
	v_add_nc_u32_e32 v6, v16, v15
	v_sub_nc_u32_e32 v15, v17, v16
	s_delay_alu instid0(VALU_DEP_2) | instskip(SKIP_1) | instid1(VALU_DEP_3)
	v_add_nc_u32_e32 v20, v7, v6
	v_cmp_le_i32_e64 s7, v0, v6
	v_add_nc_u32_e32 v18, v7, v15
	v_cmp_gt_i32_e64 s9, v3, v15
	ds_load_u8 v16, v20
	ds_load_u8 v17, v18
	s_waitcnt lgkmcnt(1)
	v_and_b32_e32 v19, 0xff, v16
	s_waitcnt lgkmcnt(0)
	v_and_b32_e32 v21, 0xff, v17
	s_delay_alu instid0(VALU_DEP_1) | instskip(NEXT) | instid1(VALU_DEP_1)
	v_cmp_lt_u16_e64 s8, v21, v19
                                        ; implicit-def: $vgpr19
                                        ; implicit-def: $vgpr21
	s_or_b32 s7, s7, s8
	s_delay_alu instid0(SALU_CYCLE_1) | instskip(NEXT) | instid1(SALU_CYCLE_1)
	s_and_b32 s7, s9, s7
	s_xor_b32 s8, s7, -1
	s_delay_alu instid0(SALU_CYCLE_1) | instskip(NEXT) | instid1(SALU_CYCLE_1)
	s_and_saveexec_b32 s9, s8
	s_xor_b32 s8, exec_lo, s9
	s_cbranch_execz .LBB119_120
; %bb.119:
	ds_load_u8 v21, v20 offset:1
	v_mov_b32_e32 v19, v17
                                        ; implicit-def: $vgpr18
.LBB119_120:
	s_and_not1_saveexec_b32 s8, s8
	s_cbranch_execz .LBB119_122
; %bb.121:
	ds_load_u8 v19, v18 offset:1
	s_waitcnt lgkmcnt(1)
	v_mov_b32_e32 v21, v16
.LBB119_122:
	s_or_b32 exec_lo, exec_lo, s8
	v_add_nc_u32_e32 v18, 1, v6
	v_add_nc_u32_e32 v20, 1, v15
	s_waitcnt lgkmcnt(0)
	v_and_b32_e32 v24, 0xff, v21
	s_delay_alu instid0(VALU_DEP_3) | instskip(SKIP_2) | instid1(VALU_DEP_3)
	v_cndmask_b32_e64 v22, v18, v6, s7
	v_and_b32_e32 v18, 0xff, v19
	v_cndmask_b32_e64 v23, v15, v20, s7
	v_cmp_ge_i32_e64 s8, v22, v0
	s_delay_alu instid0(VALU_DEP_3) | instskip(NEXT) | instid1(VALU_DEP_3)
	v_cmp_lt_u16_e64 s9, v18, v24
	v_cmp_lt_i32_e64 s10, v23, v3
                                        ; implicit-def: $vgpr24
	s_delay_alu instid0(VALU_DEP_2)
	s_or_b32 s8, s8, s9
	s_delay_alu instid0(VALU_DEP_1) | instid1(SALU_CYCLE_1)
	s_and_b32 s9, s10, s8
	s_delay_alu instid0(SALU_CYCLE_1) | instskip(NEXT) | instid1(SALU_CYCLE_1)
	s_xor_b32 s8, s9, -1
	s_and_saveexec_b32 s10, s8
	s_delay_alu instid0(SALU_CYCLE_1)
	s_xor_b32 s8, exec_lo, s10
	s_cbranch_execz .LBB119_124
; %bb.123:
	v_add_nc_u32_e32 v18, v7, v22
	ds_load_u8 v24, v18 offset:1
.LBB119_124:
	s_or_saveexec_b32 s8, s8
	v_mov_b32_e32 v25, v19
	s_xor_b32 exec_lo, exec_lo, s8
	s_cbranch_execz .LBB119_126
; %bb.125:
	v_add_nc_u32_e32 v18, v7, v23
	s_waitcnt lgkmcnt(0)
	v_mov_b32_e32 v24, v21
	ds_load_u8 v25, v18 offset:1
.LBB119_126:
	s_or_b32 exec_lo, exec_lo, s8
	v_add_nc_u32_e32 v18, 1, v22
	v_add_nc_u32_e32 v20, 1, v23
	s_waitcnt lgkmcnt(0)
	v_and_b32_e32 v26, 0xff, v24
	v_and_b32_e32 v27, 0xff, v25
	v_cndmask_b32_e64 v18, v18, v22, s9
	v_cndmask_b32_e64 v20, v23, v20, s9
	s_delay_alu instid0(VALU_DEP_3) | instskip(NEXT) | instid1(VALU_DEP_3)
	v_cmp_lt_u16_e64 s10, v27, v26
                                        ; implicit-def: $vgpr26
	v_cmp_ge_i32_e64 s8, v18, v0
	s_delay_alu instid0(VALU_DEP_3) | instskip(NEXT) | instid1(VALU_DEP_2)
	v_cmp_lt_i32_e64 s11, v20, v3
	s_or_b32 s8, s8, s10
	s_delay_alu instid0(VALU_DEP_1) | instid1(SALU_CYCLE_1)
	s_and_b32 s8, s11, s8
	s_delay_alu instid0(SALU_CYCLE_1) | instskip(NEXT) | instid1(SALU_CYCLE_1)
	s_xor_b32 s10, s8, -1
	s_and_saveexec_b32 s11, s10
	s_delay_alu instid0(SALU_CYCLE_1)
	s_xor_b32 s10, exec_lo, s11
	s_cbranch_execz .LBB119_128
; %bb.127:
	v_add_nc_u32_e32 v26, v7, v18
	ds_load_u8 v26, v26 offset:1
.LBB119_128:
	s_or_saveexec_b32 s10, s10
	v_mov_b32_e32 v27, v25
	s_xor_b32 exec_lo, exec_lo, s10
	s_cbranch_execz .LBB119_130
; %bb.129:
	s_waitcnt lgkmcnt(0)
	v_add_nc_u32_e32 v26, v7, v20
	ds_load_u8 v27, v26 offset:1
	v_mov_b32_e32 v26, v24
.LBB119_130:
	s_or_b32 exec_lo, exec_lo, s10
	v_add_nc_u32_e32 v28, 1, v18
	v_add_nc_u32_e32 v29, 1, v20
	s_waitcnt lgkmcnt(0)
	v_and_b32_e32 v30, 0xff, v26
	v_and_b32_e32 v31, 0xff, v27
	v_cndmask_b32_e64 v28, v28, v18, s8
	v_cndmask_b32_e64 v29, v20, v29, s8
	s_delay_alu instid0(VALU_DEP_3) | instskip(NEXT) | instid1(VALU_DEP_3)
	v_cmp_lt_u16_e64 s11, v31, v30
                                        ; implicit-def: $vgpr30
	v_cmp_ge_i32_e64 s10, v28, v0
	s_delay_alu instid0(VALU_DEP_3) | instskip(NEXT) | instid1(VALU_DEP_2)
	v_cmp_lt_i32_e64 s12, v29, v3
	s_or_b32 s10, s10, s11
	s_delay_alu instid0(VALU_DEP_1) | instid1(SALU_CYCLE_1)
	s_and_b32 s10, s12, s10
	s_delay_alu instid0(SALU_CYCLE_1) | instskip(NEXT) | instid1(SALU_CYCLE_1)
	s_xor_b32 s11, s10, -1
	s_and_saveexec_b32 s12, s11
	s_delay_alu instid0(SALU_CYCLE_1)
	s_xor_b32 s11, exec_lo, s12
	s_cbranch_execz .LBB119_132
; %bb.131:
	v_add_nc_u32_e32 v30, v7, v28
	ds_load_u8 v30, v30 offset:1
.LBB119_132:
	s_or_saveexec_b32 s11, s11
	v_mov_b32_e32 v31, v27
	s_xor_b32 exec_lo, exec_lo, s11
	s_cbranch_execz .LBB119_134
; %bb.133:
	s_waitcnt lgkmcnt(0)
	v_add_nc_u32_e32 v30, v7, v29
	ds_load_u8 v31, v30 offset:1
	v_mov_b32_e32 v30, v26
.LBB119_134:
	s_or_b32 exec_lo, exec_lo, s11
	v_add_nc_u32_e32 v32, 1, v28
	v_add_nc_u32_e32 v33, 1, v29
	s_waitcnt lgkmcnt(0)
	v_and_b32_e32 v34, 0xff, v30
	v_and_b32_e32 v35, 0xff, v31
	v_cndmask_b32_e64 v32, v32, v28, s10
	v_cndmask_b32_e64 v33, v29, v33, s10
	s_delay_alu instid0(VALU_DEP_3) | instskip(NEXT) | instid1(VALU_DEP_3)
	v_cmp_lt_u16_e64 s12, v35, v34
                                        ; implicit-def: $vgpr35
	v_cmp_ge_i32_e64 s11, v32, v0
	s_delay_alu instid0(VALU_DEP_3) | instskip(NEXT) | instid1(VALU_DEP_2)
	v_cmp_lt_i32_e64 s13, v33, v3
	s_or_b32 s11, s11, s12
	s_delay_alu instid0(VALU_DEP_1) | instid1(SALU_CYCLE_1)
	s_and_b32 s11, s13, s11
	s_delay_alu instid0(SALU_CYCLE_1) | instskip(NEXT) | instid1(SALU_CYCLE_1)
	s_xor_b32 s12, s11, -1
	s_and_saveexec_b32 s13, s12
	s_delay_alu instid0(SALU_CYCLE_1)
	s_xor_b32 s12, exec_lo, s13
	s_cbranch_execz .LBB119_136
; %bb.135:
	v_add_nc_u32_e32 v34, v7, v32
	ds_load_u8 v35, v34 offset:1
.LBB119_136:
	s_or_saveexec_b32 s12, s12
	v_mov_b32_e32 v36, v31
	s_xor_b32 exec_lo, exec_lo, s12
	s_cbranch_execz .LBB119_138
; %bb.137:
	s_waitcnt lgkmcnt(0)
	v_dual_mov_b32 v35, v30 :: v_dual_add_nc_u32 v34, v7, v33
	ds_load_u8 v36, v34 offset:1
.LBB119_138:
	s_or_b32 exec_lo, exec_lo, s12
	v_add_nc_u32_e32 v34, 1, v32
	v_add_nc_u32_e32 v37, 1, v33
	s_waitcnt lgkmcnt(0)
	v_and_b32_e32 v38, 0xff, v35
                                        ; implicit-def: $vgpr43
	s_delay_alu instid0(VALU_DEP_3) | instskip(SKIP_2) | instid1(VALU_DEP_3)
	v_cndmask_b32_e64 v40, v34, v32, s11
	v_and_b32_e32 v34, 0xff, v36
	v_cndmask_b32_e64 v41, v33, v37, s11
	v_cmp_ge_i32_e64 s12, v40, v0
	s_delay_alu instid0(VALU_DEP_3) | instskip(NEXT) | instid1(VALU_DEP_3)
	v_cmp_lt_u16_e64 s13, v34, v38
	v_cmp_lt_i32_e64 s14, v41, v3
	s_delay_alu instid0(VALU_DEP_2)
	s_or_b32 s12, s12, s13
	s_delay_alu instid0(VALU_DEP_1) | instid1(SALU_CYCLE_1)
	s_and_b32 s12, s14, s12
	s_delay_alu instid0(SALU_CYCLE_1) | instskip(NEXT) | instid1(SALU_CYCLE_1)
	s_xor_b32 s13, s12, -1
	s_and_saveexec_b32 s14, s13
	s_delay_alu instid0(SALU_CYCLE_1)
	s_xor_b32 s13, exec_lo, s14
	s_cbranch_execz .LBB119_140
; %bb.139:
	v_add_nc_u32_e32 v34, v7, v40
	ds_load_u8 v43, v34 offset:1
.LBB119_140:
	s_or_saveexec_b32 s13, s13
	v_mov_b32_e32 v44, v36
	s_xor_b32 exec_lo, exec_lo, s13
	s_cbranch_execz .LBB119_142
; %bb.141:
	v_add_nc_u32_e32 v34, v7, v41
	s_waitcnt lgkmcnt(0)
	v_mov_b32_e32 v43, v35
	ds_load_u8 v44, v34 offset:1
.LBB119_142:
	s_or_b32 exec_lo, exec_lo, s13
	v_add_nc_u32_e32 v34, 1, v40
	v_add_nc_u32_e32 v37, 1, v41
	s_waitcnt lgkmcnt(0)
	v_and_b32_e32 v38, 0xff, v43
	v_and_b32_e32 v39, 0xff, v44
	v_cndmask_b32_e64 v45, v34, v40, s12
	v_cndmask_b32_e64 v34, v41, v37, s12
                                        ; implicit-def: $vgpr37
	s_delay_alu instid0(VALU_DEP_3) | instskip(NEXT) | instid1(VALU_DEP_3)
	v_cmp_lt_u16_e64 s14, v39, v38
                                        ; implicit-def: $vgpr38
	v_cmp_ge_i32_e64 s13, v45, v0
	s_delay_alu instid0(VALU_DEP_3) | instskip(NEXT) | instid1(VALU_DEP_2)
	v_cmp_lt_i32_e64 s15, v34, v3
	s_or_b32 s13, s13, s14
	s_delay_alu instid0(VALU_DEP_1) | instid1(SALU_CYCLE_1)
	s_and_b32 s13, s15, s13
	s_delay_alu instid0(SALU_CYCLE_1) | instskip(NEXT) | instid1(SALU_CYCLE_1)
	s_xor_b32 s14, s13, -1
	s_and_saveexec_b32 s15, s14
	s_delay_alu instid0(SALU_CYCLE_1)
	s_xor_b32 s14, exec_lo, s15
	s_cbranch_execz .LBB119_144
; %bb.143:
	v_add_nc_u32_e32 v37, v7, v45
	ds_load_u8 v38, v37 offset:1
	v_add_nc_u32_e32 v37, 1, v45
.LBB119_144:
	s_or_saveexec_b32 s14, s14
	v_dual_mov_b32 v39, v45 :: v_dual_mov_b32 v42, v44
	s_xor_b32 exec_lo, exec_lo, s14
	s_cbranch_execz .LBB119_146
; %bb.145:
	s_waitcnt lgkmcnt(0)
	v_dual_mov_b32 v39, v34 :: v_dual_add_nc_u32 v38, 1, v34
	s_delay_alu instid0(VALU_DEP_1)
	v_dual_mov_b32 v34, v38 :: v_dual_add_nc_u32 v37, v7, v34
	v_mov_b32_e32 v38, v43
	ds_load_u8 v42, v37 offset:1
	v_mov_b32_e32 v37, v45
.LBB119_146:
	s_or_b32 exec_lo, exec_lo, s14
	v_lshlrev_b16 v14, 8, v14
	v_and_b32_e32 v12, 0xff, v12
	v_lshlrev_b16 v13, 8, v13
	v_and_b32_e32 v11, 0xff, v11
	;; [unrolled: 2-line block ×4, first 2 shown]
	v_or_b32_e32 v12, v12, v14
	v_or_b32_e32 v11, v11, v13
	;; [unrolled: 1-line block ×3, first 2 shown]
	v_cndmask_b32_e64 v6, v6, v15, s7
	v_or_b32_e32 v1, v1, v9
	v_and_b32_e32 v10, 0xffff, v12
	v_lshlrev_b32_e32 v11, 16, v11
	v_and_b32_e32 v8, 0xffff, v8
	v_cndmask_b32_e64 v16, v16, v17, s7
	v_lshlrev_b32_e32 v12, 16, v1
	v_cndmask_b32_e64 v17, v21, v19, s9
	v_cndmask_b32_e64 v22, v22, v23, s9
	v_cmp_lt_i32_e64 s7, v34, v3
	v_cmp_ge_i32_e64 s9, v37, v0
	v_or_b32_e32 v1, v10, v11
	v_or_b32_e32 v0, v8, v12
	v_add_nc_u32_e32 v3, v7, v6
	; wave barrier
	s_waitcnt lgkmcnt(0)
	v_and_b32_e32 v9, 0xff, v38
	ds_store_b64 v2, v[0:1]
	; wave barrier
	ds_load_u8 v0, v3
	v_and_b32_e32 v13, 0xff, v42
	v_cndmask_b32_e64 v21, v26, v27, s10
	v_cndmask_b32_e64 v28, v28, v29, s10
	v_cndmask_b32_e64 v1, v18, v20, s8
	v_cndmask_b32_e64 v19, v24, v25, s8
	v_cmp_lt_u16_e64 s10, v13, v9
	v_cndmask_b32_e64 v24, v30, v31, s11
	v_cndmask_b32_e64 v30, v32, v33, s11
	;; [unrolled: 1-line block ×3, first 2 shown]
	v_add_nc_u32_e32 v6, v7, v22
	s_or_b32 s9, s9, s10
	v_add_nc_u32_e32 v1, v7, v1
	s_and_b32 s7, s7, s9
	v_add_nc_u32_e32 v8, v7, v28
	v_cndmask_b32_e64 v3, v37, v34, s7
	v_add_nc_u32_e32 v9, v7, v30
	v_add_nc_u32_e32 v10, v7, v27
	;; [unrolled: 1-line block ×3, first 2 shown]
	v_and_b32_e32 v12, 0xff, v16
	s_waitcnt lgkmcnt(0)
	v_add_nc_u16 v0, v0, v16
	v_add_nc_u32_e32 v3, v7, v3
	ds_load_u8 v6, v6
	ds_load_u8 v1, v1
	ds_load_u8 v7, v8
	ds_load_u8 v8, v9
	ds_load_u8 v9, v10
	ds_load_u8 v10, v11
	ds_load_u8 v3, v3
	v_lshlrev_b16 v11, 8, v17
	v_lshlrev_b16 v13, 8, v21
	v_and_b32_e32 v14, 0xff, v19
	v_and_b32_e32 v0, 0xff, v0
	v_cndmask_b32_e64 v25, v35, v36, s12
	v_cndmask_b32_e64 v26, v43, v44, s13
	;; [unrolled: 1-line block ×3, first 2 shown]
	v_or_b32_e32 v12, v12, v11
	v_or_b32_e32 v13, v14, v13
	;; [unrolled: 1-line block ×3, first 2 shown]
	v_lshlrev_b16 v15, 8, v25
	v_and_b32_e32 v16, 0xff, v24
	v_and_b32_e32 v11, 0xff, v26
	v_lshlrev_b16 v2, 8, v2
	v_and_b32_e32 v12, 0xffff, v12
	v_lshlrev_b32_e32 v13, 16, v13
	v_and_b32_e32 v0, 0xffff, v0
	v_or_b32_e32 v14, v16, v15
	v_or_b32_e32 v2, v11, v2
	v_add_co_u32 v5, s7, s18, v5
	v_or_b32_e32 v11, v12, v13
	v_or_b32_e32 v0, v0, v13
	v_and_b32_e32 v12, 0xffff, v14
	v_lshlrev_b32_e32 v2, 16, v2
	s_waitcnt lgkmcnt(3)
	v_add_nc_u16 v8, v14, v8
	v_cndmask_b32_e32 v0, v11, v0, vcc_lo
	s_delay_alu instid0(VALU_DEP_3) | instskip(NEXT) | instid1(VALU_DEP_2)
	v_or_b32_e32 v2, v12, v2
	v_lshrrev_b32_e32 v11, 8, v0
	s_delay_alu instid0(VALU_DEP_2) | instskip(NEXT) | instid1(VALU_DEP_2)
	v_perm_b32 v8, v8, v2, 0x3020104
	v_add_nc_u16 v6, v11, v6
	s_delay_alu instid0(VALU_DEP_2) | instskip(SKIP_1) | instid1(VALU_DEP_3)
	v_cndmask_b32_e64 v2, v2, v8, s3
	v_and_b32_e32 v8, 0xff, v0
	v_lshlrev_b16 v6, 8, v6
	s_delay_alu instid0(VALU_DEP_3) | instskip(NEXT) | instid1(VALU_DEP_2)
	v_lshrrev_b32_e32 v11, 8, v2
	v_or_b32_e32 v6, v8, v6
	s_waitcnt lgkmcnt(2)
	s_delay_alu instid0(VALU_DEP_2) | instskip(SKIP_1) | instid1(VALU_DEP_3)
	v_add_nc_u16 v8, v11, v9
	v_and_b32_e32 v9, 0xff, v2
	v_and_b32_e32 v6, 0xffff, v6
	s_delay_alu instid0(VALU_DEP_3) | instskip(NEXT) | instid1(VALU_DEP_2)
	v_lshlrev_b16 v8, 8, v8
	v_and_or_b32 v6, 0xffff0000, v0, v6
	s_delay_alu instid0(VALU_DEP_2) | instskip(NEXT) | instid1(VALU_DEP_2)
	v_or_b32_e32 v8, v9, v8
	v_cndmask_b32_e64 v0, v0, v6, s0
	s_delay_alu instid0(VALU_DEP_2) | instskip(NEXT) | instid1(VALU_DEP_2)
	v_and_b32_e32 v6, 0xffff, v8
	v_lshrrev_b32_e32 v8, 16, v0
	s_delay_alu instid0(VALU_DEP_2) | instskip(NEXT) | instid1(VALU_DEP_2)
	v_and_or_b32 v6, 0xffff0000, v2, v6
	v_add_nc_u16 v1, v8, v1
	s_delay_alu instid0(VALU_DEP_2) | instskip(SKIP_1) | instid1(VALU_DEP_3)
	v_cndmask_b32_e64 v2, v2, v6, s4
	v_and_b32_e32 v6, 0xffffff00, v8
	v_and_b32_e32 v1, 0xff, v1
	s_delay_alu instid0(VALU_DEP_3) | instskip(NEXT) | instid1(VALU_DEP_2)
	v_lshrrev_b32_e32 v8, 16, v2
	v_or_b32_e32 v1, v1, v6
	s_waitcnt lgkmcnt(1)
	s_delay_alu instid0(VALU_DEP_2) | instskip(NEXT) | instid1(VALU_DEP_2)
	v_add_nc_u16 v6, v8, v10
	v_lshlrev_b32_e32 v1, 16, v1
	s_delay_alu instid0(VALU_DEP_2) | instskip(NEXT) | instid1(VALU_DEP_2)
	v_perm_b32 v6, v2, v6, 0x7000504
	v_and_or_b32 v1, 0xffff, v0, v1
	s_delay_alu instid0(VALU_DEP_2) | instskip(NEXT) | instid1(VALU_DEP_2)
	v_cndmask_b32_e64 v2, v2, v6, s5
	v_cndmask_b32_e64 v0, v0, v1, s1
	s_delay_alu instid0(VALU_DEP_2) | instskip(SKIP_1) | instid1(VALU_DEP_3)
	v_lshrrev_b32_e32 v1, 24, v2
	v_lshrrev_b32_e32 v8, 16, v2
	;; [unrolled: 1-line block ×3, first 2 shown]
	s_waitcnt lgkmcnt(0)
	s_delay_alu instid0(VALU_DEP_3) | instskip(SKIP_1) | instid1(VALU_DEP_3)
	v_add_nc_u16 v1, v1, v3
	v_lshrrev_b32_e32 v3, 16, v0
	v_add_nc_u16 v6, v6, v7
	v_and_b32_e32 v7, 0xff, v8
	s_delay_alu instid0(VALU_DEP_4) | instskip(NEXT) | instid1(VALU_DEP_4)
	v_lshlrev_b16 v1, 8, v1
	v_and_b32_e32 v3, 0xff, v3
	s_delay_alu instid0(VALU_DEP_4) | instskip(NEXT) | instid1(VALU_DEP_3)
	v_lshlrev_b16 v6, 8, v6
	v_or_b32_e32 v1, v7, v1
	s_delay_alu instid0(VALU_DEP_2) | instskip(SKIP_1) | instid1(VALU_DEP_3)
	v_or_b32_e32 v3, v3, v6
	v_add_co_ci_u32_e64 v6, null, s19, 0, s7
	v_lshlrev_b32_e32 v1, 16, v1
	s_delay_alu instid0(VALU_DEP_3) | instskip(NEXT) | instid1(VALU_DEP_2)
	v_lshlrev_b32_e32 v3, 16, v3
	v_and_or_b32 v1, 0xffff, v2, v1
	s_delay_alu instid0(VALU_DEP_2) | instskip(NEXT) | instid1(VALU_DEP_2)
	v_and_or_b32 v3, 0xffff, v0, v3
	v_cndmask_b32_e64 v2, v2, v1, s6
	s_delay_alu instid0(VALU_DEP_2) | instskip(SKIP_1) | instid1(VALU_DEP_1)
	v_cndmask_b32_e64 v3, v0, v3, s2
	v_add_co_u32 v0, s7, v5, v4
	v_add_co_ci_u32_e64 v1, s7, 0, v6, s7
	s_and_saveexec_b32 s7, vcc_lo
	s_cbranch_execnz .LBB119_155
; %bb.147:
	s_or_b32 exec_lo, exec_lo, s7
	s_and_saveexec_b32 s7, s0
	s_cbranch_execnz .LBB119_156
.LBB119_148:
	s_or_b32 exec_lo, exec_lo, s7
	s_and_saveexec_b32 s0, s1
	s_cbranch_execnz .LBB119_157
.LBB119_149:
	s_or_b32 exec_lo, exec_lo, s0
	s_and_saveexec_b32 s0, s2
	s_cbranch_execnz .LBB119_158
.LBB119_150:
	s_or_b32 exec_lo, exec_lo, s0
	s_and_saveexec_b32 s0, s3
	s_cbranch_execnz .LBB119_159
.LBB119_151:
	s_or_b32 exec_lo, exec_lo, s0
	s_and_saveexec_b32 s0, s4
	s_cbranch_execnz .LBB119_160
.LBB119_152:
	s_or_b32 exec_lo, exec_lo, s0
	s_and_saveexec_b32 s0, s5
	s_cbranch_execnz .LBB119_161
.LBB119_153:
	s_or_b32 exec_lo, exec_lo, s0
	s_and_saveexec_b32 s0, s6
	s_cbranch_execnz .LBB119_162
.LBB119_154:
	s_nop 0
	s_sendmsg sendmsg(MSG_DEALLOC_VGPRS)
	s_endpgm
.LBB119_155:
	global_store_b8 v[0:1], v3, off
	s_or_b32 exec_lo, exec_lo, s7
	s_and_saveexec_b32 s7, s0
	s_cbranch_execz .LBB119_148
.LBB119_156:
	v_lshrrev_b32_e32 v4, 8, v3
	global_store_b8 v[0:1], v4, off offset:1
	s_or_b32 exec_lo, exec_lo, s7
	s_and_saveexec_b32 s0, s1
	s_cbranch_execz .LBB119_149
.LBB119_157:
	global_store_d16_hi_b8 v[0:1], v3, off offset:2
	s_or_b32 exec_lo, exec_lo, s0
	s_and_saveexec_b32 s0, s2
	s_cbranch_execz .LBB119_150
.LBB119_158:
	v_lshrrev_b32_e32 v3, 24, v3
	global_store_b8 v[0:1], v3, off offset:3
	s_or_b32 exec_lo, exec_lo, s0
	s_and_saveexec_b32 s0, s3
	s_cbranch_execz .LBB119_151
.LBB119_159:
	global_store_b8 v[0:1], v2, off offset:4
	s_or_b32 exec_lo, exec_lo, s0
	s_and_saveexec_b32 s0, s4
	s_cbranch_execz .LBB119_152
.LBB119_160:
	v_lshrrev_b32_e32 v3, 8, v2
	global_store_b8 v[0:1], v3, off offset:5
	s_or_b32 exec_lo, exec_lo, s0
	s_and_saveexec_b32 s0, s5
	s_cbranch_execz .LBB119_153
.LBB119_161:
	global_store_d16_hi_b8 v[0:1], v2, off offset:6
	s_or_b32 exec_lo, exec_lo, s0
	s_and_saveexec_b32 s0, s6
	s_cbranch_execz .LBB119_154
.LBB119_162:
	v_lshrrev_b32_e32 v2, 24, v2
	global_store_b8 v[0:1], v2, off offset:7
	s_nop 0
	s_sendmsg sendmsg(MSG_DEALLOC_VGPRS)
	s_endpgm
	.section	.rodata,"a",@progbits
	.p2align	6, 0x0
	.amdhsa_kernel _Z20sort_pairs_segmentedILj256ELj16ELj8EhN10test_utils4lessEEvPKT2_PS2_PKjT3_
		.amdhsa_group_segment_fixed_size 2064
		.amdhsa_private_segment_fixed_size 0
		.amdhsa_kernarg_size 28
		.amdhsa_user_sgpr_count 15
		.amdhsa_user_sgpr_dispatch_ptr 0
		.amdhsa_user_sgpr_queue_ptr 0
		.amdhsa_user_sgpr_kernarg_segment_ptr 1
		.amdhsa_user_sgpr_dispatch_id 0
		.amdhsa_user_sgpr_private_segment_size 0
		.amdhsa_wavefront_size32 1
		.amdhsa_uses_dynamic_stack 0
		.amdhsa_enable_private_segment 0
		.amdhsa_system_sgpr_workgroup_id_x 1
		.amdhsa_system_sgpr_workgroup_id_y 0
		.amdhsa_system_sgpr_workgroup_id_z 0
		.amdhsa_system_sgpr_workgroup_info 0
		.amdhsa_system_vgpr_workitem_id 0
		.amdhsa_next_free_vgpr 48
		.amdhsa_next_free_sgpr 20
		.amdhsa_reserve_vcc 1
		.amdhsa_float_round_mode_32 0
		.amdhsa_float_round_mode_16_64 0
		.amdhsa_float_denorm_mode_32 3
		.amdhsa_float_denorm_mode_16_64 3
		.amdhsa_dx10_clamp 1
		.amdhsa_ieee_mode 1
		.amdhsa_fp16_overflow 0
		.amdhsa_workgroup_processor_mode 1
		.amdhsa_memory_ordered 1
		.amdhsa_forward_progress 0
		.amdhsa_shared_vgpr_count 0
		.amdhsa_exception_fp_ieee_invalid_op 0
		.amdhsa_exception_fp_denorm_src 0
		.amdhsa_exception_fp_ieee_div_zero 0
		.amdhsa_exception_fp_ieee_overflow 0
		.amdhsa_exception_fp_ieee_underflow 0
		.amdhsa_exception_fp_ieee_inexact 0
		.amdhsa_exception_int_div_zero 0
	.end_amdhsa_kernel
	.section	.text._Z20sort_pairs_segmentedILj256ELj16ELj8EhN10test_utils4lessEEvPKT2_PS2_PKjT3_,"axG",@progbits,_Z20sort_pairs_segmentedILj256ELj16ELj8EhN10test_utils4lessEEvPKT2_PS2_PKjT3_,comdat
.Lfunc_end119:
	.size	_Z20sort_pairs_segmentedILj256ELj16ELj8EhN10test_utils4lessEEvPKT2_PS2_PKjT3_, .Lfunc_end119-_Z20sort_pairs_segmentedILj256ELj16ELj8EhN10test_utils4lessEEvPKT2_PS2_PKjT3_
                                        ; -- End function
	.section	.AMDGPU.csdata,"",@progbits
; Kernel info:
; codeLenInByte = 12484
; NumSgprs: 22
; NumVgprs: 48
; ScratchSize: 0
; MemoryBound: 0
; FloatMode: 240
; IeeeMode: 1
; LDSByteSize: 2064 bytes/workgroup (compile time only)
; SGPRBlocks: 2
; VGPRBlocks: 5
; NumSGPRsForWavesPerEU: 22
; NumVGPRsForWavesPerEU: 48
; Occupancy: 16
; WaveLimiterHint : 0
; COMPUTE_PGM_RSRC2:SCRATCH_EN: 0
; COMPUTE_PGM_RSRC2:USER_SGPR: 15
; COMPUTE_PGM_RSRC2:TRAP_HANDLER: 0
; COMPUTE_PGM_RSRC2:TGID_X_EN: 1
; COMPUTE_PGM_RSRC2:TGID_Y_EN: 0
; COMPUTE_PGM_RSRC2:TGID_Z_EN: 0
; COMPUTE_PGM_RSRC2:TIDIG_COMP_CNT: 0
	.section	.text._Z9sort_keysILj256ELj32ELj1EhN10test_utils4lessEEvPKT2_PS2_T3_,"axG",@progbits,_Z9sort_keysILj256ELj32ELj1EhN10test_utils4lessEEvPKT2_PS2_T3_,comdat
	.protected	_Z9sort_keysILj256ELj32ELj1EhN10test_utils4lessEEvPKT2_PS2_T3_ ; -- Begin function _Z9sort_keysILj256ELj32ELj1EhN10test_utils4lessEEvPKT2_PS2_T3_
	.globl	_Z9sort_keysILj256ELj32ELj1EhN10test_utils4lessEEvPKT2_PS2_T3_
	.p2align	8
	.type	_Z9sort_keysILj256ELj32ELj1EhN10test_utils4lessEEvPKT2_PS2_T3_,@function
_Z9sort_keysILj256ELj32ELj1EhN10test_utils4lessEEvPKT2_PS2_T3_: ; @_Z9sort_keysILj256ELj32ELj1EhN10test_utils4lessEEvPKT2_PS2_T3_
; %bb.0:
	s_load_b128 s[4:7], s[0:1], 0x0
	s_lshl_b32 s3, s15, 8
	v_mbcnt_lo_u32_b32 v1, -1, 0
	v_lshrrev_b32_e32 v9, 5, v0
	s_delay_alu instid0(VALU_DEP_2) | instskip(NEXT) | instid1(VALU_DEP_2)
	v_and_b32_e32 v4, 1, v1
	v_mad_u32_u24 v10, v9, 33, v1
	s_delay_alu instid0(VALU_DEP_2) | instskip(SKIP_1) | instid1(VALU_DEP_2)
	v_add_nc_u32_e32 v2, -1, v4
	v_cmp_lt_i32_e32 vcc_lo, 0, v4
	v_dual_cndmask_b32 v6, 0, v2 :: v_dual_and_b32 v3, 30, v1
	s_delay_alu instid0(VALU_DEP_1)
	v_or_b32_e32 v5, 1, v3
	s_waitcnt lgkmcnt(0)
	s_add_u32 s0, s4, s3
	s_addc_u32 s1, s5, 0
	v_mul_u32_u24_e32 v2, 33, v9
	global_load_u8 v8, v0, s[0:1]
	v_sub_nc_u32_e32 v7, v5, v3
	s_mov_b32 s0, 0
	s_mov_b32 s1, exec_lo
	; wave barrier
	s_delay_alu instid0(VALU_DEP_1)
	v_min_i32_e32 v7, v4, v7
	s_waitcnt vmcnt(0)
	ds_store_b8 v10, v8
	; wave barrier
	v_cmpx_lt_i32_e64 v6, v7
	s_cbranch_execz .LBB120_4
; %bb.1:
	v_add_nc_u32_e32 v8, v2, v3
	v_add3_u32 v9, v2, v5, v4
	.p2align	6
.LBB120_2:                              ; =>This Inner Loop Header: Depth=1
	v_sub_nc_u32_e32 v10, v7, v6
	s_delay_alu instid0(VALU_DEP_1) | instskip(NEXT) | instid1(VALU_DEP_1)
	v_lshrrev_b32_e32 v11, 31, v10
	v_add_nc_u32_e32 v10, v10, v11
	s_delay_alu instid0(VALU_DEP_1) | instskip(NEXT) | instid1(VALU_DEP_1)
	v_ashrrev_i32_e32 v10, 1, v10
	v_add_nc_u32_e32 v10, v10, v6
	s_delay_alu instid0(VALU_DEP_1)
	v_add_nc_u32_e32 v11, v8, v10
	v_xad_u32 v12, v10, -1, v9
	v_add_nc_u32_e32 v13, 1, v10
	ds_load_u8 v11, v11
	ds_load_u8 v12, v12
	s_waitcnt lgkmcnt(0)
	v_cmp_lt_u16_e32 vcc_lo, v12, v11
	v_cndmask_b32_e32 v7, v7, v10, vcc_lo
	v_cndmask_b32_e32 v6, v13, v6, vcc_lo
	s_delay_alu instid0(VALU_DEP_1) | instskip(SKIP_1) | instid1(SALU_CYCLE_1)
	v_cmp_ge_i32_e32 vcc_lo, v6, v7
	s_or_b32 s0, vcc_lo, s0
	s_and_not1_b32 exec_lo, exec_lo, s0
	s_cbranch_execnz .LBB120_2
; %bb.3:
	s_or_b32 exec_lo, exec_lo, s0
.LBB120_4:
	s_delay_alu instid0(SALU_CYCLE_1) | instskip(SKIP_3) | instid1(VALU_DEP_3)
	s_or_b32 exec_lo, exec_lo, s1
	v_add_nc_u32_e32 v4, v5, v4
	v_add_nc_u32_e32 v3, v6, v3
	v_and_b32_e32 v8, 3, v1
	v_sub_nc_u32_e32 v9, v4, v6
	s_delay_alu instid0(VALU_DEP_3) | instskip(SKIP_2) | instid1(VALU_DEP_4)
	v_add_nc_u32_e32 v4, v2, v3
	v_cmp_le_i32_e32 vcc_lo, v5, v3
	v_add_nc_u32_e32 v3, v2, v1
	v_add_nc_u32_e32 v6, v2, v9
	v_cmp_ge_i32_e64 s1, v5, v9
	ds_load_u8 v10, v4
	ds_load_u8 v11, v6
	v_and_b32_e32 v7, 28, v1
	; wave barrier
	s_delay_alu instid0(VALU_DEP_1) | instskip(SKIP_1) | instid1(VALU_DEP_1)
	v_or_b32_e32 v6, 2, v7
	v_add_nc_u32_e32 v4, 4, v7
	v_sub_nc_u32_e32 v14, v4, v6
	s_waitcnt lgkmcnt(1)
	v_and_b32_e32 v12, 0xff, v10
	s_waitcnt lgkmcnt(0)
	v_and_b32_e32 v13, 0xff, v11
	s_delay_alu instid0(VALU_DEP_1) | instskip(SKIP_1) | instid1(VALU_DEP_2)
	v_cmp_lt_u16_e64 s0, v13, v12
	v_sub_nc_u32_e32 v12, v8, v14
	s_or_b32 s0, vcc_lo, s0
	v_cmp_ge_i32_e32 vcc_lo, v8, v14
	s_delay_alu instid0(VALU_DEP_2)
	v_cndmask_b32_e32 v5, 0, v12, vcc_lo
	s_and_b32 vcc_lo, s1, s0
	s_mov_b32 s0, 0
	v_cndmask_b32_e32 v10, v10, v11, vcc_lo
	v_sub_nc_u32_e32 v15, v6, v7
	s_mov_b32 s1, exec_lo
	ds_store_b8 v3, v10
	v_min_i32_e32 v9, v8, v15
	; wave barrier
	s_delay_alu instid0(VALU_DEP_1)
	v_cmpx_lt_i32_e64 v5, v9
	s_cbranch_execz .LBB120_8
; %bb.5:
	v_add_nc_u32_e32 v10, v2, v7
	v_add3_u32 v11, v2, v6, v8
	.p2align	6
.LBB120_6:                              ; =>This Inner Loop Header: Depth=1
	v_sub_nc_u32_e32 v12, v9, v5
	s_delay_alu instid0(VALU_DEP_1) | instskip(NEXT) | instid1(VALU_DEP_1)
	v_lshrrev_b32_e32 v13, 31, v12
	v_add_nc_u32_e32 v12, v12, v13
	s_delay_alu instid0(VALU_DEP_1) | instskip(NEXT) | instid1(VALU_DEP_1)
	v_ashrrev_i32_e32 v12, 1, v12
	v_add_nc_u32_e32 v12, v12, v5
	s_delay_alu instid0(VALU_DEP_1)
	v_add_nc_u32_e32 v13, v10, v12
	v_xad_u32 v14, v12, -1, v11
	v_add_nc_u32_e32 v15, 1, v12
	ds_load_u8 v13, v13
	ds_load_u8 v14, v14
	s_waitcnt lgkmcnt(0)
	v_cmp_lt_u16_e32 vcc_lo, v14, v13
	v_cndmask_b32_e32 v9, v9, v12, vcc_lo
	v_cndmask_b32_e32 v5, v15, v5, vcc_lo
	s_delay_alu instid0(VALU_DEP_1) | instskip(SKIP_1) | instid1(SALU_CYCLE_1)
	v_cmp_ge_i32_e32 vcc_lo, v5, v9
	s_or_b32 s0, vcc_lo, s0
	s_and_not1_b32 exec_lo, exec_lo, s0
	s_cbranch_execnz .LBB120_6
; %bb.7:
	s_or_b32 exec_lo, exec_lo, s0
.LBB120_8:
	s_delay_alu instid0(SALU_CYCLE_1) | instskip(SKIP_3) | instid1(VALU_DEP_3)
	s_or_b32 exec_lo, exec_lo, s1
	v_add_nc_u32_e32 v8, v6, v8
	v_add_nc_u32_e32 v10, v5, v7
	v_and_b32_e32 v9, 7, v1
	v_sub_nc_u32_e32 v11, v8, v5
	s_delay_alu instid0(VALU_DEP_3) | instskip(SKIP_2) | instid1(VALU_DEP_4)
	v_add_nc_u32_e32 v5, v2, v10
	v_and_b32_e32 v8, 24, v1
	v_cmp_le_i32_e32 vcc_lo, v6, v10
	v_add_nc_u32_e32 v7, v2, v11
	v_cmp_gt_i32_e64 s1, v4, v11
	ds_load_u8 v12, v5
	ds_load_u8 v13, v7
	v_or_b32_e32 v7, 4, v8
	v_add_nc_u32_e32 v5, 8, v8
	; wave barrier
	s_delay_alu instid0(VALU_DEP_2) | instskip(NEXT) | instid1(VALU_DEP_2)
	v_sub_nc_u32_e32 v6, v7, v8
	v_sub_nc_u32_e32 v16, v5, v7
	s_delay_alu instid0(VALU_DEP_2) | instskip(NEXT) | instid1(VALU_DEP_2)
	v_min_i32_e32 v6, v9, v6
	v_sub_nc_u32_e32 v10, v9, v16
	s_waitcnt lgkmcnt(1)
	v_and_b32_e32 v14, 0xff, v12
	s_waitcnt lgkmcnt(0)
	v_and_b32_e32 v15, 0xff, v13
	s_delay_alu instid0(VALU_DEP_1) | instskip(NEXT) | instid1(VALU_DEP_1)
	v_cmp_lt_u16_e64 s0, v15, v14
	s_or_b32 s0, vcc_lo, s0
	v_cmp_ge_i32_e32 vcc_lo, v9, v16
	v_cndmask_b32_e32 v4, 0, v10, vcc_lo
	s_and_b32 vcc_lo, s1, s0
	s_mov_b32 s0, 0
	v_cndmask_b32_e32 v10, v12, v13, vcc_lo
	s_mov_b32 s1, exec_lo
	ds_store_b8 v3, v10
	; wave barrier
	v_cmpx_lt_i32_e64 v4, v6
	s_cbranch_execz .LBB120_12
; %bb.9:
	v_add_nc_u32_e32 v10, v2, v8
	v_add3_u32 v11, v2, v7, v9
	.p2align	6
.LBB120_10:                             ; =>This Inner Loop Header: Depth=1
	v_sub_nc_u32_e32 v12, v6, v4
	s_delay_alu instid0(VALU_DEP_1) | instskip(NEXT) | instid1(VALU_DEP_1)
	v_lshrrev_b32_e32 v13, 31, v12
	v_add_nc_u32_e32 v12, v12, v13
	s_delay_alu instid0(VALU_DEP_1) | instskip(NEXT) | instid1(VALU_DEP_1)
	v_ashrrev_i32_e32 v12, 1, v12
	v_add_nc_u32_e32 v12, v12, v4
	s_delay_alu instid0(VALU_DEP_1)
	v_add_nc_u32_e32 v13, v10, v12
	v_xad_u32 v14, v12, -1, v11
	v_add_nc_u32_e32 v15, 1, v12
	ds_load_u8 v13, v13
	ds_load_u8 v14, v14
	s_waitcnt lgkmcnt(0)
	v_cmp_lt_u16_e32 vcc_lo, v14, v13
	v_cndmask_b32_e32 v6, v6, v12, vcc_lo
	v_cndmask_b32_e32 v4, v15, v4, vcc_lo
	s_delay_alu instid0(VALU_DEP_1) | instskip(SKIP_1) | instid1(SALU_CYCLE_1)
	v_cmp_ge_i32_e32 vcc_lo, v4, v6
	s_or_b32 s0, vcc_lo, s0
	s_and_not1_b32 exec_lo, exec_lo, s0
	s_cbranch_execnz .LBB120_10
; %bb.11:
	s_or_b32 exec_lo, exec_lo, s0
.LBB120_12:
	s_delay_alu instid0(SALU_CYCLE_1) | instskip(SKIP_4) | instid1(VALU_DEP_4)
	s_or_b32 exec_lo, exec_lo, s1
	v_add_nc_u32_e32 v6, v7, v9
	v_add_nc_u32_e32 v10, v4, v8
	v_and_b32_e32 v8, 16, v1
	v_and_b32_e32 v9, 15, v1
	v_sub_nc_u32_e32 v11, v6, v4
	s_delay_alu instid0(VALU_DEP_4) | instskip(SKIP_1) | instid1(VALU_DEP_3)
	v_add_nc_u32_e32 v4, v2, v10
	v_cmp_le_i32_e32 vcc_lo, v7, v10
	v_add_nc_u32_e32 v6, v2, v11
	v_cmp_gt_i32_e64 s1, v5, v11
	ds_load_u8 v12, v4
	ds_load_u8 v13, v6
	v_or_b32_e32 v6, 8, v8
	v_add_nc_u32_e32 v4, 16, v8
	; wave barrier
	s_delay_alu instid0(VALU_DEP_2) | instskip(NEXT) | instid1(VALU_DEP_2)
	v_sub_nc_u32_e32 v7, v6, v8
	v_sub_nc_u32_e32 v16, v4, v6
	s_delay_alu instid0(VALU_DEP_2) | instskip(NEXT) | instid1(VALU_DEP_2)
	v_min_i32_e32 v7, v9, v7
	v_sub_nc_u32_e32 v10, v9, v16
	s_waitcnt lgkmcnt(1)
	v_and_b32_e32 v14, 0xff, v12
	s_waitcnt lgkmcnt(0)
	v_and_b32_e32 v15, 0xff, v13
	s_delay_alu instid0(VALU_DEP_1) | instskip(NEXT) | instid1(VALU_DEP_1)
	v_cmp_lt_u16_e64 s0, v15, v14
	s_or_b32 s0, vcc_lo, s0
	v_cmp_ge_i32_e32 vcc_lo, v9, v16
	v_cndmask_b32_e32 v5, 0, v10, vcc_lo
	s_and_b32 vcc_lo, s1, s0
	s_mov_b32 s0, 0
	v_cndmask_b32_e32 v10, v12, v13, vcc_lo
	s_mov_b32 s1, exec_lo
	ds_store_b8 v3, v10
	; wave barrier
	v_cmpx_lt_i32_e64 v5, v7
	s_cbranch_execz .LBB120_16
; %bb.13:
	v_add_nc_u32_e32 v10, v2, v8
	v_add3_u32 v11, v2, v6, v9
	.p2align	6
.LBB120_14:                             ; =>This Inner Loop Header: Depth=1
	v_sub_nc_u32_e32 v12, v7, v5
	s_delay_alu instid0(VALU_DEP_1) | instskip(NEXT) | instid1(VALU_DEP_1)
	v_lshrrev_b32_e32 v13, 31, v12
	v_add_nc_u32_e32 v12, v12, v13
	s_delay_alu instid0(VALU_DEP_1) | instskip(NEXT) | instid1(VALU_DEP_1)
	v_ashrrev_i32_e32 v12, 1, v12
	v_add_nc_u32_e32 v12, v12, v5
	s_delay_alu instid0(VALU_DEP_1)
	v_add_nc_u32_e32 v13, v10, v12
	v_xad_u32 v14, v12, -1, v11
	v_add_nc_u32_e32 v15, 1, v12
	ds_load_u8 v13, v13
	ds_load_u8 v14, v14
	s_waitcnt lgkmcnt(0)
	v_cmp_lt_u16_e32 vcc_lo, v14, v13
	v_cndmask_b32_e32 v7, v7, v12, vcc_lo
	v_cndmask_b32_e32 v5, v15, v5, vcc_lo
	s_delay_alu instid0(VALU_DEP_1) | instskip(SKIP_1) | instid1(SALU_CYCLE_1)
	v_cmp_ge_i32_e32 vcc_lo, v5, v7
	s_or_b32 s0, vcc_lo, s0
	s_and_not1_b32 exec_lo, exec_lo, s0
	s_cbranch_execnz .LBB120_14
; %bb.15:
	s_or_b32 exec_lo, exec_lo, s0
.LBB120_16:
	s_delay_alu instid0(SALU_CYCLE_1) | instskip(SKIP_4) | instid1(VALU_DEP_4)
	s_or_b32 exec_lo, exec_lo, s1
	v_add_nc_u32_e32 v7, v6, v9
	v_add_nc_u32_e32 v8, v5, v8
	v_add_nc_u32_e32 v12, -16, v1
	v_cmp_lt_i32_e64 s2, 15, v1
	v_sub_nc_u32_e32 v7, v7, v5
	s_delay_alu instid0(VALU_DEP_4) | instskip(SKIP_1) | instid1(VALU_DEP_3)
	v_add_nc_u32_e32 v5, v2, v8
	v_cmp_le_i32_e32 vcc_lo, v6, v8
	v_add_nc_u32_e32 v9, v2, v7
	v_cmp_gt_i32_e64 s1, v4, v7
	v_cndmask_b32_e64 v4, 0, v12, s2
	ds_load_u8 v10, v5
	ds_load_u8 v9, v9
	; wave barrier
	s_waitcnt lgkmcnt(1)
	v_and_b32_e32 v5, 0xff, v10
	s_waitcnt lgkmcnt(0)
	v_and_b32_e32 v11, 0xff, v9
	s_delay_alu instid0(VALU_DEP_1) | instskip(SKIP_1) | instid1(VALU_DEP_2)
	v_cmp_lt_u16_e64 s0, v11, v5
	v_min_i32_e32 v5, 16, v1
	s_or_b32 s0, vcc_lo, s0
	s_delay_alu instid0(SALU_CYCLE_1)
	s_and_b32 vcc_lo, s1, s0
	s_mov_b32 s0, exec_lo
	v_cndmask_b32_e32 v6, v10, v9, vcc_lo
	ds_store_b8 v3, v6
	; wave barrier
	v_cmpx_lt_i32_e64 v4, v5
	s_cbranch_execz .LBB120_20
; %bb.17:
	v_add3_u32 v3, v2, 16, v1
	s_mov_b32 s1, 0
	.p2align	6
.LBB120_18:                             ; =>This Inner Loop Header: Depth=1
	v_sub_nc_u32_e32 v6, v5, v4
	s_delay_alu instid0(VALU_DEP_1) | instskip(NEXT) | instid1(VALU_DEP_1)
	v_lshrrev_b32_e32 v7, 31, v6
	v_add_nc_u32_e32 v6, v6, v7
	s_delay_alu instid0(VALU_DEP_1) | instskip(NEXT) | instid1(VALU_DEP_1)
	v_ashrrev_i32_e32 v6, 1, v6
	v_add_nc_u32_e32 v6, v6, v4
	s_delay_alu instid0(VALU_DEP_1)
	v_add_nc_u32_e32 v9, 1, v6
	v_add_nc_u32_e32 v7, v2, v6
	v_xad_u32 v8, v6, -1, v3
	ds_load_u8 v7, v7
	ds_load_u8 v8, v8
	s_waitcnt lgkmcnt(0)
	v_cmp_lt_u16_e32 vcc_lo, v8, v7
	v_cndmask_b32_e32 v4, v9, v4, vcc_lo
	v_cndmask_b32_e32 v5, v5, v6, vcc_lo
	s_delay_alu instid0(VALU_DEP_1) | instskip(SKIP_1) | instid1(SALU_CYCLE_1)
	v_cmp_ge_i32_e32 vcc_lo, v4, v5
	s_or_b32 s1, vcc_lo, s1
	s_and_not1_b32 exec_lo, exec_lo, s1
	s_cbranch_execnz .LBB120_18
; %bb.19:
	s_or_b32 exec_lo, exec_lo, s1
.LBB120_20:
	s_delay_alu instid0(SALU_CYCLE_1) | instskip(SKIP_3) | instid1(VALU_DEP_3)
	s_or_b32 exec_lo, exec_lo, s0
	v_add_nc_u32_e32 v1, 16, v1
	v_add_nc_u32_e32 v3, v2, v4
	v_cmp_le_i32_e32 vcc_lo, 16, v4
	v_sub_nc_u32_e32 v1, v1, v4
	s_delay_alu instid0(VALU_DEP_1)
	v_add_nc_u32_e32 v2, v2, v1
	v_cmp_gt_i32_e64 s1, 32, v1
	ds_load_u8 v3, v3
	ds_load_u8 v2, v2
	s_waitcnt lgkmcnt(1)
	v_and_b32_e32 v5, 0xff, v3
	s_waitcnt lgkmcnt(0)
	v_and_b32_e32 v6, 0xff, v2
	s_delay_alu instid0(VALU_DEP_1) | instskip(NEXT) | instid1(VALU_DEP_1)
	v_cmp_lt_u16_e64 s0, v6, v5
	s_or_b32 s0, vcc_lo, s0
	s_delay_alu instid0(SALU_CYCLE_1) | instskip(SKIP_4) | instid1(VALU_DEP_1)
	s_and_b32 vcc_lo, s1, s0
	s_add_u32 s0, s6, s3
	v_cndmask_b32_e32 v2, v3, v2, vcc_lo
	s_addc_u32 s1, s7, 0
	v_add_co_u32 v0, s0, s0, v0
	v_add_co_ci_u32_e64 v1, null, s1, 0, s0
	global_store_b8 v[0:1], v2, off
	s_nop 0
	s_sendmsg sendmsg(MSG_DEALLOC_VGPRS)
	s_endpgm
	.section	.rodata,"a",@progbits
	.p2align	6, 0x0
	.amdhsa_kernel _Z9sort_keysILj256ELj32ELj1EhN10test_utils4lessEEvPKT2_PS2_T3_
		.amdhsa_group_segment_fixed_size 264
		.amdhsa_private_segment_fixed_size 0
		.amdhsa_kernarg_size 20
		.amdhsa_user_sgpr_count 15
		.amdhsa_user_sgpr_dispatch_ptr 0
		.amdhsa_user_sgpr_queue_ptr 0
		.amdhsa_user_sgpr_kernarg_segment_ptr 1
		.amdhsa_user_sgpr_dispatch_id 0
		.amdhsa_user_sgpr_private_segment_size 0
		.amdhsa_wavefront_size32 1
		.amdhsa_uses_dynamic_stack 0
		.amdhsa_enable_private_segment 0
		.amdhsa_system_sgpr_workgroup_id_x 1
		.amdhsa_system_sgpr_workgroup_id_y 0
		.amdhsa_system_sgpr_workgroup_id_z 0
		.amdhsa_system_sgpr_workgroup_info 0
		.amdhsa_system_vgpr_workitem_id 0
		.amdhsa_next_free_vgpr 17
		.amdhsa_next_free_sgpr 16
		.amdhsa_reserve_vcc 1
		.amdhsa_float_round_mode_32 0
		.amdhsa_float_round_mode_16_64 0
		.amdhsa_float_denorm_mode_32 3
		.amdhsa_float_denorm_mode_16_64 3
		.amdhsa_dx10_clamp 1
		.amdhsa_ieee_mode 1
		.amdhsa_fp16_overflow 0
		.amdhsa_workgroup_processor_mode 1
		.amdhsa_memory_ordered 1
		.amdhsa_forward_progress 0
		.amdhsa_shared_vgpr_count 0
		.amdhsa_exception_fp_ieee_invalid_op 0
		.amdhsa_exception_fp_denorm_src 0
		.amdhsa_exception_fp_ieee_div_zero 0
		.amdhsa_exception_fp_ieee_overflow 0
		.amdhsa_exception_fp_ieee_underflow 0
		.amdhsa_exception_fp_ieee_inexact 0
		.amdhsa_exception_int_div_zero 0
	.end_amdhsa_kernel
	.section	.text._Z9sort_keysILj256ELj32ELj1EhN10test_utils4lessEEvPKT2_PS2_T3_,"axG",@progbits,_Z9sort_keysILj256ELj32ELj1EhN10test_utils4lessEEvPKT2_PS2_T3_,comdat
.Lfunc_end120:
	.size	_Z9sort_keysILj256ELj32ELj1EhN10test_utils4lessEEvPKT2_PS2_T3_, .Lfunc_end120-_Z9sort_keysILj256ELj32ELj1EhN10test_utils4lessEEvPKT2_PS2_T3_
                                        ; -- End function
	.section	.AMDGPU.csdata,"",@progbits
; Kernel info:
; codeLenInByte = 1588
; NumSgprs: 18
; NumVgprs: 17
; ScratchSize: 0
; MemoryBound: 0
; FloatMode: 240
; IeeeMode: 1
; LDSByteSize: 264 bytes/workgroup (compile time only)
; SGPRBlocks: 2
; VGPRBlocks: 2
; NumSGPRsForWavesPerEU: 18
; NumVGPRsForWavesPerEU: 17
; Occupancy: 16
; WaveLimiterHint : 0
; COMPUTE_PGM_RSRC2:SCRATCH_EN: 0
; COMPUTE_PGM_RSRC2:USER_SGPR: 15
; COMPUTE_PGM_RSRC2:TRAP_HANDLER: 0
; COMPUTE_PGM_RSRC2:TGID_X_EN: 1
; COMPUTE_PGM_RSRC2:TGID_Y_EN: 0
; COMPUTE_PGM_RSRC2:TGID_Z_EN: 0
; COMPUTE_PGM_RSRC2:TIDIG_COMP_CNT: 0
	.section	.text._Z10sort_pairsILj256ELj32ELj1EhN10test_utils4lessEEvPKT2_PS2_T3_,"axG",@progbits,_Z10sort_pairsILj256ELj32ELj1EhN10test_utils4lessEEvPKT2_PS2_T3_,comdat
	.protected	_Z10sort_pairsILj256ELj32ELj1EhN10test_utils4lessEEvPKT2_PS2_T3_ ; -- Begin function _Z10sort_pairsILj256ELj32ELj1EhN10test_utils4lessEEvPKT2_PS2_T3_
	.globl	_Z10sort_pairsILj256ELj32ELj1EhN10test_utils4lessEEvPKT2_PS2_T3_
	.p2align	8
	.type	_Z10sort_pairsILj256ELj32ELj1EhN10test_utils4lessEEvPKT2_PS2_T3_,@function
_Z10sort_pairsILj256ELj32ELj1EhN10test_utils4lessEEvPKT2_PS2_T3_: ; @_Z10sort_pairsILj256ELj32ELj1EhN10test_utils4lessEEvPKT2_PS2_T3_
; %bb.0:
	s_load_b128 s[0:3], s[0:1], 0x0
	s_lshl_b32 s4, s15, 8
	v_mbcnt_lo_u32_b32 v2, -1, 0
	v_lshrrev_b32_e32 v9, 5, v0
	s_delay_alu instid0(VALU_DEP_2) | instskip(SKIP_1) | instid1(VALU_DEP_3)
	v_and_b32_e32 v5, 30, v2
	v_and_b32_e32 v6, 1, v2
	v_mad_u32_u24 v10, v9, 33, v2
	s_delay_alu instid0(VALU_DEP_3) | instskip(NEXT) | instid1(VALU_DEP_3)
	v_or_b32_e32 v4, 1, v5
	v_add_nc_u32_e32 v1, -1, v6
	v_cmp_lt_i32_e32 vcc_lo, 0, v6
	s_delay_alu instid0(VALU_DEP_3) | instskip(NEXT) | instid1(VALU_DEP_3)
	v_sub_nc_u32_e32 v8, v4, v5
	v_cndmask_b32_e32 v7, 0, v1, vcc_lo
	s_waitcnt lgkmcnt(0)
	s_add_u32 s0, s0, s4
	s_addc_u32 s1, s1, 0
	v_min_i32_e32 v8, v6, v8
	global_load_u8 v3, v0, s[0:1]
	v_mul_u32_u24_e32 v1, 33, v9
	s_mov_b32 s0, 0
	s_mov_b32 s1, exec_lo
	; wave barrier
	s_waitcnt vmcnt(0)
	ds_store_b8 v10, v3
	; wave barrier
	v_cmpx_lt_i32_e64 v7, v8
	s_cbranch_execz .LBB121_4
; %bb.1:
	v_add_nc_u32_e32 v9, v1, v5
	v_add3_u32 v10, v1, v4, v6
	.p2align	6
.LBB121_2:                              ; =>This Inner Loop Header: Depth=1
	v_sub_nc_u32_e32 v11, v8, v7
	s_delay_alu instid0(VALU_DEP_1) | instskip(NEXT) | instid1(VALU_DEP_1)
	v_lshrrev_b32_e32 v12, 31, v11
	v_add_nc_u32_e32 v11, v11, v12
	s_delay_alu instid0(VALU_DEP_1) | instskip(NEXT) | instid1(VALU_DEP_1)
	v_ashrrev_i32_e32 v11, 1, v11
	v_add_nc_u32_e32 v11, v11, v7
	s_delay_alu instid0(VALU_DEP_1)
	v_add_nc_u32_e32 v12, v9, v11
	v_xad_u32 v13, v11, -1, v10
	v_add_nc_u32_e32 v14, 1, v11
	ds_load_u8 v12, v12
	ds_load_u8 v13, v13
	s_waitcnt lgkmcnt(0)
	v_cmp_lt_u16_e32 vcc_lo, v13, v12
	v_cndmask_b32_e32 v8, v8, v11, vcc_lo
	v_cndmask_b32_e32 v7, v14, v7, vcc_lo
	s_delay_alu instid0(VALU_DEP_1) | instskip(SKIP_1) | instid1(SALU_CYCLE_1)
	v_cmp_ge_i32_e32 vcc_lo, v7, v8
	s_or_b32 s0, vcc_lo, s0
	s_and_not1_b32 exec_lo, exec_lo, s0
	s_cbranch_execnz .LBB121_2
; %bb.3:
	s_or_b32 exec_lo, exec_lo, s0
.LBB121_4:
	s_delay_alu instid0(SALU_CYCLE_1) | instskip(SKIP_2) | instid1(VALU_DEP_2)
	s_or_b32 exec_lo, exec_lo, s1
	v_add_nc_u32_e32 v6, v4, v6
	v_add_nc_u32_e32 v5, v7, v5
	v_sub_nc_u32_e32 v6, v6, v7
	s_delay_alu instid0(VALU_DEP_2) | instskip(SKIP_1) | instid1(VALU_DEP_3)
	v_add_nc_u32_e32 v7, v1, v5
	v_cmp_le_i32_e32 vcc_lo, v4, v5
	v_add_nc_u32_e32 v8, v1, v6
	v_cmp_ge_i32_e64 s1, v4, v6
	v_add_nc_u16 v4, v3, 1
	v_add_nc_u32_e32 v3, v1, v2
	ds_load_u8 v9, v7
	ds_load_u8 v8, v8
	; wave barrier
	ds_store_b8 v3, v4
	; wave barrier
	s_waitcnt lgkmcnt(2)
	v_and_b32_e32 v7, 0xff, v9
	s_waitcnt lgkmcnt(1)
	v_and_b32_e32 v10, 0xff, v8
	s_delay_alu instid0(VALU_DEP_1) | instskip(SKIP_1) | instid1(VALU_DEP_2)
	v_cmp_lt_u16_e64 s0, v10, v7
	v_and_b32_e32 v7, 28, v2
	s_or_b32 s0, vcc_lo, s0
	s_delay_alu instid0(SALU_CYCLE_1)
	s_and_b32 vcc_lo, s1, s0
	s_mov_b32 s1, 0
	v_cndmask_b32_e32 v11, v9, v8, vcc_lo
	v_cndmask_b32_e32 v8, v5, v6, vcc_lo
	v_or_b32_e32 v6, 2, v7
	v_add_nc_u32_e32 v5, 4, v7
	s_mov_b32 s0, exec_lo
	s_delay_alu instid0(VALU_DEP_3) | instskip(SKIP_1) | instid1(VALU_DEP_3)
	v_add_nc_u32_e32 v4, v1, v8
	v_and_b32_e32 v8, 3, v2
	v_sub_nc_u32_e32 v9, v5, v6
	v_sub_nc_u32_e32 v12, v6, v7
	s_delay_alu instid0(VALU_DEP_2) | instskip(SKIP_1) | instid1(VALU_DEP_2)
	v_sub_nc_u32_e32 v10, v8, v9
	v_cmp_ge_i32_e32 vcc_lo, v8, v9
	v_cndmask_b32_e32 v9, 0, v10, vcc_lo
	ds_load_u8 v4, v4
	v_min_i32_e32 v10, v8, v12
	; wave barrier
	ds_store_b8 v3, v11
	; wave barrier
	v_cmpx_lt_i32_e64 v9, v10
	s_cbranch_execz .LBB121_8
; %bb.5:
	v_add_nc_u32_e32 v11, v1, v7
	v_add3_u32 v12, v1, v6, v8
	.p2align	6
.LBB121_6:                              ; =>This Inner Loop Header: Depth=1
	v_sub_nc_u32_e32 v13, v10, v9
	s_delay_alu instid0(VALU_DEP_1) | instskip(NEXT) | instid1(VALU_DEP_1)
	v_lshrrev_b32_e32 v14, 31, v13
	v_add_nc_u32_e32 v13, v13, v14
	s_delay_alu instid0(VALU_DEP_1) | instskip(NEXT) | instid1(VALU_DEP_1)
	v_ashrrev_i32_e32 v13, 1, v13
	v_add_nc_u32_e32 v13, v13, v9
	s_delay_alu instid0(VALU_DEP_1)
	v_add_nc_u32_e32 v14, v11, v13
	v_xad_u32 v15, v13, -1, v12
	v_add_nc_u32_e32 v16, 1, v13
	ds_load_u8 v14, v14
	ds_load_u8 v15, v15
	s_waitcnt lgkmcnt(0)
	v_cmp_lt_u16_e32 vcc_lo, v15, v14
	v_cndmask_b32_e32 v10, v10, v13, vcc_lo
	v_cndmask_b32_e32 v9, v16, v9, vcc_lo
	s_delay_alu instid0(VALU_DEP_1) | instskip(SKIP_1) | instid1(SALU_CYCLE_1)
	v_cmp_ge_i32_e32 vcc_lo, v9, v10
	s_or_b32 s1, vcc_lo, s1
	s_and_not1_b32 exec_lo, exec_lo, s1
	s_cbranch_execnz .LBB121_6
; %bb.7:
	s_or_b32 exec_lo, exec_lo, s1
.LBB121_8:
	s_delay_alu instid0(SALU_CYCLE_1) | instskip(SKIP_2) | instid1(VALU_DEP_2)
	s_or_b32 exec_lo, exec_lo, s0
	v_add_nc_u32_e32 v8, v6, v8
	v_add_nc_u32_e32 v10, v9, v7
	v_sub_nc_u32_e32 v8, v8, v9
	s_delay_alu instid0(VALU_DEP_2) | instskip(SKIP_1) | instid1(VALU_DEP_3)
	v_add_nc_u32_e32 v7, v1, v10
	v_cmp_le_i32_e32 vcc_lo, v6, v10
	v_add_nc_u32_e32 v9, v1, v8
	v_cmp_gt_i32_e64 s1, v5, v8
	ds_load_u8 v11, v7
	ds_load_u8 v9, v9
	; wave barrier
	s_waitcnt lgkmcnt(3)
	ds_store_b8 v3, v4
	; wave barrier
	s_waitcnt lgkmcnt(2)
	v_and_b32_e32 v7, 0xff, v11
	s_waitcnt lgkmcnt(1)
	v_and_b32_e32 v12, 0xff, v9
	s_delay_alu instid0(VALU_DEP_1) | instskip(SKIP_1) | instid1(VALU_DEP_2)
	v_cmp_lt_u16_e64 s0, v12, v7
	v_and_b32_e32 v7, 24, v2
	s_or_b32 s0, vcc_lo, s0
	s_delay_alu instid0(VALU_DEP_1) | instskip(SKIP_3) | instid1(VALU_DEP_3)
	v_or_b32_e32 v6, 4, v7
	s_and_b32 vcc_lo, s1, s0
	v_dual_cndmask_b32 v8, v10, v8 :: v_dual_add_nc_u32 v5, 8, v7
	v_cndmask_b32_e32 v11, v11, v9, vcc_lo
	v_sub_nc_u32_e32 v12, v6, v7
	s_mov_b32 s1, 0
	s_delay_alu instid0(VALU_DEP_3)
	v_sub_nc_u32_e32 v9, v5, v6
	v_add_nc_u32_e32 v4, v1, v8
	v_and_b32_e32 v8, 7, v2
	s_mov_b32 s0, exec_lo
	ds_load_u8 v4, v4
	v_sub_nc_u32_e32 v10, v8, v9
	v_cmp_ge_i32_e32 vcc_lo, v8, v9
	; wave barrier
	ds_store_b8 v3, v11
	v_cndmask_b32_e32 v9, 0, v10, vcc_lo
	v_min_i32_e32 v10, v8, v12
	; wave barrier
	s_delay_alu instid0(VALU_DEP_1)
	v_cmpx_lt_i32_e64 v9, v10
	s_cbranch_execz .LBB121_12
; %bb.9:
	v_add_nc_u32_e32 v11, v1, v7
	v_add3_u32 v12, v1, v6, v8
	.p2align	6
.LBB121_10:                             ; =>This Inner Loop Header: Depth=1
	v_sub_nc_u32_e32 v13, v10, v9
	s_delay_alu instid0(VALU_DEP_1) | instskip(NEXT) | instid1(VALU_DEP_1)
	v_lshrrev_b32_e32 v14, 31, v13
	v_add_nc_u32_e32 v13, v13, v14
	s_delay_alu instid0(VALU_DEP_1) | instskip(NEXT) | instid1(VALU_DEP_1)
	v_ashrrev_i32_e32 v13, 1, v13
	v_add_nc_u32_e32 v13, v13, v9
	s_delay_alu instid0(VALU_DEP_1)
	v_add_nc_u32_e32 v14, v11, v13
	v_xad_u32 v15, v13, -1, v12
	v_add_nc_u32_e32 v16, 1, v13
	ds_load_u8 v14, v14
	ds_load_u8 v15, v15
	s_waitcnt lgkmcnt(0)
	v_cmp_lt_u16_e32 vcc_lo, v15, v14
	v_cndmask_b32_e32 v10, v10, v13, vcc_lo
	v_cndmask_b32_e32 v9, v16, v9, vcc_lo
	s_delay_alu instid0(VALU_DEP_1) | instskip(SKIP_1) | instid1(SALU_CYCLE_1)
	v_cmp_ge_i32_e32 vcc_lo, v9, v10
	s_or_b32 s1, vcc_lo, s1
	s_and_not1_b32 exec_lo, exec_lo, s1
	s_cbranch_execnz .LBB121_10
; %bb.11:
	s_or_b32 exec_lo, exec_lo, s1
.LBB121_12:
	s_delay_alu instid0(SALU_CYCLE_1) | instskip(SKIP_2) | instid1(VALU_DEP_2)
	s_or_b32 exec_lo, exec_lo, s0
	v_add_nc_u32_e32 v8, v6, v8
	v_add_nc_u32_e32 v10, v9, v7
	v_sub_nc_u32_e32 v8, v8, v9
	s_delay_alu instid0(VALU_DEP_2) | instskip(SKIP_1) | instid1(VALU_DEP_3)
	v_add_nc_u32_e32 v7, v1, v10
	v_cmp_le_i32_e32 vcc_lo, v6, v10
	v_add_nc_u32_e32 v9, v1, v8
	v_cmp_gt_i32_e64 s1, v5, v8
	ds_load_u8 v11, v7
	ds_load_u8 v9, v9
	; wave barrier
	s_waitcnt lgkmcnt(3)
	ds_store_b8 v3, v4
	; wave barrier
	s_waitcnt lgkmcnt(2)
	v_and_b32_e32 v7, 0xff, v11
	s_waitcnt lgkmcnt(1)
	v_and_b32_e32 v12, 0xff, v9
	s_delay_alu instid0(VALU_DEP_1) | instskip(SKIP_1) | instid1(VALU_DEP_2)
	v_cmp_lt_u16_e64 s0, v12, v7
	v_and_b32_e32 v7, 16, v2
	s_or_b32 s0, vcc_lo, s0
	s_delay_alu instid0(VALU_DEP_1) | instskip(SKIP_3) | instid1(VALU_DEP_3)
	v_or_b32_e32 v6, 8, v7
	s_and_b32 vcc_lo, s1, s0
	v_dual_cndmask_b32 v8, v10, v8 :: v_dual_add_nc_u32 v5, 16, v7
	v_cndmask_b32_e32 v11, v11, v9, vcc_lo
	v_sub_nc_u32_e32 v12, v6, v7
	s_mov_b32 s1, 0
	s_delay_alu instid0(VALU_DEP_3)
	v_sub_nc_u32_e32 v9, v5, v6
	v_add_nc_u32_e32 v4, v1, v8
	v_and_b32_e32 v8, 15, v2
	s_mov_b32 s0, exec_lo
	ds_load_u8 v4, v4
	v_sub_nc_u32_e32 v10, v8, v9
	v_cmp_ge_i32_e32 vcc_lo, v8, v9
	; wave barrier
	ds_store_b8 v3, v11
	v_cndmask_b32_e32 v9, 0, v10, vcc_lo
	v_min_i32_e32 v10, v8, v12
	; wave barrier
	s_delay_alu instid0(VALU_DEP_1)
	v_cmpx_lt_i32_e64 v9, v10
	s_cbranch_execz .LBB121_16
; %bb.13:
	v_add_nc_u32_e32 v11, v1, v7
	v_add3_u32 v12, v1, v6, v8
	.p2align	6
.LBB121_14:                             ; =>This Inner Loop Header: Depth=1
	v_sub_nc_u32_e32 v13, v10, v9
	s_delay_alu instid0(VALU_DEP_1) | instskip(NEXT) | instid1(VALU_DEP_1)
	v_lshrrev_b32_e32 v14, 31, v13
	v_add_nc_u32_e32 v13, v13, v14
	s_delay_alu instid0(VALU_DEP_1) | instskip(NEXT) | instid1(VALU_DEP_1)
	v_ashrrev_i32_e32 v13, 1, v13
	v_add_nc_u32_e32 v13, v13, v9
	s_delay_alu instid0(VALU_DEP_1)
	v_add_nc_u32_e32 v14, v11, v13
	v_xad_u32 v15, v13, -1, v12
	v_add_nc_u32_e32 v16, 1, v13
	ds_load_u8 v14, v14
	ds_load_u8 v15, v15
	s_waitcnt lgkmcnt(0)
	v_cmp_lt_u16_e32 vcc_lo, v15, v14
	v_cndmask_b32_e32 v10, v10, v13, vcc_lo
	v_cndmask_b32_e32 v9, v16, v9, vcc_lo
	s_delay_alu instid0(VALU_DEP_1) | instskip(SKIP_1) | instid1(SALU_CYCLE_1)
	v_cmp_ge_i32_e32 vcc_lo, v9, v10
	s_or_b32 s1, vcc_lo, s1
	s_and_not1_b32 exec_lo, exec_lo, s1
	s_cbranch_execnz .LBB121_14
; %bb.15:
	s_or_b32 exec_lo, exec_lo, s1
.LBB121_16:
	s_delay_alu instid0(SALU_CYCLE_1) | instskip(SKIP_2) | instid1(VALU_DEP_2)
	s_or_b32 exec_lo, exec_lo, s0
	v_add_nc_u32_e32 v8, v6, v8
	v_add_nc_u32_e32 v7, v9, v7
	v_sub_nc_u32_e32 v8, v8, v9
	s_delay_alu instid0(VALU_DEP_2) | instskip(SKIP_2) | instid1(VALU_DEP_4)
	v_add_nc_u32_e32 v9, v1, v7
	v_cmp_le_i32_e32 vcc_lo, v6, v7
	v_min_i32_e32 v6, 16, v2
	v_add_nc_u32_e32 v10, v1, v8
	v_cmp_gt_i32_e64 s1, v5, v8
	ds_load_u8 v9, v9
	ds_load_u8 v10, v10
	; wave barrier
	s_waitcnt lgkmcnt(3)
	ds_store_b8 v3, v4
	; wave barrier
	s_waitcnt lgkmcnt(2)
	v_and_b32_e32 v11, 0xff, v9
	s_waitcnt lgkmcnt(1)
	v_and_b32_e32 v12, 0xff, v10
	s_delay_alu instid0(VALU_DEP_1) | instskip(NEXT) | instid1(VALU_DEP_1)
	v_cmp_lt_u16_e64 s0, v12, v11
	s_or_b32 s0, vcc_lo, s0
	s_delay_alu instid0(SALU_CYCLE_1) | instskip(SKIP_4) | instid1(VALU_DEP_3)
	s_and_b32 vcc_lo, s1, s0
	s_mov_b32 s0, exec_lo
	v_cndmask_b32_e32 v5, v7, v8, vcc_lo
	v_cndmask_b32_e32 v9, v9, v10, vcc_lo
	v_cmp_lt_i32_e32 vcc_lo, 15, v2
	v_add_nc_u32_e32 v5, v1, v5
	ds_load_u8 v4, v5
	v_add_nc_u32_e32 v5, -16, v2
	; wave barrier
	ds_store_b8 v3, v9
	v_cndmask_b32_e32 v5, 0, v5, vcc_lo
	; wave barrier
	s_delay_alu instid0(VALU_DEP_1)
	v_cmpx_lt_i32_e64 v5, v6
	s_cbranch_execz .LBB121_20
; %bb.17:
	v_add3_u32 v7, v1, 16, v2
	s_mov_b32 s1, 0
	.p2align	6
.LBB121_18:                             ; =>This Inner Loop Header: Depth=1
	v_sub_nc_u32_e32 v8, v6, v5
	s_delay_alu instid0(VALU_DEP_1) | instskip(NEXT) | instid1(VALU_DEP_1)
	v_lshrrev_b32_e32 v9, 31, v8
	v_add_nc_u32_e32 v8, v8, v9
	s_delay_alu instid0(VALU_DEP_1) | instskip(NEXT) | instid1(VALU_DEP_1)
	v_ashrrev_i32_e32 v8, 1, v8
	v_add_nc_u32_e32 v8, v8, v5
	s_delay_alu instid0(VALU_DEP_1)
	v_add_nc_u32_e32 v9, v1, v8
	v_xad_u32 v10, v8, -1, v7
	v_add_nc_u32_e32 v11, 1, v8
	ds_load_u8 v9, v9
	ds_load_u8 v10, v10
	s_waitcnt lgkmcnt(0)
	v_cmp_lt_u16_e32 vcc_lo, v10, v9
	v_dual_cndmask_b32 v6, v6, v8 :: v_dual_cndmask_b32 v5, v11, v5
	s_delay_alu instid0(VALU_DEP_1) | instskip(SKIP_1) | instid1(SALU_CYCLE_1)
	v_cmp_ge_i32_e32 vcc_lo, v5, v6
	s_or_b32 s1, vcc_lo, s1
	s_and_not1_b32 exec_lo, exec_lo, s1
	s_cbranch_execnz .LBB121_18
; %bb.19:
	s_or_b32 exec_lo, exec_lo, s1
.LBB121_20:
	s_delay_alu instid0(SALU_CYCLE_1) | instskip(SKIP_3) | instid1(VALU_DEP_3)
	s_or_b32 exec_lo, exec_lo, s0
	v_add_nc_u32_e32 v2, 16, v2
	v_add_nc_u32_e32 v6, v1, v5
	v_cmp_le_i32_e32 vcc_lo, 16, v5
	v_sub_nc_u32_e32 v2, v2, v5
	s_delay_alu instid0(VALU_DEP_1)
	v_add_nc_u32_e32 v7, v1, v2
	v_cmp_gt_i32_e64 s1, 32, v2
	ds_load_u8 v6, v6
	ds_load_u8 v7, v7
	; wave barrier
	s_waitcnt lgkmcnt(3)
	ds_store_b8 v3, v4
	; wave barrier
	s_waitcnt lgkmcnt(2)
	v_and_b32_e32 v8, 0xff, v6
	s_waitcnt lgkmcnt(1)
	v_and_b32_e32 v9, 0xff, v7
	s_delay_alu instid0(VALU_DEP_1) | instskip(NEXT) | instid1(VALU_DEP_1)
	v_cmp_lt_u16_e64 s0, v9, v8
	s_or_b32 s0, vcc_lo, s0
	s_delay_alu instid0(SALU_CYCLE_1)
	s_and_b32 vcc_lo, s1, s0
	s_add_u32 s0, s2, s4
	v_cndmask_b32_e32 v2, v5, v2, vcc_lo
	v_cndmask_b32_e32 v6, v6, v7, vcc_lo
	s_addc_u32 s1, s3, 0
	v_add_co_u32 v0, s0, s0, v0
	s_delay_alu instid0(VALU_DEP_3)
	v_add_nc_u32_e32 v1, v1, v2
	ds_load_u8 v1, v1
	s_waitcnt lgkmcnt(0)
	v_add_nc_u16 v2, v1, v6
	v_add_co_ci_u32_e64 v1, null, s1, 0, s0
	global_store_b8 v[0:1], v2, off
	s_nop 0
	s_sendmsg sendmsg(MSG_DEALLOC_VGPRS)
	s_endpgm
	.section	.rodata,"a",@progbits
	.p2align	6, 0x0
	.amdhsa_kernel _Z10sort_pairsILj256ELj32ELj1EhN10test_utils4lessEEvPKT2_PS2_T3_
		.amdhsa_group_segment_fixed_size 264
		.amdhsa_private_segment_fixed_size 0
		.amdhsa_kernarg_size 20
		.amdhsa_user_sgpr_count 15
		.amdhsa_user_sgpr_dispatch_ptr 0
		.amdhsa_user_sgpr_queue_ptr 0
		.amdhsa_user_sgpr_kernarg_segment_ptr 1
		.amdhsa_user_sgpr_dispatch_id 0
		.amdhsa_user_sgpr_private_segment_size 0
		.amdhsa_wavefront_size32 1
		.amdhsa_uses_dynamic_stack 0
		.amdhsa_enable_private_segment 0
		.amdhsa_system_sgpr_workgroup_id_x 1
		.amdhsa_system_sgpr_workgroup_id_y 0
		.amdhsa_system_sgpr_workgroup_id_z 0
		.amdhsa_system_sgpr_workgroup_info 0
		.amdhsa_system_vgpr_workitem_id 0
		.amdhsa_next_free_vgpr 17
		.amdhsa_next_free_sgpr 16
		.amdhsa_reserve_vcc 1
		.amdhsa_float_round_mode_32 0
		.amdhsa_float_round_mode_16_64 0
		.amdhsa_float_denorm_mode_32 3
		.amdhsa_float_denorm_mode_16_64 3
		.amdhsa_dx10_clamp 1
		.amdhsa_ieee_mode 1
		.amdhsa_fp16_overflow 0
		.amdhsa_workgroup_processor_mode 1
		.amdhsa_memory_ordered 1
		.amdhsa_forward_progress 0
		.amdhsa_shared_vgpr_count 0
		.amdhsa_exception_fp_ieee_invalid_op 0
		.amdhsa_exception_fp_denorm_src 0
		.amdhsa_exception_fp_ieee_div_zero 0
		.amdhsa_exception_fp_ieee_overflow 0
		.amdhsa_exception_fp_ieee_underflow 0
		.amdhsa_exception_fp_ieee_inexact 0
		.amdhsa_exception_int_div_zero 0
	.end_amdhsa_kernel
	.section	.text._Z10sort_pairsILj256ELj32ELj1EhN10test_utils4lessEEvPKT2_PS2_T3_,"axG",@progbits,_Z10sort_pairsILj256ELj32ELj1EhN10test_utils4lessEEvPKT2_PS2_T3_,comdat
.Lfunc_end121:
	.size	_Z10sort_pairsILj256ELj32ELj1EhN10test_utils4lessEEvPKT2_PS2_T3_, .Lfunc_end121-_Z10sort_pairsILj256ELj32ELj1EhN10test_utils4lessEEvPKT2_PS2_T3_
                                        ; -- End function
	.section	.AMDGPU.csdata,"",@progbits
; Kernel info:
; codeLenInByte = 1748
; NumSgprs: 18
; NumVgprs: 17
; ScratchSize: 0
; MemoryBound: 0
; FloatMode: 240
; IeeeMode: 1
; LDSByteSize: 264 bytes/workgroup (compile time only)
; SGPRBlocks: 2
; VGPRBlocks: 2
; NumSGPRsForWavesPerEU: 18
; NumVGPRsForWavesPerEU: 17
; Occupancy: 16
; WaveLimiterHint : 0
; COMPUTE_PGM_RSRC2:SCRATCH_EN: 0
; COMPUTE_PGM_RSRC2:USER_SGPR: 15
; COMPUTE_PGM_RSRC2:TRAP_HANDLER: 0
; COMPUTE_PGM_RSRC2:TGID_X_EN: 1
; COMPUTE_PGM_RSRC2:TGID_Y_EN: 0
; COMPUTE_PGM_RSRC2:TGID_Z_EN: 0
; COMPUTE_PGM_RSRC2:TIDIG_COMP_CNT: 0
	.section	.text._Z19sort_keys_segmentedILj256ELj32ELj1EhN10test_utils4lessEEvPKT2_PS2_PKjT3_,"axG",@progbits,_Z19sort_keys_segmentedILj256ELj32ELj1EhN10test_utils4lessEEvPKT2_PS2_PKjT3_,comdat
	.protected	_Z19sort_keys_segmentedILj256ELj32ELj1EhN10test_utils4lessEEvPKT2_PS2_PKjT3_ ; -- Begin function _Z19sort_keys_segmentedILj256ELj32ELj1EhN10test_utils4lessEEvPKT2_PS2_PKjT3_
	.globl	_Z19sort_keys_segmentedILj256ELj32ELj1EhN10test_utils4lessEEvPKT2_PS2_PKjT3_
	.p2align	8
	.type	_Z19sort_keys_segmentedILj256ELj32ELj1EhN10test_utils4lessEEvPKT2_PS2_PKjT3_,@function
_Z19sort_keys_segmentedILj256ELj32ELj1EhN10test_utils4lessEEvPKT2_PS2_PKjT3_: ; @_Z19sort_keys_segmentedILj256ELj32ELj1EhN10test_utils4lessEEvPKT2_PS2_PKjT3_
; %bb.0:
	s_clause 0x1
	s_load_b64 s[2:3], s[0:1], 0x10
	s_load_b128 s[4:7], s[0:1], 0x0
	v_lshrrev_b32_e32 v2, 5, v0
	v_mov_b32_e32 v5, 0
                                        ; implicit-def: $vgpr10
	s_delay_alu instid0(VALU_DEP_2) | instskip(NEXT) | instid1(VALU_DEP_1)
	v_lshl_or_b32 v4, s15, 3, v2
	v_lshlrev_b64 v[0:1], 2, v[4:5]
	s_waitcnt lgkmcnt(0)
	s_delay_alu instid0(VALU_DEP_1) | instskip(NEXT) | instid1(VALU_DEP_2)
	v_add_co_u32 v0, vcc_lo, s2, v0
	v_add_co_ci_u32_e32 v1, vcc_lo, s3, v1, vcc_lo
	global_load_b32 v3, v[0:1], off
	v_mbcnt_lo_u32_b32 v0, -1, 0
	v_lshlrev_b32_e32 v1, 5, v4
	s_waitcnt vmcnt(0)
	s_delay_alu instid0(VALU_DEP_2)
	v_cmp_lt_u32_e32 vcc_lo, v0, v3
	s_and_saveexec_b32 s1, vcc_lo
	s_cbranch_execz .LBB122_2
; %bb.1:
	v_add_co_u32 v4, s0, s4, v1
	s_delay_alu instid0(VALU_DEP_1) | instskip(NEXT) | instid1(VALU_DEP_2)
	v_add_co_ci_u32_e64 v5, null, s5, 0, s0
	v_add_co_u32 v4, s0, v4, v0
	s_delay_alu instid0(VALU_DEP_1)
	v_add_co_ci_u32_e64 v5, s0, 0, v5, s0
	global_load_u8 v10, v[4:5], off
.LBB122_2:
	s_or_b32 exec_lo, exec_lo, s1
	v_and_b32_e32 v4, 30, v0
	v_and_b32_e32 v8, 1, v0
	s_mov_b32 s1, exec_lo
	; wave barrier
	s_delay_alu instid0(VALU_DEP_2) | instskip(NEXT) | instid1(VALU_DEP_1)
	v_min_i32_e32 v5, v3, v4
	v_add_nc_u32_e32 v4, 1, v5
	s_delay_alu instid0(VALU_DEP_1) | instskip(NEXT) | instid1(VALU_DEP_1)
	v_min_i32_e32 v4, v3, v4
	v_add_nc_u32_e32 v6, 1, v4
	v_sub_nc_u32_e32 v11, v4, v5
	s_delay_alu instid0(VALU_DEP_2) | instskip(SKIP_1) | instid1(VALU_DEP_2)
	v_min_i32_e32 v7, v3, v6
	v_min_i32_e32 v6, v3, v8
	v_sub_nc_u32_e32 v8, v7, v4
	s_delay_alu instid0(VALU_DEP_1) | instskip(SKIP_1) | instid1(VALU_DEP_1)
	v_sub_nc_u32_e32 v9, v6, v8
	v_cmp_ge_i32_e64 s0, v6, v8
	v_cndmask_b32_e64 v8, 0, v9, s0
	v_min_i32_e32 v9, v6, v11
	v_mad_u32_u24 v11, v2, 33, v0
	v_mul_u32_u24_e32 v2, 33, v2
	s_waitcnt vmcnt(0)
	ds_store_b8 v11, v10
	; wave barrier
	v_cmpx_lt_i32_e64 v8, v9
	s_cbranch_execz .LBB122_6
; %bb.3:
	v_add_nc_u32_e32 v10, v2, v5
	v_add3_u32 v11, v2, v4, v6
	s_mov_b32 s2, 0
	.p2align	6
.LBB122_4:                              ; =>This Inner Loop Header: Depth=1
	v_sub_nc_u32_e32 v12, v9, v8
	s_delay_alu instid0(VALU_DEP_1) | instskip(NEXT) | instid1(VALU_DEP_1)
	v_lshrrev_b32_e32 v13, 31, v12
	v_add_nc_u32_e32 v12, v12, v13
	s_delay_alu instid0(VALU_DEP_1) | instskip(NEXT) | instid1(VALU_DEP_1)
	v_ashrrev_i32_e32 v12, 1, v12
	v_add_nc_u32_e32 v12, v12, v8
	s_delay_alu instid0(VALU_DEP_1)
	v_add_nc_u32_e32 v13, v10, v12
	v_xad_u32 v14, v12, -1, v11
	v_add_nc_u32_e32 v15, 1, v12
	ds_load_u8 v13, v13
	ds_load_u8 v14, v14
	s_waitcnt lgkmcnt(0)
	v_cmp_lt_u16_e64 s0, v14, v13
	s_delay_alu instid0(VALU_DEP_1) | instskip(SKIP_1) | instid1(VALU_DEP_1)
	v_cndmask_b32_e64 v9, v9, v12, s0
	v_cndmask_b32_e64 v8, v15, v8, s0
	v_cmp_ge_i32_e64 s0, v8, v9
	s_delay_alu instid0(VALU_DEP_1) | instskip(NEXT) | instid1(SALU_CYCLE_1)
	s_or_b32 s2, s0, s2
	s_and_not1_b32 exec_lo, exec_lo, s2
	s_cbranch_execnz .LBB122_4
; %bb.5:
	s_or_b32 exec_lo, exec_lo, s2
.LBB122_6:
	s_delay_alu instid0(SALU_CYCLE_1) | instskip(SKIP_3) | instid1(VALU_DEP_3)
	s_or_b32 exec_lo, exec_lo, s1
	v_add_nc_u32_e32 v6, v4, v6
	v_add_nc_u32_e32 v10, v8, v5
	v_and_b32_e32 v5, 28, v0
	v_sub_nc_u32_e32 v11, v6, v8
	s_delay_alu instid0(VALU_DEP_3) | instskip(NEXT) | instid1(VALU_DEP_3)
	v_add_nc_u32_e32 v6, v2, v10
	v_min_i32_e32 v8, v3, v5
	v_cmp_le_i32_e64 s0, v4, v10
	v_add_nc_u32_e32 v4, v2, v0
	v_add_nc_u32_e32 v9, v2, v11
	v_cmp_gt_i32_e64 s2, v7, v11
	v_add_nc_u32_e32 v5, 2, v8
	ds_load_u8 v12, v6
	ds_load_u8 v13, v9
	v_and_b32_e32 v9, 3, v0
	v_min_i32_e32 v6, v3, v5
	; wave barrier
	s_delay_alu instid0(VALU_DEP_2) | instskip(NEXT) | instid1(VALU_DEP_2)
	v_min_i32_e32 v9, v3, v9
	v_add_nc_u32_e32 v5, 2, v6
	v_sub_nc_u32_e32 v10, v6, v8
	s_delay_alu instid0(VALU_DEP_2) | instskip(NEXT) | instid1(VALU_DEP_2)
	v_min_i32_e32 v5, v3, v5
	v_min_i32_e32 v10, v9, v10
	s_delay_alu instid0(VALU_DEP_2) | instskip(SKIP_4) | instid1(VALU_DEP_1)
	v_sub_nc_u32_e32 v16, v5, v6
	s_waitcnt lgkmcnt(1)
	v_and_b32_e32 v14, 0xff, v12
	s_waitcnt lgkmcnt(0)
	v_and_b32_e32 v15, 0xff, v13
	v_cmp_lt_u16_e64 s1, v15, v14
	v_sub_nc_u32_e32 v14, v9, v16
	s_delay_alu instid0(VALU_DEP_2) | instskip(SKIP_1) | instid1(VALU_DEP_1)
	s_or_b32 s1, s0, s1
	v_cmp_ge_i32_e64 s0, v9, v16
	v_cndmask_b32_e64 v7, 0, v14, s0
	s_and_b32 s0, s2, s1
	s_mov_b32 s1, 0
	v_cndmask_b32_e64 v11, v12, v13, s0
	s_mov_b32 s2, exec_lo
	ds_store_b8 v4, v11
	; wave barrier
	v_cmpx_lt_i32_e64 v7, v10
	s_cbranch_execz .LBB122_10
; %bb.7:
	v_add_nc_u32_e32 v11, v2, v8
	v_add3_u32 v12, v2, v6, v9
	.p2align	6
.LBB122_8:                              ; =>This Inner Loop Header: Depth=1
	v_sub_nc_u32_e32 v13, v10, v7
	s_delay_alu instid0(VALU_DEP_1) | instskip(NEXT) | instid1(VALU_DEP_1)
	v_lshrrev_b32_e32 v14, 31, v13
	v_add_nc_u32_e32 v13, v13, v14
	s_delay_alu instid0(VALU_DEP_1) | instskip(NEXT) | instid1(VALU_DEP_1)
	v_ashrrev_i32_e32 v13, 1, v13
	v_add_nc_u32_e32 v13, v13, v7
	s_delay_alu instid0(VALU_DEP_1)
	v_add_nc_u32_e32 v14, v11, v13
	v_xad_u32 v15, v13, -1, v12
	v_add_nc_u32_e32 v16, 1, v13
	ds_load_u8 v14, v14
	ds_load_u8 v15, v15
	s_waitcnt lgkmcnt(0)
	v_cmp_lt_u16_e64 s0, v15, v14
	s_delay_alu instid0(VALU_DEP_1) | instskip(SKIP_1) | instid1(VALU_DEP_1)
	v_cndmask_b32_e64 v10, v10, v13, s0
	v_cndmask_b32_e64 v7, v16, v7, s0
	v_cmp_ge_i32_e64 s0, v7, v10
	s_delay_alu instid0(VALU_DEP_1) | instskip(NEXT) | instid1(SALU_CYCLE_1)
	s_or_b32 s1, s0, s1
	s_and_not1_b32 exec_lo, exec_lo, s1
	s_cbranch_execnz .LBB122_8
; %bb.9:
	s_or_b32 exec_lo, exec_lo, s1
.LBB122_10:
	s_delay_alu instid0(SALU_CYCLE_1) | instskip(SKIP_2) | instid1(VALU_DEP_2)
	s_or_b32 exec_lo, exec_lo, s2
	v_add_nc_u32_e32 v9, v6, v9
	v_add_nc_u32_e32 v11, v7, v8
	v_sub_nc_u32_e32 v12, v9, v7
	v_and_b32_e32 v7, 24, v0
	s_delay_alu instid0(VALU_DEP_3) | instskip(SKIP_1) | instid1(VALU_DEP_4)
	v_add_nc_u32_e32 v8, v2, v11
	v_cmp_le_i32_e64 s0, v6, v11
	v_add_nc_u32_e32 v10, v2, v12
	s_delay_alu instid0(VALU_DEP_4)
	v_min_i32_e32 v9, v3, v7
	v_cmp_gt_i32_e64 s2, v5, v12
	ds_load_u8 v13, v8
	ds_load_u8 v14, v10
	v_and_b32_e32 v10, 7, v0
	v_add_nc_u32_e32 v7, 4, v9
	; wave barrier
	s_delay_alu instid0(VALU_DEP_2) | instskip(NEXT) | instid1(VALU_DEP_2)
	v_min_i32_e32 v10, v3, v10
	v_min_i32_e32 v8, v3, v7
	s_delay_alu instid0(VALU_DEP_1) | instskip(SKIP_1) | instid1(VALU_DEP_2)
	v_add_nc_u32_e32 v7, 4, v8
	v_sub_nc_u32_e32 v6, v8, v9
	v_min_i32_e32 v7, v3, v7
	s_delay_alu instid0(VALU_DEP_2)
	v_min_i32_e32 v6, v10, v6
	s_waitcnt lgkmcnt(1)
	v_and_b32_e32 v15, 0xff, v13
	s_waitcnt lgkmcnt(0)
	v_and_b32_e32 v16, 0xff, v14
	v_sub_nc_u32_e32 v17, v7, v8
	s_delay_alu instid0(VALU_DEP_2) | instskip(NEXT) | instid1(VALU_DEP_2)
	v_cmp_lt_u16_e64 s1, v16, v15
	v_sub_nc_u32_e32 v11, v10, v17
	s_delay_alu instid0(VALU_DEP_2) | instskip(SKIP_1) | instid1(VALU_DEP_1)
	s_or_b32 s1, s0, s1
	v_cmp_ge_i32_e64 s0, v10, v17
	v_cndmask_b32_e64 v5, 0, v11, s0
	s_and_b32 s0, s2, s1
	s_mov_b32 s1, 0
	v_cndmask_b32_e64 v11, v13, v14, s0
	s_mov_b32 s2, exec_lo
	ds_store_b8 v4, v11
	; wave barrier
	v_cmpx_lt_i32_e64 v5, v6
	s_cbranch_execz .LBB122_14
; %bb.11:
	v_add_nc_u32_e32 v11, v2, v9
	v_add3_u32 v12, v2, v8, v10
	.p2align	6
.LBB122_12:                             ; =>This Inner Loop Header: Depth=1
	v_sub_nc_u32_e32 v13, v6, v5
	s_delay_alu instid0(VALU_DEP_1) | instskip(NEXT) | instid1(VALU_DEP_1)
	v_lshrrev_b32_e32 v14, 31, v13
	v_add_nc_u32_e32 v13, v13, v14
	s_delay_alu instid0(VALU_DEP_1) | instskip(NEXT) | instid1(VALU_DEP_1)
	v_ashrrev_i32_e32 v13, 1, v13
	v_add_nc_u32_e32 v13, v13, v5
	s_delay_alu instid0(VALU_DEP_1)
	v_add_nc_u32_e32 v14, v11, v13
	v_xad_u32 v15, v13, -1, v12
	v_add_nc_u32_e32 v16, 1, v13
	ds_load_u8 v14, v14
	ds_load_u8 v15, v15
	s_waitcnt lgkmcnt(0)
	v_cmp_lt_u16_e64 s0, v15, v14
	s_delay_alu instid0(VALU_DEP_1) | instskip(SKIP_1) | instid1(VALU_DEP_1)
	v_cndmask_b32_e64 v6, v6, v13, s0
	v_cndmask_b32_e64 v5, v16, v5, s0
	v_cmp_ge_i32_e64 s0, v5, v6
	s_delay_alu instid0(VALU_DEP_1) | instskip(NEXT) | instid1(SALU_CYCLE_1)
	s_or_b32 s1, s0, s1
	s_and_not1_b32 exec_lo, exec_lo, s1
	s_cbranch_execnz .LBB122_12
; %bb.13:
	s_or_b32 exec_lo, exec_lo, s1
.LBB122_14:
	s_delay_alu instid0(SALU_CYCLE_1) | instskip(SKIP_2) | instid1(VALU_DEP_2)
	s_or_b32 exec_lo, exec_lo, s2
	v_add_nc_u32_e32 v6, v8, v10
	v_add_nc_u32_e32 v11, v5, v9
	v_sub_nc_u32_e32 v12, v6, v5
	v_and_b32_e32 v5, 16, v0
	s_delay_alu instid0(VALU_DEP_3) | instskip(SKIP_1) | instid1(VALU_DEP_4)
	v_add_nc_u32_e32 v6, v2, v11
	v_cmp_le_i32_e64 s0, v8, v11
	v_add_nc_u32_e32 v10, v2, v12
	s_delay_alu instid0(VALU_DEP_4)
	v_min_i32_e32 v9, v3, v5
	v_cmp_gt_i32_e64 s2, v7, v12
	ds_load_u8 v13, v6
	ds_load_u8 v14, v10
	v_and_b32_e32 v10, 15, v0
	v_add_nc_u32_e32 v5, 8, v9
	; wave barrier
	s_delay_alu instid0(VALU_DEP_2) | instskip(NEXT) | instid1(VALU_DEP_2)
	v_min_i32_e32 v10, v3, v10
	v_min_i32_e32 v6, v3, v5
	s_delay_alu instid0(VALU_DEP_1) | instskip(SKIP_1) | instid1(VALU_DEP_2)
	v_add_nc_u32_e32 v5, 8, v6
	v_sub_nc_u32_e32 v8, v6, v9
	v_min_i32_e32 v5, v3, v5
	s_delay_alu instid0(VALU_DEP_2)
	v_min_i32_e32 v8, v10, v8
	s_waitcnt lgkmcnt(1)
	v_and_b32_e32 v15, 0xff, v13
	s_waitcnt lgkmcnt(0)
	v_and_b32_e32 v16, 0xff, v14
	v_sub_nc_u32_e32 v17, v5, v6
	s_delay_alu instid0(VALU_DEP_2) | instskip(NEXT) | instid1(VALU_DEP_2)
	v_cmp_lt_u16_e64 s1, v16, v15
	v_sub_nc_u32_e32 v11, v10, v17
	s_delay_alu instid0(VALU_DEP_2) | instskip(SKIP_1) | instid1(VALU_DEP_1)
	s_or_b32 s1, s0, s1
	v_cmp_ge_i32_e64 s0, v10, v17
	v_cndmask_b32_e64 v7, 0, v11, s0
	s_and_b32 s0, s2, s1
	s_mov_b32 s1, 0
	v_cndmask_b32_e64 v11, v13, v14, s0
	s_mov_b32 s2, exec_lo
	ds_store_b8 v4, v11
	; wave barrier
	v_cmpx_lt_i32_e64 v7, v8
	s_cbranch_execz .LBB122_18
; %bb.15:
	v_add_nc_u32_e32 v11, v2, v9
	v_add3_u32 v12, v2, v6, v10
	.p2align	6
.LBB122_16:                             ; =>This Inner Loop Header: Depth=1
	v_sub_nc_u32_e32 v13, v8, v7
	s_delay_alu instid0(VALU_DEP_1) | instskip(NEXT) | instid1(VALU_DEP_1)
	v_lshrrev_b32_e32 v14, 31, v13
	v_add_nc_u32_e32 v13, v13, v14
	s_delay_alu instid0(VALU_DEP_1) | instskip(NEXT) | instid1(VALU_DEP_1)
	v_ashrrev_i32_e32 v13, 1, v13
	v_add_nc_u32_e32 v13, v13, v7
	s_delay_alu instid0(VALU_DEP_1)
	v_add_nc_u32_e32 v14, v11, v13
	v_xad_u32 v15, v13, -1, v12
	v_add_nc_u32_e32 v16, 1, v13
	ds_load_u8 v14, v14
	ds_load_u8 v15, v15
	s_waitcnt lgkmcnt(0)
	v_cmp_lt_u16_e64 s0, v15, v14
	s_delay_alu instid0(VALU_DEP_1) | instskip(SKIP_1) | instid1(VALU_DEP_1)
	v_cndmask_b32_e64 v8, v8, v13, s0
	v_cndmask_b32_e64 v7, v16, v7, s0
	v_cmp_ge_i32_e64 s0, v7, v8
	s_delay_alu instid0(VALU_DEP_1) | instskip(NEXT) | instid1(SALU_CYCLE_1)
	s_or_b32 s1, s0, s1
	s_and_not1_b32 exec_lo, exec_lo, s1
	s_cbranch_execnz .LBB122_16
; %bb.17:
	s_or_b32 exec_lo, exec_lo, s1
.LBB122_18:
	s_delay_alu instid0(SALU_CYCLE_1) | instskip(SKIP_3) | instid1(VALU_DEP_3)
	s_or_b32 exec_lo, exec_lo, s2
	v_add_nc_u32_e32 v8, v6, v10
	v_add_nc_u32_e32 v10, v7, v9
	v_min_i32_e32 v9, 0, v3
	v_sub_nc_u32_e32 v11, v8, v7
	s_delay_alu instid0(VALU_DEP_3) | instskip(SKIP_1) | instid1(VALU_DEP_3)
	v_add_nc_u32_e32 v7, v2, v10
	v_cmp_le_i32_e64 s0, v6, v10
	v_add_nc_u32_e32 v8, v2, v11
	v_cmp_gt_i32_e64 s2, v5, v11
	ds_load_u8 v12, v7
	ds_load_u8 v13, v8
	v_add_nc_u32_e32 v7, 16, v9
	; wave barrier
	s_delay_alu instid0(VALU_DEP_1) | instskip(NEXT) | instid1(VALU_DEP_1)
	v_min_i32_e32 v8, v3, v7
	v_add_nc_u32_e32 v7, 16, v8
	v_sub_nc_u32_e32 v6, v8, v9
	s_delay_alu instid0(VALU_DEP_2)
	v_min_i32_e32 v7, v3, v7
	v_min_i32_e32 v3, v3, v0
	s_waitcnt lgkmcnt(1)
	v_and_b32_e32 v14, 0xff, v12
	s_waitcnt lgkmcnt(0)
	v_and_b32_e32 v15, 0xff, v13
	v_sub_nc_u32_e32 v16, v7, v8
	v_min_i32_e32 v6, v3, v6
	s_delay_alu instid0(VALU_DEP_3) | instskip(NEXT) | instid1(VALU_DEP_3)
	v_cmp_lt_u16_e64 s1, v15, v14
	v_sub_nc_u32_e32 v10, v3, v16
	s_delay_alu instid0(VALU_DEP_2) | instskip(SKIP_1) | instid1(VALU_DEP_1)
	s_or_b32 s1, s0, s1
	v_cmp_ge_i32_e64 s0, v3, v16
	v_cndmask_b32_e64 v5, 0, v10, s0
	s_and_b32 s0, s2, s1
	s_mov_b32 s1, 0
	v_cndmask_b32_e64 v10, v12, v13, s0
	s_mov_b32 s2, exec_lo
	ds_store_b8 v4, v10
	; wave barrier
	v_cmpx_lt_i32_e64 v5, v6
	s_cbranch_execnz .LBB122_21
; %bb.19:
	s_or_b32 exec_lo, exec_lo, s2
	s_and_saveexec_b32 s0, vcc_lo
	s_cbranch_execnz .LBB122_24
.LBB122_20:
	s_endpgm
.LBB122_21:
	v_add_nc_u32_e32 v4, v2, v9
	v_add3_u32 v10, v2, v8, v3
	.p2align	6
.LBB122_22:                             ; =>This Inner Loop Header: Depth=1
	v_sub_nc_u32_e32 v11, v6, v5
	s_delay_alu instid0(VALU_DEP_1) | instskip(NEXT) | instid1(VALU_DEP_1)
	v_lshrrev_b32_e32 v12, 31, v11
	v_add_nc_u32_e32 v11, v11, v12
	s_delay_alu instid0(VALU_DEP_1) | instskip(NEXT) | instid1(VALU_DEP_1)
	v_ashrrev_i32_e32 v11, 1, v11
	v_add_nc_u32_e32 v11, v11, v5
	s_delay_alu instid0(VALU_DEP_1)
	v_add_nc_u32_e32 v12, v4, v11
	v_xad_u32 v13, v11, -1, v10
	v_add_nc_u32_e32 v14, 1, v11
	ds_load_u8 v12, v12
	ds_load_u8 v13, v13
	s_waitcnt lgkmcnt(0)
	v_cmp_lt_u16_e64 s0, v13, v12
	s_delay_alu instid0(VALU_DEP_1) | instskip(SKIP_1) | instid1(VALU_DEP_1)
	v_cndmask_b32_e64 v6, v6, v11, s0
	v_cndmask_b32_e64 v5, v14, v5, s0
	v_cmp_ge_i32_e64 s0, v5, v6
	s_delay_alu instid0(VALU_DEP_1) | instskip(NEXT) | instid1(SALU_CYCLE_1)
	s_or_b32 s1, s0, s1
	s_and_not1_b32 exec_lo, exec_lo, s1
	s_cbranch_execnz .LBB122_22
; %bb.23:
	s_or_b32 exec_lo, exec_lo, s1
	s_delay_alu instid0(SALU_CYCLE_1)
	s_or_b32 exec_lo, exec_lo, s2
	s_and_saveexec_b32 s0, vcc_lo
	s_cbranch_execz .LBB122_20
.LBB122_24:
	v_add_nc_u32_e32 v3, v8, v3
	v_add_nc_u32_e32 v4, v5, v9
	v_add_co_u32 v1, s1, s6, v1
	s_delay_alu instid0(VALU_DEP_3) | instskip(NEXT) | instid1(VALU_DEP_3)
	v_sub_nc_u32_e32 v3, v3, v5
	v_cmp_le_i32_e32 vcc_lo, v8, v4
	s_delay_alu instid0(VALU_DEP_2)
	v_add_nc_u32_e32 v5, v2, v3
	v_add_nc_u32_e32 v2, v2, v4
	v_add_co_ci_u32_e64 v4, null, s7, 0, s1
	v_cmp_gt_i32_e64 s1, v7, v3
	ds_load_u8 v5, v5
	ds_load_u8 v2, v2
	s_waitcnt lgkmcnt(1)
	v_and_b32_e32 v6, 0xff, v5
	s_waitcnt lgkmcnt(0)
	v_and_b32_e32 v9, 0xff, v2
	s_delay_alu instid0(VALU_DEP_1) | instskip(NEXT) | instid1(VALU_DEP_1)
	v_cmp_lt_u16_e64 s0, v6, v9
	s_or_b32 s0, vcc_lo, s0
	v_add_co_u32 v0, vcc_lo, v1, v0
	v_add_co_ci_u32_e32 v1, vcc_lo, 0, v4, vcc_lo
	s_and_b32 vcc_lo, s1, s0
	v_cndmask_b32_e32 v2, v2, v5, vcc_lo
	global_store_b8 v[0:1], v2, off
	s_nop 0
	s_sendmsg sendmsg(MSG_DEALLOC_VGPRS)
	s_endpgm
	.section	.rodata,"a",@progbits
	.p2align	6, 0x0
	.amdhsa_kernel _Z19sort_keys_segmentedILj256ELj32ELj1EhN10test_utils4lessEEvPKT2_PS2_PKjT3_
		.amdhsa_group_segment_fixed_size 264
		.amdhsa_private_segment_fixed_size 0
		.amdhsa_kernarg_size 28
		.amdhsa_user_sgpr_count 15
		.amdhsa_user_sgpr_dispatch_ptr 0
		.amdhsa_user_sgpr_queue_ptr 0
		.amdhsa_user_sgpr_kernarg_segment_ptr 1
		.amdhsa_user_sgpr_dispatch_id 0
		.amdhsa_user_sgpr_private_segment_size 0
		.amdhsa_wavefront_size32 1
		.amdhsa_uses_dynamic_stack 0
		.amdhsa_enable_private_segment 0
		.amdhsa_system_sgpr_workgroup_id_x 1
		.amdhsa_system_sgpr_workgroup_id_y 0
		.amdhsa_system_sgpr_workgroup_id_z 0
		.amdhsa_system_sgpr_workgroup_info 0
		.amdhsa_system_vgpr_workitem_id 0
		.amdhsa_next_free_vgpr 18
		.amdhsa_next_free_sgpr 16
		.amdhsa_reserve_vcc 1
		.amdhsa_float_round_mode_32 0
		.amdhsa_float_round_mode_16_64 0
		.amdhsa_float_denorm_mode_32 3
		.amdhsa_float_denorm_mode_16_64 3
		.amdhsa_dx10_clamp 1
		.amdhsa_ieee_mode 1
		.amdhsa_fp16_overflow 0
		.amdhsa_workgroup_processor_mode 1
		.amdhsa_memory_ordered 1
		.amdhsa_forward_progress 0
		.amdhsa_shared_vgpr_count 0
		.amdhsa_exception_fp_ieee_invalid_op 0
		.amdhsa_exception_fp_denorm_src 0
		.amdhsa_exception_fp_ieee_div_zero 0
		.amdhsa_exception_fp_ieee_overflow 0
		.amdhsa_exception_fp_ieee_underflow 0
		.amdhsa_exception_fp_ieee_inexact 0
		.amdhsa_exception_int_div_zero 0
	.end_amdhsa_kernel
	.section	.text._Z19sort_keys_segmentedILj256ELj32ELj1EhN10test_utils4lessEEvPKT2_PS2_PKjT3_,"axG",@progbits,_Z19sort_keys_segmentedILj256ELj32ELj1EhN10test_utils4lessEEvPKT2_PS2_PKjT3_,comdat
.Lfunc_end122:
	.size	_Z19sort_keys_segmentedILj256ELj32ELj1EhN10test_utils4lessEEvPKT2_PS2_PKjT3_, .Lfunc_end122-_Z19sort_keys_segmentedILj256ELj32ELj1EhN10test_utils4lessEEvPKT2_PS2_PKjT3_
                                        ; -- End function
	.section	.AMDGPU.csdata,"",@progbits
; Kernel info:
; codeLenInByte = 2040
; NumSgprs: 18
; NumVgprs: 18
; ScratchSize: 0
; MemoryBound: 0
; FloatMode: 240
; IeeeMode: 1
; LDSByteSize: 264 bytes/workgroup (compile time only)
; SGPRBlocks: 2
; VGPRBlocks: 2
; NumSGPRsForWavesPerEU: 18
; NumVGPRsForWavesPerEU: 18
; Occupancy: 16
; WaveLimiterHint : 0
; COMPUTE_PGM_RSRC2:SCRATCH_EN: 0
; COMPUTE_PGM_RSRC2:USER_SGPR: 15
; COMPUTE_PGM_RSRC2:TRAP_HANDLER: 0
; COMPUTE_PGM_RSRC2:TGID_X_EN: 1
; COMPUTE_PGM_RSRC2:TGID_Y_EN: 0
; COMPUTE_PGM_RSRC2:TGID_Z_EN: 0
; COMPUTE_PGM_RSRC2:TIDIG_COMP_CNT: 0
	.section	.text._Z20sort_pairs_segmentedILj256ELj32ELj1EhN10test_utils4lessEEvPKT2_PS2_PKjT3_,"axG",@progbits,_Z20sort_pairs_segmentedILj256ELj32ELj1EhN10test_utils4lessEEvPKT2_PS2_PKjT3_,comdat
	.protected	_Z20sort_pairs_segmentedILj256ELj32ELj1EhN10test_utils4lessEEvPKT2_PS2_PKjT3_ ; -- Begin function _Z20sort_pairs_segmentedILj256ELj32ELj1EhN10test_utils4lessEEvPKT2_PS2_PKjT3_
	.globl	_Z20sort_pairs_segmentedILj256ELj32ELj1EhN10test_utils4lessEEvPKT2_PS2_PKjT3_
	.p2align	8
	.type	_Z20sort_pairs_segmentedILj256ELj32ELj1EhN10test_utils4lessEEvPKT2_PS2_PKjT3_,@function
_Z20sort_pairs_segmentedILj256ELj32ELj1EhN10test_utils4lessEEvPKT2_PS2_PKjT3_: ; @_Z20sort_pairs_segmentedILj256ELj32ELj1EhN10test_utils4lessEEvPKT2_PS2_PKjT3_
; %bb.0:
	s_clause 0x1
	s_load_b64 s[2:3], s[0:1], 0x10
	s_load_b128 s[4:7], s[0:1], 0x0
	v_lshrrev_b32_e32 v2, 5, v0
	v_mov_b32_e32 v5, 0
	s_delay_alu instid0(VALU_DEP_2) | instskip(NEXT) | instid1(VALU_DEP_1)
	v_lshl_or_b32 v4, s15, 3, v2
	v_lshlrev_b64 v[0:1], 2, v[4:5]
	s_waitcnt lgkmcnt(0)
	s_delay_alu instid0(VALU_DEP_1) | instskip(NEXT) | instid1(VALU_DEP_2)
	v_add_co_u32 v0, vcc_lo, s2, v0
	v_add_co_ci_u32_e32 v1, vcc_lo, s3, v1, vcc_lo
	global_load_b32 v3, v[0:1], off
	v_mbcnt_lo_u32_b32 v0, -1, 0
	v_lshlrev_b32_e32 v1, 5, v4
                                        ; implicit-def: $vgpr4
	s_waitcnt vmcnt(0)
	s_delay_alu instid0(VALU_DEP_2)
	v_cmp_lt_u32_e32 vcc_lo, v0, v3
	s_and_saveexec_b32 s1, vcc_lo
	s_cbranch_execz .LBB123_2
; %bb.1:
	v_add_co_u32 v4, s0, s4, v1
	s_delay_alu instid0(VALU_DEP_1) | instskip(NEXT) | instid1(VALU_DEP_2)
	v_add_co_ci_u32_e64 v5, null, s5, 0, s0
	v_add_co_u32 v4, s0, v4, v0
	s_delay_alu instid0(VALU_DEP_1)
	v_add_co_ci_u32_e64 v5, s0, 0, v5, s0
	global_load_u8 v4, v[4:5], off
.LBB123_2:
	s_or_b32 exec_lo, exec_lo, s1
	v_and_b32_e32 v5, 30, v0
	v_and_b32_e32 v8, 1, v0
	s_mov_b32 s1, exec_lo
	; wave barrier
	s_delay_alu instid0(VALU_DEP_2) | instskip(NEXT) | instid1(VALU_DEP_2)
	v_min_i32_e32 v7, v3, v5
	v_min_i32_e32 v8, v3, v8
	s_delay_alu instid0(VALU_DEP_2) | instskip(NEXT) | instid1(VALU_DEP_1)
	v_add_nc_u32_e32 v5, 1, v7
	v_min_i32_e32 v5, v3, v5
	s_delay_alu instid0(VALU_DEP_1) | instskip(SKIP_1) | instid1(VALU_DEP_2)
	v_add_nc_u32_e32 v6, 1, v5
	v_sub_nc_u32_e32 v11, v5, v7
	v_min_i32_e32 v6, v3, v6
	s_delay_alu instid0(VALU_DEP_1) | instskip(NEXT) | instid1(VALU_DEP_1)
	v_sub_nc_u32_e32 v9, v6, v5
	v_sub_nc_u32_e32 v10, v8, v9
	v_cmp_ge_i32_e64 s0, v8, v9
	s_delay_alu instid0(VALU_DEP_1)
	v_cndmask_b32_e64 v9, 0, v10, s0
	v_min_i32_e32 v10, v8, v11
	v_mad_u32_u24 v11, v2, 33, v0
	v_mul_u32_u24_e32 v2, 33, v2
	s_waitcnt vmcnt(0)
	ds_store_b8 v11, v4
	; wave barrier
	v_cmpx_lt_i32_e64 v9, v10
	s_cbranch_execz .LBB123_6
; %bb.3:
	v_add_nc_u32_e32 v11, v2, v7
	v_add3_u32 v12, v2, v5, v8
	s_mov_b32 s2, 0
	.p2align	6
.LBB123_4:                              ; =>This Inner Loop Header: Depth=1
	v_sub_nc_u32_e32 v13, v10, v9
	s_delay_alu instid0(VALU_DEP_1) | instskip(NEXT) | instid1(VALU_DEP_1)
	v_lshrrev_b32_e32 v14, 31, v13
	v_add_nc_u32_e32 v13, v13, v14
	s_delay_alu instid0(VALU_DEP_1) | instskip(NEXT) | instid1(VALU_DEP_1)
	v_ashrrev_i32_e32 v13, 1, v13
	v_add_nc_u32_e32 v13, v13, v9
	s_delay_alu instid0(VALU_DEP_1)
	v_add_nc_u32_e32 v14, v11, v13
	v_xad_u32 v15, v13, -1, v12
	v_add_nc_u32_e32 v16, 1, v13
	ds_load_u8 v14, v14
	ds_load_u8 v15, v15
	s_waitcnt lgkmcnt(0)
	v_cmp_lt_u16_e64 s0, v15, v14
	s_delay_alu instid0(VALU_DEP_1) | instskip(SKIP_1) | instid1(VALU_DEP_1)
	v_cndmask_b32_e64 v10, v10, v13, s0
	v_cndmask_b32_e64 v9, v16, v9, s0
	v_cmp_ge_i32_e64 s0, v9, v10
	s_delay_alu instid0(VALU_DEP_1) | instskip(NEXT) | instid1(SALU_CYCLE_1)
	s_or_b32 s2, s0, s2
	s_and_not1_b32 exec_lo, exec_lo, s2
	s_cbranch_execnz .LBB123_4
; %bb.5:
	s_or_b32 exec_lo, exec_lo, s2
.LBB123_6:
	s_delay_alu instid0(SALU_CYCLE_1) | instskip(SKIP_2) | instid1(VALU_DEP_2)
	s_or_b32 exec_lo, exec_lo, s1
	v_add_nc_u32_e32 v8, v5, v8
	v_add_nc_u32_e32 v7, v9, v7
	v_sub_nc_u32_e32 v9, v8, v9
	s_delay_alu instid0(VALU_DEP_2) | instskip(SKIP_1) | instid1(VALU_DEP_3)
	v_add_nc_u32_e32 v8, v2, v7
	v_cmp_le_i32_e64 s0, v5, v7
	v_add_nc_u32_e32 v10, v2, v9
	v_cmp_gt_i32_e64 s2, v6, v9
	v_add_nc_u16 v6, v4, 1
	v_add_nc_u32_e32 v4, v2, v0
	ds_load_u8 v11, v8
	ds_load_u8 v10, v10
	v_and_b32_e32 v8, 28, v0
	; wave barrier
	ds_store_b8 v4, v6
	v_and_b32_e32 v6, 3, v0
	v_min_i32_e32 v8, v3, v8
	; wave barrier
	s_delay_alu instid0(VALU_DEP_1) | instskip(NEXT) | instid1(VALU_DEP_1)
	v_add_nc_u32_e32 v14, 2, v8
	v_min_i32_e32 v5, v3, v14
	s_waitcnt lgkmcnt(2)
	v_and_b32_e32 v12, 0xff, v11
	s_waitcnt lgkmcnt(1)
	v_and_b32_e32 v13, 0xff, v10
	s_delay_alu instid0(VALU_DEP_1) | instskip(SKIP_1) | instid1(VALU_DEP_2)
	v_cmp_lt_u16_e64 s1, v13, v12
	v_add_nc_u32_e32 v12, 2, v5
	s_or_b32 s0, s0, s1
	s_mov_b32 s1, exec_lo
	s_and_b32 s0, s2, s0
	s_mov_b32 s2, 0
	v_cndmask_b32_e64 v9, v7, v9, s0
	v_cndmask_b32_e64 v13, v11, v10, s0
	v_min_i32_e32 v7, v3, v12
	v_sub_nc_u32_e32 v12, v5, v8
	s_delay_alu instid0(VALU_DEP_4) | instskip(SKIP_1) | instid1(VALU_DEP_4)
	v_add_nc_u32_e32 v10, v2, v9
	v_min_i32_e32 v9, v3, v6
	v_sub_nc_u32_e32 v11, v7, v5
	ds_load_u8 v6, v10
	v_sub_nc_u32_e32 v10, v9, v11
	v_cmp_ge_i32_e64 s0, v9, v11
	v_min_i32_e32 v11, v9, v12
	; wave barrier
	ds_store_b8 v4, v13
	v_cndmask_b32_e64 v10, 0, v10, s0
	; wave barrier
	s_delay_alu instid0(VALU_DEP_1)
	v_cmpx_lt_i32_e64 v10, v11
	s_cbranch_execz .LBB123_10
; %bb.7:
	v_add_nc_u32_e32 v12, v2, v8
	v_add3_u32 v13, v2, v5, v9
	.p2align	6
.LBB123_8:                              ; =>This Inner Loop Header: Depth=1
	v_sub_nc_u32_e32 v14, v11, v10
	s_delay_alu instid0(VALU_DEP_1) | instskip(NEXT) | instid1(VALU_DEP_1)
	v_lshrrev_b32_e32 v15, 31, v14
	v_add_nc_u32_e32 v14, v14, v15
	s_delay_alu instid0(VALU_DEP_1) | instskip(NEXT) | instid1(VALU_DEP_1)
	v_ashrrev_i32_e32 v14, 1, v14
	v_add_nc_u32_e32 v14, v14, v10
	s_delay_alu instid0(VALU_DEP_1)
	v_add_nc_u32_e32 v15, v12, v14
	v_xad_u32 v16, v14, -1, v13
	v_add_nc_u32_e32 v17, 1, v14
	ds_load_u8 v15, v15
	ds_load_u8 v16, v16
	s_waitcnt lgkmcnt(0)
	v_cmp_lt_u16_e64 s0, v16, v15
	s_delay_alu instid0(VALU_DEP_1) | instskip(SKIP_1) | instid1(VALU_DEP_1)
	v_cndmask_b32_e64 v11, v11, v14, s0
	v_cndmask_b32_e64 v10, v17, v10, s0
	v_cmp_ge_i32_e64 s0, v10, v11
	s_delay_alu instid0(VALU_DEP_1) | instskip(NEXT) | instid1(SALU_CYCLE_1)
	s_or_b32 s2, s0, s2
	s_and_not1_b32 exec_lo, exec_lo, s2
	s_cbranch_execnz .LBB123_8
; %bb.9:
	s_or_b32 exec_lo, exec_lo, s2
.LBB123_10:
	s_delay_alu instid0(SALU_CYCLE_1) | instskip(SKIP_2) | instid1(VALU_DEP_2)
	s_or_b32 exec_lo, exec_lo, s1
	v_add_nc_u32_e32 v9, v5, v9
	v_add_nc_u32_e32 v11, v10, v8
	v_sub_nc_u32_e32 v9, v9, v10
	s_delay_alu instid0(VALU_DEP_2) | instskip(SKIP_1) | instid1(VALU_DEP_3)
	v_add_nc_u32_e32 v8, v2, v11
	v_cmp_le_i32_e64 s0, v5, v11
	v_add_nc_u32_e32 v10, v2, v9
	v_cmp_gt_i32_e64 s2, v7, v9
	ds_load_u8 v12, v8
	ds_load_u8 v10, v10
	v_and_b32_e32 v8, 24, v0
	; wave barrier
	s_waitcnt lgkmcnt(3)
	ds_store_b8 v4, v6
	v_and_b32_e32 v6, 7, v0
	v_min_i32_e32 v8, v3, v8
	; wave barrier
	s_delay_alu instid0(VALU_DEP_1) | instskip(NEXT) | instid1(VALU_DEP_1)
	v_add_nc_u32_e32 v15, 4, v8
	v_min_i32_e32 v5, v3, v15
	s_waitcnt lgkmcnt(2)
	v_and_b32_e32 v13, 0xff, v12
	s_waitcnt lgkmcnt(1)
	v_and_b32_e32 v14, 0xff, v10
	v_add_nc_u32_e32 v7, 4, v5
	s_delay_alu instid0(VALU_DEP_2) | instskip(NEXT) | instid1(VALU_DEP_2)
	v_cmp_lt_u16_e64 s1, v14, v13
	v_min_i32_e32 v7, v3, v7
	v_sub_nc_u32_e32 v13, v5, v8
	s_delay_alu instid0(VALU_DEP_3)
	s_or_b32 s0, s0, s1
	s_mov_b32 s1, exec_lo
	s_and_b32 s0, s2, s0
	s_mov_b32 s2, 0
	v_cndmask_b32_e64 v9, v11, v9, s0
	v_cndmask_b32_e64 v12, v12, v10, s0
	v_sub_nc_u32_e32 v11, v7, v5
	s_delay_alu instid0(VALU_DEP_3)
	v_add_nc_u32_e32 v10, v2, v9
	v_min_i32_e32 v9, v3, v6
	ds_load_u8 v6, v10
	v_sub_nc_u32_e32 v10, v9, v11
	v_cmp_ge_i32_e64 s0, v9, v11
	v_min_i32_e32 v11, v9, v13
	; wave barrier
	ds_store_b8 v4, v12
	v_cndmask_b32_e64 v10, 0, v10, s0
	; wave barrier
	s_delay_alu instid0(VALU_DEP_1)
	v_cmpx_lt_i32_e64 v10, v11
	s_cbranch_execz .LBB123_14
; %bb.11:
	v_add_nc_u32_e32 v12, v2, v8
	v_add3_u32 v13, v2, v5, v9
	.p2align	6
.LBB123_12:                             ; =>This Inner Loop Header: Depth=1
	v_sub_nc_u32_e32 v14, v11, v10
	s_delay_alu instid0(VALU_DEP_1) | instskip(NEXT) | instid1(VALU_DEP_1)
	v_lshrrev_b32_e32 v15, 31, v14
	v_add_nc_u32_e32 v14, v14, v15
	s_delay_alu instid0(VALU_DEP_1) | instskip(NEXT) | instid1(VALU_DEP_1)
	v_ashrrev_i32_e32 v14, 1, v14
	v_add_nc_u32_e32 v14, v14, v10
	s_delay_alu instid0(VALU_DEP_1)
	v_add_nc_u32_e32 v15, v12, v14
	v_xad_u32 v16, v14, -1, v13
	v_add_nc_u32_e32 v17, 1, v14
	ds_load_u8 v15, v15
	ds_load_u8 v16, v16
	s_waitcnt lgkmcnt(0)
	v_cmp_lt_u16_e64 s0, v16, v15
	s_delay_alu instid0(VALU_DEP_1) | instskip(SKIP_1) | instid1(VALU_DEP_1)
	v_cndmask_b32_e64 v11, v11, v14, s0
	v_cndmask_b32_e64 v10, v17, v10, s0
	v_cmp_ge_i32_e64 s0, v10, v11
	s_delay_alu instid0(VALU_DEP_1) | instskip(NEXT) | instid1(SALU_CYCLE_1)
	s_or_b32 s2, s0, s2
	s_and_not1_b32 exec_lo, exec_lo, s2
	s_cbranch_execnz .LBB123_12
; %bb.13:
	s_or_b32 exec_lo, exec_lo, s2
.LBB123_14:
	s_delay_alu instid0(SALU_CYCLE_1) | instskip(SKIP_2) | instid1(VALU_DEP_2)
	s_or_b32 exec_lo, exec_lo, s1
	v_add_nc_u32_e32 v9, v5, v9
	v_add_nc_u32_e32 v11, v10, v8
	v_sub_nc_u32_e32 v9, v9, v10
	s_delay_alu instid0(VALU_DEP_2) | instskip(SKIP_1) | instid1(VALU_DEP_3)
	v_add_nc_u32_e32 v8, v2, v11
	v_cmp_le_i32_e64 s0, v5, v11
	v_add_nc_u32_e32 v10, v2, v9
	v_cmp_gt_i32_e64 s2, v7, v9
	ds_load_u8 v12, v8
	ds_load_u8 v10, v10
	v_and_b32_e32 v8, 16, v0
	; wave barrier
	s_waitcnt lgkmcnt(3)
	ds_store_b8 v4, v6
	v_and_b32_e32 v6, 15, v0
	v_min_i32_e32 v8, v3, v8
	; wave barrier
	s_delay_alu instid0(VALU_DEP_1) | instskip(NEXT) | instid1(VALU_DEP_1)
	v_add_nc_u32_e32 v15, 8, v8
	v_min_i32_e32 v5, v3, v15
	s_waitcnt lgkmcnt(2)
	v_and_b32_e32 v13, 0xff, v12
	s_waitcnt lgkmcnt(1)
	v_and_b32_e32 v14, 0xff, v10
	v_add_nc_u32_e32 v7, 8, v5
	s_delay_alu instid0(VALU_DEP_2) | instskip(NEXT) | instid1(VALU_DEP_2)
	v_cmp_lt_u16_e64 s1, v14, v13
	v_min_i32_e32 v7, v3, v7
	v_sub_nc_u32_e32 v13, v5, v8
	s_delay_alu instid0(VALU_DEP_3)
	s_or_b32 s0, s0, s1
	s_mov_b32 s1, exec_lo
	s_and_b32 s0, s2, s0
	s_mov_b32 s2, 0
	v_cndmask_b32_e64 v9, v11, v9, s0
	v_cndmask_b32_e64 v12, v12, v10, s0
	v_sub_nc_u32_e32 v11, v7, v5
	s_delay_alu instid0(VALU_DEP_3)
	v_add_nc_u32_e32 v10, v2, v9
	v_min_i32_e32 v9, v3, v6
	ds_load_u8 v6, v10
	v_sub_nc_u32_e32 v10, v9, v11
	v_cmp_ge_i32_e64 s0, v9, v11
	v_min_i32_e32 v11, v9, v13
	; wave barrier
	ds_store_b8 v4, v12
	v_cndmask_b32_e64 v10, 0, v10, s0
	; wave barrier
	s_delay_alu instid0(VALU_DEP_1)
	v_cmpx_lt_i32_e64 v10, v11
	s_cbranch_execz .LBB123_18
; %bb.15:
	v_add_nc_u32_e32 v12, v2, v8
	v_add3_u32 v13, v2, v5, v9
	.p2align	6
.LBB123_16:                             ; =>This Inner Loop Header: Depth=1
	v_sub_nc_u32_e32 v14, v11, v10
	s_delay_alu instid0(VALU_DEP_1) | instskip(NEXT) | instid1(VALU_DEP_1)
	v_lshrrev_b32_e32 v15, 31, v14
	v_add_nc_u32_e32 v14, v14, v15
	s_delay_alu instid0(VALU_DEP_1) | instskip(NEXT) | instid1(VALU_DEP_1)
	v_ashrrev_i32_e32 v14, 1, v14
	v_add_nc_u32_e32 v14, v14, v10
	s_delay_alu instid0(VALU_DEP_1)
	v_add_nc_u32_e32 v15, v12, v14
	v_xad_u32 v16, v14, -1, v13
	v_add_nc_u32_e32 v17, 1, v14
	ds_load_u8 v15, v15
	ds_load_u8 v16, v16
	s_waitcnt lgkmcnt(0)
	v_cmp_lt_u16_e64 s0, v16, v15
	s_delay_alu instid0(VALU_DEP_1) | instskip(SKIP_1) | instid1(VALU_DEP_1)
	v_cndmask_b32_e64 v11, v11, v14, s0
	v_cndmask_b32_e64 v10, v17, v10, s0
	v_cmp_ge_i32_e64 s0, v10, v11
	s_delay_alu instid0(VALU_DEP_1) | instskip(NEXT) | instid1(SALU_CYCLE_1)
	s_or_b32 s2, s0, s2
	s_and_not1_b32 exec_lo, exec_lo, s2
	s_cbranch_execnz .LBB123_16
; %bb.17:
	s_or_b32 exec_lo, exec_lo, s2
.LBB123_18:
	s_delay_alu instid0(SALU_CYCLE_1) | instskip(SKIP_2) | instid1(VALU_DEP_2)
	s_or_b32 exec_lo, exec_lo, s1
	v_add_nc_u32_e32 v9, v5, v9
	v_add_nc_u32_e32 v11, v10, v8
	v_sub_nc_u32_e32 v9, v9, v10
	s_delay_alu instid0(VALU_DEP_2) | instskip(SKIP_1) | instid1(VALU_DEP_3)
	v_add_nc_u32_e32 v8, v2, v11
	v_cmp_le_i32_e64 s0, v5, v11
	v_add_nc_u32_e32 v10, v2, v9
	v_cmp_gt_i32_e64 s2, v7, v9
	ds_load_u8 v12, v8
	ds_load_u8 v10, v10
	v_min_i32_e32 v8, 0, v3
	; wave barrier
	s_waitcnt lgkmcnt(3)
	ds_store_b8 v4, v6
	v_add_nc_u32_e32 v5, 16, v8
	; wave barrier
	s_delay_alu instid0(VALU_DEP_1) | instskip(NEXT) | instid1(VALU_DEP_1)
	v_min_i32_e32 v5, v3, v5
	v_add_nc_u32_e32 v7, 16, v5
	s_waitcnt lgkmcnt(2)
	v_and_b32_e32 v13, 0xff, v12
	s_waitcnt lgkmcnt(1)
	v_and_b32_e32 v14, 0xff, v10
	v_min_i32_e32 v6, v3, v7
	v_min_i32_e32 v7, v3, v0
	s_delay_alu instid0(VALU_DEP_3) | instskip(NEXT) | instid1(VALU_DEP_1)
	v_cmp_lt_u16_e64 s1, v14, v13
	s_or_b32 s0, s0, s1
	s_mov_b32 s1, exec_lo
	s_and_b32 s0, s2, s0
	s_mov_b32 s2, 0
	v_cndmask_b32_e64 v9, v11, v9, s0
	v_cndmask_b32_e64 v12, v12, v10, s0
	v_sub_nc_u32_e32 v10, v6, v5
	v_sub_nc_u32_e32 v11, v5, v8
	s_delay_alu instid0(VALU_DEP_4) | instskip(NEXT) | instid1(VALU_DEP_3)
	v_add_nc_u32_e32 v9, v2, v9
	v_cmp_ge_i32_e64 s0, v7, v10
	ds_load_u8 v3, v9
	v_sub_nc_u32_e32 v9, v7, v10
	v_min_i32_e32 v10, v7, v11
	; wave barrier
	ds_store_b8 v4, v12
	v_cndmask_b32_e64 v9, 0, v9, s0
	; wave barrier
	s_delay_alu instid0(VALU_DEP_1)
	v_cmpx_lt_i32_e64 v9, v10
	s_cbranch_execz .LBB123_22
; %bb.19:
	v_add_nc_u32_e32 v11, v2, v8
	v_add3_u32 v12, v2, v5, v7
	.p2align	6
.LBB123_20:                             ; =>This Inner Loop Header: Depth=1
	v_sub_nc_u32_e32 v13, v10, v9
	s_delay_alu instid0(VALU_DEP_1) | instskip(NEXT) | instid1(VALU_DEP_1)
	v_lshrrev_b32_e32 v14, 31, v13
	v_add_nc_u32_e32 v13, v13, v14
	s_delay_alu instid0(VALU_DEP_1) | instskip(NEXT) | instid1(VALU_DEP_1)
	v_ashrrev_i32_e32 v13, 1, v13
	v_add_nc_u32_e32 v13, v13, v9
	s_delay_alu instid0(VALU_DEP_1)
	v_add_nc_u32_e32 v14, v11, v13
	v_xad_u32 v15, v13, -1, v12
	v_add_nc_u32_e32 v16, 1, v13
	ds_load_u8 v14, v14
	ds_load_u8 v15, v15
	s_waitcnt lgkmcnt(0)
	v_cmp_lt_u16_e64 s0, v15, v14
	s_delay_alu instid0(VALU_DEP_1) | instskip(SKIP_1) | instid1(VALU_DEP_1)
	v_cndmask_b32_e64 v10, v10, v13, s0
	v_cndmask_b32_e64 v9, v16, v9, s0
	v_cmp_ge_i32_e64 s0, v9, v10
	s_delay_alu instid0(VALU_DEP_1) | instskip(NEXT) | instid1(SALU_CYCLE_1)
	s_or_b32 s2, s0, s2
	s_and_not1_b32 exec_lo, exec_lo, s2
	s_cbranch_execnz .LBB123_20
; %bb.21:
	s_or_b32 exec_lo, exec_lo, s2
.LBB123_22:
	s_delay_alu instid0(SALU_CYCLE_1) | instskip(SKIP_2) | instid1(VALU_DEP_2)
	s_or_b32 exec_lo, exec_lo, s1
	v_add_nc_u32_e32 v10, v5, v7
	v_add_nc_u32_e32 v7, v9, v8
	v_sub_nc_u32_e32 v8, v10, v9
	s_delay_alu instid0(VALU_DEP_2) | instskip(NEXT) | instid1(VALU_DEP_2)
	v_add_nc_u32_e32 v9, v2, v7
	v_add_nc_u32_e32 v10, v2, v8
	ds_load_u8 v9, v9
	ds_load_u8 v10, v10
	; wave barrier
	s_waitcnt lgkmcnt(3)
	ds_store_b8 v4, v3
	; wave barrier
	s_and_saveexec_b32 s0, vcc_lo
	s_cbranch_execz .LBB123_24
; %bb.23:
	s_waitcnt lgkmcnt(2)
	v_and_b32_e32 v3, 0xff, v9
	s_waitcnt lgkmcnt(1)
	v_and_b32_e32 v4, 0xff, v10
	v_cmp_le_i32_e32 vcc_lo, v5, v7
	v_cmp_gt_i32_e64 s1, v6, v8
	s_delay_alu instid0(VALU_DEP_3) | instskip(NEXT) | instid1(VALU_DEP_1)
	v_cmp_lt_u16_e64 s0, v4, v3
	s_or_b32 s0, vcc_lo, s0
	s_delay_alu instid0(VALU_DEP_2) | instid1(SALU_CYCLE_1)
	s_and_b32 vcc_lo, s1, s0
	v_add_co_u32 v1, s0, s6, v1
	v_dual_cndmask_b32 v4, v7, v8 :: v_dual_cndmask_b32 v3, v9, v10
	s_delay_alu instid0(VALU_DEP_2) | instskip(NEXT) | instid1(VALU_DEP_2)
	v_add_co_u32 v0, vcc_lo, v1, v0
	v_add_nc_u32_e32 v2, v2, v4
	v_add_co_ci_u32_e64 v4, null, s7, 0, s0
	ds_load_u8 v2, v2
	v_add_co_ci_u32_e32 v1, vcc_lo, 0, v4, vcc_lo
	s_waitcnt lgkmcnt(0)
	v_add_nc_u16 v2, v2, v3
	global_store_b8 v[0:1], v2, off
.LBB123_24:
	s_nop 0
	s_sendmsg sendmsg(MSG_DEALLOC_VGPRS)
	s_endpgm
	.section	.rodata,"a",@progbits
	.p2align	6, 0x0
	.amdhsa_kernel _Z20sort_pairs_segmentedILj256ELj32ELj1EhN10test_utils4lessEEvPKT2_PS2_PKjT3_
		.amdhsa_group_segment_fixed_size 264
		.amdhsa_private_segment_fixed_size 0
		.amdhsa_kernarg_size 28
		.amdhsa_user_sgpr_count 15
		.amdhsa_user_sgpr_dispatch_ptr 0
		.amdhsa_user_sgpr_queue_ptr 0
		.amdhsa_user_sgpr_kernarg_segment_ptr 1
		.amdhsa_user_sgpr_dispatch_id 0
		.amdhsa_user_sgpr_private_segment_size 0
		.amdhsa_wavefront_size32 1
		.amdhsa_uses_dynamic_stack 0
		.amdhsa_enable_private_segment 0
		.amdhsa_system_sgpr_workgroup_id_x 1
		.amdhsa_system_sgpr_workgroup_id_y 0
		.amdhsa_system_sgpr_workgroup_id_z 0
		.amdhsa_system_sgpr_workgroup_info 0
		.amdhsa_system_vgpr_workitem_id 0
		.amdhsa_next_free_vgpr 18
		.amdhsa_next_free_sgpr 16
		.amdhsa_reserve_vcc 1
		.amdhsa_float_round_mode_32 0
		.amdhsa_float_round_mode_16_64 0
		.amdhsa_float_denorm_mode_32 3
		.amdhsa_float_denorm_mode_16_64 3
		.amdhsa_dx10_clamp 1
		.amdhsa_ieee_mode 1
		.amdhsa_fp16_overflow 0
		.amdhsa_workgroup_processor_mode 1
		.amdhsa_memory_ordered 1
		.amdhsa_forward_progress 0
		.amdhsa_shared_vgpr_count 0
		.amdhsa_exception_fp_ieee_invalid_op 0
		.amdhsa_exception_fp_denorm_src 0
		.amdhsa_exception_fp_ieee_div_zero 0
		.amdhsa_exception_fp_ieee_overflow 0
		.amdhsa_exception_fp_ieee_underflow 0
		.amdhsa_exception_fp_ieee_inexact 0
		.amdhsa_exception_int_div_zero 0
	.end_amdhsa_kernel
	.section	.text._Z20sort_pairs_segmentedILj256ELj32ELj1EhN10test_utils4lessEEvPKT2_PS2_PKjT3_,"axG",@progbits,_Z20sort_pairs_segmentedILj256ELj32ELj1EhN10test_utils4lessEEvPKT2_PS2_PKjT3_,comdat
.Lfunc_end123:
	.size	_Z20sort_pairs_segmentedILj256ELj32ELj1EhN10test_utils4lessEEvPKT2_PS2_PKjT3_, .Lfunc_end123-_Z20sort_pairs_segmentedILj256ELj32ELj1EhN10test_utils4lessEEvPKT2_PS2_PKjT3_
                                        ; -- End function
	.section	.AMDGPU.csdata,"",@progbits
; Kernel info:
; codeLenInByte = 2196
; NumSgprs: 18
; NumVgprs: 18
; ScratchSize: 0
; MemoryBound: 0
; FloatMode: 240
; IeeeMode: 1
; LDSByteSize: 264 bytes/workgroup (compile time only)
; SGPRBlocks: 2
; VGPRBlocks: 2
; NumSGPRsForWavesPerEU: 18
; NumVGPRsForWavesPerEU: 18
; Occupancy: 16
; WaveLimiterHint : 0
; COMPUTE_PGM_RSRC2:SCRATCH_EN: 0
; COMPUTE_PGM_RSRC2:USER_SGPR: 15
; COMPUTE_PGM_RSRC2:TRAP_HANDLER: 0
; COMPUTE_PGM_RSRC2:TGID_X_EN: 1
; COMPUTE_PGM_RSRC2:TGID_Y_EN: 0
; COMPUTE_PGM_RSRC2:TGID_Z_EN: 0
; COMPUTE_PGM_RSRC2:TIDIG_COMP_CNT: 0
	.section	.text._Z9sort_keysILj256ELj32ELj4EhN10test_utils4lessEEvPKT2_PS2_T3_,"axG",@progbits,_Z9sort_keysILj256ELj32ELj4EhN10test_utils4lessEEvPKT2_PS2_T3_,comdat
	.protected	_Z9sort_keysILj256ELj32ELj4EhN10test_utils4lessEEvPKT2_PS2_T3_ ; -- Begin function _Z9sort_keysILj256ELj32ELj4EhN10test_utils4lessEEvPKT2_PS2_T3_
	.globl	_Z9sort_keysILj256ELj32ELj4EhN10test_utils4lessEEvPKT2_PS2_T3_
	.p2align	8
	.type	_Z9sort_keysILj256ELj32ELj4EhN10test_utils4lessEEvPKT2_PS2_T3_,@function
_Z9sort_keysILj256ELj32ELj4EhN10test_utils4lessEEvPKT2_PS2_T3_: ; @_Z9sort_keysILj256ELj32ELj4EhN10test_utils4lessEEvPKT2_PS2_T3_
; %bb.0:
	s_load_b128 s[4:7], s[0:1], 0x0
	s_lshl_b32 s8, s15, 10
	v_lshlrev_b32_e32 v1, 2, v0
	v_lshrrev_b32_e32 v0, 5, v0
	s_waitcnt lgkmcnt(0)
	s_add_u32 s0, s4, s8
	s_addc_u32 s1, s5, 0
	global_load_b32 v2, v1, s[0:1]
	s_mov_b32 s1, exec_lo
	; wave barrier
	s_waitcnt vmcnt(0)
	v_lshrrev_b32_e32 v3, 8, v2
	v_and_b32_e32 v4, 0xff, v2
	v_perm_b32 v5, v2, v2, 0x7060405
	s_delay_alu instid0(VALU_DEP_3) | instskip(NEXT) | instid1(VALU_DEP_1)
	v_and_b32_e32 v3, 0xff, v3
	v_cmp_lt_u16_e32 vcc_lo, v3, v4
	s_delay_alu instid0(VALU_DEP_3) | instskip(NEXT) | instid1(VALU_DEP_1)
	v_cndmask_b32_e32 v2, v2, v5, vcc_lo
	v_lshrrev_b32_e32 v5, 16, v2
	v_lshrrev_b32_e32 v7, 24, v2
	s_delay_alu instid0(VALU_DEP_2) | instskip(SKIP_1) | instid1(VALU_DEP_2)
	v_perm_b32 v6, 0, v5, 0xc0c0001
	v_and_b32_e32 v5, 0xff, v5
	v_lshlrev_b32_e32 v6, 16, v6
	s_delay_alu instid0(VALU_DEP_2) | instskip(NEXT) | instid1(VALU_DEP_2)
	v_cmp_lt_u16_e32 vcc_lo, v7, v5
	v_and_or_b32 v6, 0xffff, v2, v6
	s_delay_alu instid0(VALU_DEP_1) | instskip(SKIP_3) | instid1(VALU_DEP_4)
	v_cndmask_b32_e32 v2, v2, v6, vcc_lo
	v_min_u16 v6, v7, v5
	v_max_u16 v9, v3, v4
	v_min_u16 v3, v3, v4
	v_lshrrev_b32_e32 v8, 16, v2
	s_delay_alu instid0(VALU_DEP_4) | instskip(SKIP_4) | instid1(VALU_DEP_4)
	v_lshlrev_b16 v10, 8, v6
	v_and_b32_e32 v11, 0xff, v2
	v_max_u16 v12, v6, v9
	v_cmp_lt_u16_e32 vcc_lo, v6, v9
	v_and_b32_e32 v8, 0xffffff00, v8
	v_or_b32_e32 v4, v11, v10
	v_lshlrev_b16 v10, 8, v3
	v_min_u16 v11, v6, v9
	s_delay_alu instid0(VALU_DEP_4) | instskip(NEXT) | instid1(VALU_DEP_4)
	v_or_b32_e32 v8, v9, v8
	v_and_b32_e32 v4, 0xffff, v4
	s_delay_alu instid0(VALU_DEP_3) | instskip(NEXT) | instid1(VALU_DEP_3)
	v_or_b32_e32 v10, v11, v10
	v_lshlrev_b32_e32 v8, 16, v8
	s_delay_alu instid0(VALU_DEP_1) | instskip(NEXT) | instid1(VALU_DEP_3)
	v_or_b32_e32 v4, v4, v8
	v_and_b32_e32 v8, 0xffff, v10
	s_delay_alu instid0(VALU_DEP_2) | instskip(SKIP_4) | instid1(VALU_DEP_4)
	v_cndmask_b32_e32 v2, v2, v4, vcc_lo
	v_max_u16 v5, v7, v5
	v_lshlrev_b16 v7, 8, v12
	v_cmp_lt_u16_e32 vcc_lo, v6, v3
	v_mbcnt_lo_u32_b32 v6, -1, 0
	v_cmp_gt_u16_e64 s0, v9, v5
	s_delay_alu instid0(VALU_DEP_4) | instskip(SKIP_2) | instid1(VALU_DEP_4)
	v_or_b32_e32 v4, v5, v7
	v_and_or_b32 v7, 0xffff0000, v2, v8
	v_cndmask_b32_e32 v11, v11, v3, vcc_lo
	v_cndmask_b32_e64 v10, v12, v5, s0
	s_delay_alu instid0(VALU_DEP_4) | instskip(NEXT) | instid1(VALU_DEP_4)
	v_lshlrev_b32_e32 v4, 16, v4
	v_cndmask_b32_e32 v2, v2, v7, vcc_lo
	s_delay_alu instid0(VALU_DEP_3) | instskip(NEXT) | instid1(VALU_DEP_2)
	v_lshlrev_b16 v7, 8, v10
	v_and_or_b32 v4, 0xffff, v2, v4
	s_delay_alu instid0(VALU_DEP_1) | instskip(SKIP_2) | instid1(VALU_DEP_2)
	v_cndmask_b32_e64 v9, v2, v4, s0
	v_lshlrev_b32_e32 v2, 2, v6
	s_mov_b32 s0, 0
	v_lshrrev_b32_e32 v5, 16, v9
	s_delay_alu instid0(VALU_DEP_2)
	v_and_b32_e32 v4, 0x78, v2
	v_and_b32_e32 v6, 0xff, v9
	v_mad_u32_u24 v15, 0x81, v0, v2
	v_mul_u32_u24_e32 v0, 0x81, v0
	v_and_b32_e32 v8, 0xffffff00, v5
	v_or_b32_e32 v5, 4, v4
	v_add_nc_u32_e32 v3, 8, v4
	v_or_b32_e32 v7, v6, v7
	v_and_b32_e32 v6, 4, v2
	v_or_b32_e32 v8, v11, v8
	v_sub_nc_u32_e32 v13, v5, v4
	v_sub_nc_u32_e32 v12, v3, v5
	v_and_b32_e32 v7, 0xffff, v7
	s_delay_alu instid0(VALU_DEP_4) | instskip(NEXT) | instid1(VALU_DEP_3)
	v_lshlrev_b32_e32 v8, 16, v8
	v_sub_nc_u32_e32 v14, v6, v12
	v_cmp_ge_i32_e32 vcc_lo, v6, v12
	s_delay_alu instid0(VALU_DEP_3) | instskip(SKIP_1) | instid1(VALU_DEP_4)
	v_or_b32_e32 v16, v7, v8
	v_min_i32_e32 v8, v6, v13
	v_cndmask_b32_e32 v7, 0, v14, vcc_lo
	v_cmp_lt_u16_e32 vcc_lo, v10, v11
	s_delay_alu instid0(VALU_DEP_4)
	v_cndmask_b32_e32 v9, v9, v16, vcc_lo
	ds_store_b32 v15, v9
	; wave barrier
	v_cmpx_lt_i32_e64 v7, v8
	s_cbranch_execz .LBB124_4
; %bb.1:
	v_add_nc_u32_e32 v9, v0, v4
	v_add3_u32 v10, v0, v5, v6
	.p2align	6
.LBB124_2:                              ; =>This Inner Loop Header: Depth=1
	v_sub_nc_u32_e32 v11, v8, v7
	s_delay_alu instid0(VALU_DEP_1) | instskip(NEXT) | instid1(VALU_DEP_1)
	v_lshrrev_b32_e32 v12, 31, v11
	v_add_nc_u32_e32 v11, v11, v12
	s_delay_alu instid0(VALU_DEP_1) | instskip(NEXT) | instid1(VALU_DEP_1)
	v_ashrrev_i32_e32 v11, 1, v11
	v_add_nc_u32_e32 v11, v11, v7
	s_delay_alu instid0(VALU_DEP_1)
	v_add_nc_u32_e32 v12, v9, v11
	v_xad_u32 v13, v11, -1, v10
	v_add_nc_u32_e32 v14, 1, v11
	ds_load_u8 v12, v12
	ds_load_u8 v13, v13
	s_waitcnt lgkmcnt(0)
	v_cmp_lt_u16_e32 vcc_lo, v13, v12
	v_cndmask_b32_e32 v8, v8, v11, vcc_lo
	v_cndmask_b32_e32 v7, v14, v7, vcc_lo
	s_delay_alu instid0(VALU_DEP_1) | instskip(SKIP_1) | instid1(SALU_CYCLE_1)
	v_cmp_ge_i32_e32 vcc_lo, v7, v8
	s_or_b32 s0, vcc_lo, s0
	s_and_not1_b32 exec_lo, exec_lo, s0
	s_cbranch_execnz .LBB124_2
; %bb.3:
	s_or_b32 exec_lo, exec_lo, s0
.LBB124_4:
	s_delay_alu instid0(SALU_CYCLE_1) | instskip(SKIP_2) | instid1(VALU_DEP_2)
	s_or_b32 exec_lo, exec_lo, s1
	v_add_nc_u32_e32 v8, v5, v6
	v_add_nc_u32_e32 v6, v7, v4
	v_sub_nc_u32_e32 v4, v8, v7
	s_delay_alu instid0(VALU_DEP_2) | instskip(SKIP_1) | instid1(VALU_DEP_3)
	v_add_nc_u32_e32 v12, v0, v6
	v_cmp_le_i32_e32 vcc_lo, v5, v6
	v_add_nc_u32_e32 v11, v0, v4
	v_cmp_gt_i32_e64 s1, v3, v4
	ds_load_u8 v7, v12
	ds_load_u8 v8, v11
	s_waitcnt lgkmcnt(1)
	v_and_b32_e32 v9, 0xff, v7
	s_waitcnt lgkmcnt(0)
	v_and_b32_e32 v10, 0xff, v8
	s_delay_alu instid0(VALU_DEP_1) | instskip(NEXT) | instid1(VALU_DEP_1)
	v_cmp_lt_u16_e64 s0, v10, v9
                                        ; implicit-def: $vgpr9
                                        ; implicit-def: $vgpr10
	s_or_b32 s0, vcc_lo, s0
	s_delay_alu instid0(SALU_CYCLE_1) | instskip(NEXT) | instid1(SALU_CYCLE_1)
	s_and_b32 vcc_lo, s1, s0
	s_xor_b32 s0, vcc_lo, -1
	s_delay_alu instid0(SALU_CYCLE_1) | instskip(NEXT) | instid1(SALU_CYCLE_1)
	s_and_saveexec_b32 s1, s0
	s_xor_b32 s0, exec_lo, s1
	s_cbranch_execz .LBB124_6
; %bb.5:
	ds_load_u8 v10, v12 offset:1
	v_mov_b32_e32 v9, v8
                                        ; implicit-def: $vgpr11
.LBB124_6:
	s_and_not1_saveexec_b32 s0, s0
	s_cbranch_execz .LBB124_8
; %bb.7:
	ds_load_u8 v9, v11 offset:1
	s_waitcnt lgkmcnt(1)
	v_mov_b32_e32 v10, v7
.LBB124_8:
	s_or_b32 exec_lo, exec_lo, s0
	v_add_nc_u32_e32 v11, 1, v6
	v_add_nc_u32_e32 v13, 1, v4
	s_waitcnt lgkmcnt(0)
	v_and_b32_e32 v14, 0xff, v10
	s_delay_alu instid0(VALU_DEP_2) | instskip(SKIP_1) | instid1(VALU_DEP_2)
	v_dual_cndmask_b32 v12, v11, v6 :: v_dual_cndmask_b32 v11, v4, v13
	v_and_b32_e32 v6, 0xff, v9
                                        ; implicit-def: $vgpr4
	v_cmp_ge_i32_e64 s0, v12, v5
	s_delay_alu instid0(VALU_DEP_3) | instskip(NEXT) | instid1(VALU_DEP_3)
	v_cmp_lt_i32_e64 s2, v11, v3
	v_cmp_lt_u16_e64 s1, v6, v14
	s_delay_alu instid0(VALU_DEP_1)
	s_or_b32 s0, s0, s1
	s_delay_alu instid0(VALU_DEP_2) | instid1(SALU_CYCLE_1)
	s_and_b32 s0, s2, s0
	s_delay_alu instid0(SALU_CYCLE_1) | instskip(NEXT) | instid1(SALU_CYCLE_1)
	s_xor_b32 s1, s0, -1
	s_and_saveexec_b32 s2, s1
	s_delay_alu instid0(SALU_CYCLE_1)
	s_xor_b32 s1, exec_lo, s2
	s_cbranch_execz .LBB124_10
; %bb.9:
	v_add_nc_u32_e32 v4, v0, v12
	ds_load_u8 v4, v4 offset:1
.LBB124_10:
	s_or_saveexec_b32 s1, s1
	v_mov_b32_e32 v6, v9
	s_xor_b32 exec_lo, exec_lo, s1
	s_cbranch_execz .LBB124_12
; %bb.11:
	s_waitcnt lgkmcnt(0)
	v_add_nc_u32_e32 v4, v0, v11
	ds_load_u8 v6, v4 offset:1
	v_mov_b32_e32 v4, v10
.LBB124_12:
	s_or_b32 exec_lo, exec_lo, s1
	v_add_nc_u32_e32 v13, 1, v12
	v_add_nc_u32_e32 v14, 1, v11
	s_waitcnt lgkmcnt(0)
	v_and_b32_e32 v15, 0xff, v4
	s_delay_alu instid0(VALU_DEP_3) | instskip(SKIP_2) | instid1(VALU_DEP_3)
	v_cndmask_b32_e64 v13, v13, v12, s0
	v_and_b32_e32 v12, 0xff, v6
	v_cndmask_b32_e64 v14, v11, v14, s0
	v_cmp_ge_i32_e64 s1, v13, v5
	s_delay_alu instid0(VALU_DEP_3) | instskip(NEXT) | instid1(VALU_DEP_3)
	v_cmp_lt_u16_e64 s2, v12, v15
	v_cmp_lt_i32_e64 s3, v14, v3
                                        ; implicit-def: $vgpr12
	s_delay_alu instid0(VALU_DEP_2)
	s_or_b32 s1, s1, s2
	s_delay_alu instid0(VALU_DEP_1) | instid1(SALU_CYCLE_1)
	s_and_b32 s1, s3, s1
	s_delay_alu instid0(SALU_CYCLE_1) | instskip(NEXT) | instid1(SALU_CYCLE_1)
	s_xor_b32 s2, s1, -1
	s_and_saveexec_b32 s3, s2
	s_delay_alu instid0(SALU_CYCLE_1)
	s_xor_b32 s2, exec_lo, s3
	s_cbranch_execz .LBB124_14
; %bb.13:
	v_add_nc_u32_e32 v11, v0, v13
	ds_load_u8 v12, v11 offset:1
.LBB124_14:
	s_or_saveexec_b32 s2, s2
	v_mov_b32_e32 v15, v6
	s_xor_b32 exec_lo, exec_lo, s2
	s_cbranch_execz .LBB124_16
; %bb.15:
	v_add_nc_u32_e32 v11, v0, v14
	s_waitcnt lgkmcnt(0)
	v_mov_b32_e32 v12, v4
	ds_load_u8 v15, v11 offset:1
.LBB124_16:
	s_or_b32 exec_lo, exec_lo, s2
	v_add_nc_u32_e32 v16, 1, v14
	v_dual_cndmask_b32 v8, v7, v8 :: v_dual_add_nc_u32 v17, 1, v13
	v_cndmask_b32_e64 v18, v4, v6, s1
	v_cndmask_b32_e64 v10, v10, v9, s0
	s_delay_alu instid0(VALU_DEP_4) | instskip(NEXT) | instid1(VALU_DEP_4)
	v_cndmask_b32_e64 v14, v14, v16, s1
	v_cndmask_b32_e64 v13, v17, v13, s1
	s_waitcnt lgkmcnt(0)
	v_and_b32_e32 v16, 0xff, v12
	v_and_b32_e32 v17, 0xff, v15
	;; [unrolled: 1-line block ×3, first 2 shown]
	v_cmp_lt_i32_e32 vcc_lo, v14, v3
	v_cmp_ge_i32_e64 s0, v13, v5
	v_add_nc_u32_e32 v3, v0, v2
	v_cmp_lt_u16_e64 s1, v17, v16
	; wave barrier
	s_delay_alu instid0(VALU_DEP_1) | instskip(NEXT) | instid1(SALU_CYCLE_1)
	s_or_b32 s1, s0, s1
	s_and_b32 vcc_lo, vcc_lo, s1
	v_dual_cndmask_b32 v12, v12, v15 :: v_dual_and_b32 v11, 0x70, v2
	s_mov_b32 s1, 0
	ds_store_b8 v3, v8
	ds_store_b8 v3, v10 offset:1
	ds_store_b8 v3, v18 offset:2
	;; [unrolled: 1-line block ×3, first 2 shown]
	v_or_b32_e32 v6, 8, v11
	v_add_nc_u32_e32 v4, 16, v11
	; wave barrier
	s_delay_alu instid0(VALU_DEP_2) | instskip(NEXT) | instid1(VALU_DEP_2)
	v_sub_nc_u32_e32 v7, v6, v11
	v_sub_nc_u32_e32 v19, v4, v6
	s_delay_alu instid0(VALU_DEP_2) | instskip(NEXT) | instid1(VALU_DEP_2)
	v_min_i32_e32 v7, v9, v7
	v_sub_nc_u32_e32 v5, v9, v19
	v_cmp_ge_i32_e64 s0, v9, v19
	s_delay_alu instid0(VALU_DEP_1) | instskip(SKIP_1) | instid1(VALU_DEP_1)
	v_cndmask_b32_e64 v5, 0, v5, s0
	s_mov_b32 s0, exec_lo
	v_cmpx_lt_i32_e64 v5, v7
	s_cbranch_execz .LBB124_20
; %bb.17:
	v_add_nc_u32_e32 v8, v0, v11
	v_add3_u32 v10, v0, v6, v9
	.p2align	6
.LBB124_18:                             ; =>This Inner Loop Header: Depth=1
	v_sub_nc_u32_e32 v12, v7, v5
	s_delay_alu instid0(VALU_DEP_1) | instskip(NEXT) | instid1(VALU_DEP_1)
	v_lshrrev_b32_e32 v13, 31, v12
	v_add_nc_u32_e32 v12, v12, v13
	s_delay_alu instid0(VALU_DEP_1) | instskip(NEXT) | instid1(VALU_DEP_1)
	v_ashrrev_i32_e32 v12, 1, v12
	v_add_nc_u32_e32 v12, v12, v5
	s_delay_alu instid0(VALU_DEP_1)
	v_add_nc_u32_e32 v13, v8, v12
	v_xad_u32 v14, v12, -1, v10
	v_add_nc_u32_e32 v15, 1, v12
	ds_load_u8 v13, v13
	ds_load_u8 v14, v14
	s_waitcnt lgkmcnt(0)
	v_cmp_lt_u16_e32 vcc_lo, v14, v13
	v_cndmask_b32_e32 v7, v7, v12, vcc_lo
	v_cndmask_b32_e32 v5, v15, v5, vcc_lo
	s_delay_alu instid0(VALU_DEP_1) | instskip(SKIP_1) | instid1(SALU_CYCLE_1)
	v_cmp_ge_i32_e32 vcc_lo, v5, v7
	s_or_b32 s1, vcc_lo, s1
	s_and_not1_b32 exec_lo, exec_lo, s1
	s_cbranch_execnz .LBB124_18
; %bb.19:
	s_or_b32 exec_lo, exec_lo, s1
.LBB124_20:
	s_delay_alu instid0(SALU_CYCLE_1) | instskip(SKIP_2) | instid1(VALU_DEP_2)
	s_or_b32 exec_lo, exec_lo, s0
	v_add_nc_u32_e32 v8, v6, v9
	v_add_nc_u32_e32 v7, v5, v11
	v_sub_nc_u32_e32 v5, v8, v5
	s_delay_alu instid0(VALU_DEP_2) | instskip(SKIP_1) | instid1(VALU_DEP_3)
	v_add_nc_u32_e32 v13, v0, v7
	v_cmp_le_i32_e32 vcc_lo, v6, v7
	v_add_nc_u32_e32 v12, v0, v5
	v_cmp_gt_i32_e64 s1, v4, v5
	ds_load_u8 v8, v13
	ds_load_u8 v9, v12
	s_waitcnt lgkmcnt(1)
	v_and_b32_e32 v10, 0xff, v8
	s_waitcnt lgkmcnt(0)
	v_and_b32_e32 v11, 0xff, v9
	s_delay_alu instid0(VALU_DEP_1) | instskip(NEXT) | instid1(VALU_DEP_1)
	v_cmp_lt_u16_e64 s0, v11, v10
                                        ; implicit-def: $vgpr10
                                        ; implicit-def: $vgpr11
	s_or_b32 s0, vcc_lo, s0
	s_delay_alu instid0(SALU_CYCLE_1) | instskip(NEXT) | instid1(SALU_CYCLE_1)
	s_and_b32 vcc_lo, s1, s0
	s_xor_b32 s0, vcc_lo, -1
	s_delay_alu instid0(SALU_CYCLE_1) | instskip(NEXT) | instid1(SALU_CYCLE_1)
	s_and_saveexec_b32 s1, s0
	s_xor_b32 s0, exec_lo, s1
	s_cbranch_execz .LBB124_22
; %bb.21:
	ds_load_u8 v11, v13 offset:1
	v_mov_b32_e32 v10, v9
                                        ; implicit-def: $vgpr12
.LBB124_22:
	s_and_not1_saveexec_b32 s0, s0
	s_cbranch_execz .LBB124_24
; %bb.23:
	ds_load_u8 v10, v12 offset:1
	s_waitcnt lgkmcnt(1)
	v_mov_b32_e32 v11, v8
.LBB124_24:
	s_or_b32 exec_lo, exec_lo, s0
	v_add_nc_u32_e32 v12, 1, v7
	v_add_nc_u32_e32 v14, 1, v5
	s_waitcnt lgkmcnt(0)
	v_and_b32_e32 v15, 0xff, v11
	s_delay_alu instid0(VALU_DEP_2) | instskip(SKIP_1) | instid1(VALU_DEP_2)
	v_dual_cndmask_b32 v13, v12, v7 :: v_dual_cndmask_b32 v12, v5, v14
	v_and_b32_e32 v7, 0xff, v10
                                        ; implicit-def: $vgpr5
	v_cmp_ge_i32_e64 s0, v13, v6
	s_delay_alu instid0(VALU_DEP_3) | instskip(NEXT) | instid1(VALU_DEP_3)
	v_cmp_lt_i32_e64 s2, v12, v4
	v_cmp_lt_u16_e64 s1, v7, v15
	s_delay_alu instid0(VALU_DEP_1)
	s_or_b32 s0, s0, s1
	s_delay_alu instid0(VALU_DEP_2) | instid1(SALU_CYCLE_1)
	s_and_b32 s0, s2, s0
	s_delay_alu instid0(SALU_CYCLE_1) | instskip(NEXT) | instid1(SALU_CYCLE_1)
	s_xor_b32 s1, s0, -1
	s_and_saveexec_b32 s2, s1
	s_delay_alu instid0(SALU_CYCLE_1)
	s_xor_b32 s1, exec_lo, s2
	s_cbranch_execz .LBB124_26
; %bb.25:
	v_add_nc_u32_e32 v5, v0, v13
	ds_load_u8 v5, v5 offset:1
.LBB124_26:
	s_or_saveexec_b32 s1, s1
	v_mov_b32_e32 v7, v10
	s_xor_b32 exec_lo, exec_lo, s1
	s_cbranch_execz .LBB124_28
; %bb.27:
	s_waitcnt lgkmcnt(0)
	v_add_nc_u32_e32 v5, v0, v12
	ds_load_u8 v7, v5 offset:1
	v_mov_b32_e32 v5, v11
.LBB124_28:
	s_or_b32 exec_lo, exec_lo, s1
	v_add_nc_u32_e32 v14, 1, v13
	v_add_nc_u32_e32 v15, 1, v12
	s_waitcnt lgkmcnt(0)
	v_and_b32_e32 v16, 0xff, v5
	s_delay_alu instid0(VALU_DEP_3) | instskip(SKIP_2) | instid1(VALU_DEP_3)
	v_cndmask_b32_e64 v13, v14, v13, s0
	v_and_b32_e32 v14, 0xff, v7
	v_cndmask_b32_e64 v15, v12, v15, s0
	v_cmp_ge_i32_e64 s1, v13, v6
	s_delay_alu instid0(VALU_DEP_3) | instskip(NEXT) | instid1(VALU_DEP_3)
	v_cmp_lt_u16_e64 s2, v14, v16
	v_cmp_lt_i32_e64 s3, v15, v4
                                        ; implicit-def: $vgpr14
	s_delay_alu instid0(VALU_DEP_2)
	s_or_b32 s1, s1, s2
	s_delay_alu instid0(VALU_DEP_1) | instid1(SALU_CYCLE_1)
	s_and_b32 s1, s3, s1
	s_delay_alu instid0(SALU_CYCLE_1) | instskip(NEXT) | instid1(SALU_CYCLE_1)
	s_xor_b32 s2, s1, -1
	s_and_saveexec_b32 s3, s2
	s_delay_alu instid0(SALU_CYCLE_1)
	s_xor_b32 s2, exec_lo, s3
	s_cbranch_execz .LBB124_30
; %bb.29:
	v_add_nc_u32_e32 v12, v0, v13
	ds_load_u8 v14, v12 offset:1
.LBB124_30:
	s_or_saveexec_b32 s2, s2
	v_mov_b32_e32 v16, v7
	s_xor_b32 exec_lo, exec_lo, s2
	s_cbranch_execz .LBB124_32
; %bb.31:
	v_add_nc_u32_e32 v12, v0, v15
	s_waitcnt lgkmcnt(0)
	v_mov_b32_e32 v14, v5
	ds_load_u8 v16, v12 offset:1
.LBB124_32:
	s_or_b32 exec_lo, exec_lo, s2
	v_dual_cndmask_b32 v8, v8, v9 :: v_dual_add_nc_u32 v17, 1, v15
	v_add_nc_u32_e32 v18, 1, v13
	s_waitcnt lgkmcnt(0)
	v_and_b32_e32 v20, 0xff, v16
	v_cndmask_b32_e64 v19, v5, v7, s1
	v_cndmask_b32_e64 v15, v15, v17, s1
	;; [unrolled: 1-line block ×4, first 2 shown]
	v_and_b32_e32 v18, 0xff, v14
	v_and_b32_e32 v13, 28, v2
	v_cmp_lt_i32_e32 vcc_lo, v15, v4
	s_delay_alu instid0(VALU_DEP_4) | instskip(NEXT) | instid1(VALU_DEP_4)
	v_cmp_ge_i32_e64 s0, v17, v6
	v_cmp_lt_u16_e64 s1, v20, v18
	; wave barrier
	s_delay_alu instid0(VALU_DEP_1) | instskip(NEXT) | instid1(SALU_CYCLE_1)
	s_or_b32 s1, s0, s1
	s_and_b32 vcc_lo, vcc_lo, s1
	v_and_b32_e32 v12, 0x60, v2
	s_mov_b32 s1, 0
	s_delay_alu instid0(VALU_DEP_1) | instskip(SKIP_1) | instid1(VALU_DEP_2)
	v_or_b32_e32 v7, 16, v12
	v_add_nc_u32_e32 v5, 32, v12
	v_sub_nc_u32_e32 v9, v7, v12
	s_delay_alu instid0(VALU_DEP_2) | instskip(NEXT) | instid1(VALU_DEP_1)
	v_sub_nc_u32_e32 v21, v5, v7
	v_sub_nc_u32_e32 v6, v13, v21
	v_cmp_ge_i32_e64 s0, v13, v21
	s_delay_alu instid0(VALU_DEP_1)
	v_cndmask_b32_e64 v4, 0, v6, s0
	v_min_i32_e32 v6, v13, v9
	v_cndmask_b32_e32 v9, v14, v16, vcc_lo
	s_mov_b32 s0, exec_lo
	ds_store_b8 v3, v8
	ds_store_b8 v3, v10 offset:1
	ds_store_b8 v3, v19 offset:2
	;; [unrolled: 1-line block ×3, first 2 shown]
	; wave barrier
	v_cmpx_lt_i32_e64 v4, v6
	s_cbranch_execz .LBB124_36
; %bb.33:
	v_add_nc_u32_e32 v8, v0, v12
	v_add3_u32 v9, v0, v7, v13
	.p2align	6
.LBB124_34:                             ; =>This Inner Loop Header: Depth=1
	v_sub_nc_u32_e32 v10, v6, v4
	s_delay_alu instid0(VALU_DEP_1) | instskip(NEXT) | instid1(VALU_DEP_1)
	v_lshrrev_b32_e32 v11, 31, v10
	v_add_nc_u32_e32 v10, v10, v11
	s_delay_alu instid0(VALU_DEP_1) | instskip(NEXT) | instid1(VALU_DEP_1)
	v_ashrrev_i32_e32 v10, 1, v10
	v_add_nc_u32_e32 v10, v10, v4
	s_delay_alu instid0(VALU_DEP_1)
	v_add_nc_u32_e32 v15, 1, v10
	v_add_nc_u32_e32 v11, v8, v10
	v_xad_u32 v14, v10, -1, v9
	ds_load_u8 v11, v11
	ds_load_u8 v14, v14
	s_waitcnt lgkmcnt(0)
	v_cmp_lt_u16_e32 vcc_lo, v14, v11
	v_cndmask_b32_e32 v4, v15, v4, vcc_lo
	v_cndmask_b32_e32 v6, v6, v10, vcc_lo
	s_delay_alu instid0(VALU_DEP_1) | instskip(SKIP_1) | instid1(SALU_CYCLE_1)
	v_cmp_ge_i32_e32 vcc_lo, v4, v6
	s_or_b32 s1, vcc_lo, s1
	s_and_not1_b32 exec_lo, exec_lo, s1
	s_cbranch_execnz .LBB124_34
; %bb.35:
	s_or_b32 exec_lo, exec_lo, s1
.LBB124_36:
	s_delay_alu instid0(SALU_CYCLE_1) | instskip(SKIP_2) | instid1(VALU_DEP_2)
	s_or_b32 exec_lo, exec_lo, s0
	v_add_nc_u32_e32 v8, v7, v13
	v_add_nc_u32_e32 v6, v4, v12
	v_sub_nc_u32_e32 v4, v8, v4
	s_delay_alu instid0(VALU_DEP_2) | instskip(SKIP_1) | instid1(VALU_DEP_3)
	v_add_nc_u32_e32 v13, v0, v6
	v_cmp_le_i32_e32 vcc_lo, v7, v6
	v_add_nc_u32_e32 v12, v0, v4
	v_cmp_gt_i32_e64 s1, v5, v4
	ds_load_u8 v8, v13
	ds_load_u8 v9, v12
	s_waitcnt lgkmcnt(1)
	v_and_b32_e32 v10, 0xff, v8
	s_waitcnt lgkmcnt(0)
	v_and_b32_e32 v11, 0xff, v9
	s_delay_alu instid0(VALU_DEP_1) | instskip(NEXT) | instid1(VALU_DEP_1)
	v_cmp_lt_u16_e64 s0, v11, v10
                                        ; implicit-def: $vgpr10
                                        ; implicit-def: $vgpr11
	s_or_b32 s0, vcc_lo, s0
	s_delay_alu instid0(SALU_CYCLE_1) | instskip(NEXT) | instid1(SALU_CYCLE_1)
	s_and_b32 vcc_lo, s1, s0
	s_xor_b32 s0, vcc_lo, -1
	s_delay_alu instid0(SALU_CYCLE_1) | instskip(NEXT) | instid1(SALU_CYCLE_1)
	s_and_saveexec_b32 s1, s0
	s_xor_b32 s0, exec_lo, s1
	s_cbranch_execz .LBB124_38
; %bb.37:
	ds_load_u8 v11, v13 offset:1
	v_mov_b32_e32 v10, v9
                                        ; implicit-def: $vgpr12
.LBB124_38:
	s_and_not1_saveexec_b32 s0, s0
	s_cbranch_execz .LBB124_40
; %bb.39:
	ds_load_u8 v10, v12 offset:1
	s_waitcnt lgkmcnt(1)
	v_mov_b32_e32 v11, v8
.LBB124_40:
	s_or_b32 exec_lo, exec_lo, s0
	v_add_nc_u32_e32 v12, 1, v6
	v_add_nc_u32_e32 v14, 1, v4
	s_waitcnt lgkmcnt(0)
	v_and_b32_e32 v15, 0xff, v11
	s_delay_alu instid0(VALU_DEP_3) | instskip(NEXT) | instid1(VALU_DEP_3)
	v_cndmask_b32_e32 v13, v12, v6, vcc_lo
	v_cndmask_b32_e32 v12, v4, v14, vcc_lo
	v_and_b32_e32 v6, 0xff, v10
                                        ; implicit-def: $vgpr4
	s_delay_alu instid0(VALU_DEP_3) | instskip(NEXT) | instid1(VALU_DEP_3)
	v_cmp_ge_i32_e64 s0, v13, v7
	v_cmp_lt_i32_e64 s2, v12, v5
	s_delay_alu instid0(VALU_DEP_3) | instskip(NEXT) | instid1(VALU_DEP_1)
	v_cmp_lt_u16_e64 s1, v6, v15
	s_or_b32 s0, s0, s1
	s_delay_alu instid0(VALU_DEP_2) | instid1(SALU_CYCLE_1)
	s_and_b32 s0, s2, s0
	s_delay_alu instid0(SALU_CYCLE_1) | instskip(NEXT) | instid1(SALU_CYCLE_1)
	s_xor_b32 s1, s0, -1
	s_and_saveexec_b32 s2, s1
	s_delay_alu instid0(SALU_CYCLE_1)
	s_xor_b32 s1, exec_lo, s2
	s_cbranch_execz .LBB124_42
; %bb.41:
	v_add_nc_u32_e32 v4, v0, v13
	ds_load_u8 v4, v4 offset:1
.LBB124_42:
	s_or_saveexec_b32 s1, s1
	v_mov_b32_e32 v6, v10
	s_xor_b32 exec_lo, exec_lo, s1
	s_cbranch_execz .LBB124_44
; %bb.43:
	s_waitcnt lgkmcnt(0)
	v_add_nc_u32_e32 v4, v0, v12
	ds_load_u8 v6, v4 offset:1
	v_mov_b32_e32 v4, v11
.LBB124_44:
	s_or_b32 exec_lo, exec_lo, s1
	v_add_nc_u32_e32 v14, 1, v13
	v_add_nc_u32_e32 v15, 1, v12
	s_waitcnt lgkmcnt(0)
	v_and_b32_e32 v16, 0xff, v4
	s_delay_alu instid0(VALU_DEP_3) | instskip(SKIP_2) | instid1(VALU_DEP_3)
	v_cndmask_b32_e64 v13, v14, v13, s0
	v_and_b32_e32 v14, 0xff, v6
	v_cndmask_b32_e64 v15, v12, v15, s0
	v_cmp_ge_i32_e64 s1, v13, v7
	s_delay_alu instid0(VALU_DEP_3) | instskip(NEXT) | instid1(VALU_DEP_3)
	v_cmp_lt_u16_e64 s2, v14, v16
	v_cmp_lt_i32_e64 s3, v15, v5
                                        ; implicit-def: $vgpr14
	s_delay_alu instid0(VALU_DEP_2)
	s_or_b32 s1, s1, s2
	s_delay_alu instid0(VALU_DEP_1) | instid1(SALU_CYCLE_1)
	s_and_b32 s1, s3, s1
	s_delay_alu instid0(SALU_CYCLE_1) | instskip(NEXT) | instid1(SALU_CYCLE_1)
	s_xor_b32 s2, s1, -1
	s_and_saveexec_b32 s3, s2
	s_delay_alu instid0(SALU_CYCLE_1)
	s_xor_b32 s2, exec_lo, s3
	s_cbranch_execz .LBB124_46
; %bb.45:
	v_add_nc_u32_e32 v12, v0, v13
	ds_load_u8 v14, v12 offset:1
.LBB124_46:
	s_or_saveexec_b32 s2, s2
	v_mov_b32_e32 v16, v6
	s_xor_b32 exec_lo, exec_lo, s2
	s_cbranch_execz .LBB124_48
; %bb.47:
	v_add_nc_u32_e32 v12, v0, v15
	s_waitcnt lgkmcnt(0)
	v_mov_b32_e32 v14, v4
	ds_load_u8 v16, v12 offset:1
.LBB124_48:
	s_or_b32 exec_lo, exec_lo, s2
	v_dual_cndmask_b32 v8, v8, v9 :: v_dual_add_nc_u32 v17, 1, v15
	v_add_nc_u32_e32 v18, 1, v13
	s_waitcnt lgkmcnt(0)
	v_and_b32_e32 v20, 0xff, v16
	v_cndmask_b32_e64 v19, v4, v6, s1
	v_cndmask_b32_e64 v15, v15, v17, s1
	;; [unrolled: 1-line block ×4, first 2 shown]
	v_and_b32_e32 v18, 0xff, v14
	v_and_b32_e32 v13, 60, v2
	v_cmp_lt_i32_e32 vcc_lo, v15, v5
	s_delay_alu instid0(VALU_DEP_4) | instskip(NEXT) | instid1(VALU_DEP_4)
	v_cmp_ge_i32_e64 s0, v17, v7
	v_cmp_lt_u16_e64 s1, v20, v18
	; wave barrier
	s_delay_alu instid0(VALU_DEP_1) | instskip(NEXT) | instid1(SALU_CYCLE_1)
	s_or_b32 s1, s0, s1
	s_and_b32 vcc_lo, vcc_lo, s1
	v_and_b32_e32 v12, 64, v2
	s_mov_b32 s1, 0
	s_delay_alu instid0(VALU_DEP_1) | instskip(SKIP_1) | instid1(VALU_DEP_2)
	v_or_b32_e32 v6, 32, v12
	v_add_nc_u32_e32 v4, 64, v12
	v_sub_nc_u32_e32 v9, v6, v12
	s_delay_alu instid0(VALU_DEP_2) | instskip(NEXT) | instid1(VALU_DEP_1)
	v_sub_nc_u32_e32 v21, v4, v6
	v_sub_nc_u32_e32 v7, v13, v21
	v_cmp_ge_i32_e64 s0, v13, v21
	s_delay_alu instid0(VALU_DEP_1)
	v_cndmask_b32_e64 v5, 0, v7, s0
	v_min_i32_e32 v7, v13, v9
	v_cndmask_b32_e32 v9, v14, v16, vcc_lo
	s_mov_b32 s0, exec_lo
	ds_store_b8 v3, v8
	ds_store_b8 v3, v10 offset:1
	ds_store_b8 v3, v19 offset:2
	;; [unrolled: 1-line block ×3, first 2 shown]
	; wave barrier
	v_cmpx_lt_i32_e64 v5, v7
	s_cbranch_execz .LBB124_52
; %bb.49:
	v_add_nc_u32_e32 v8, v0, v12
	v_add3_u32 v9, v0, v6, v13
	.p2align	6
.LBB124_50:                             ; =>This Inner Loop Header: Depth=1
	v_sub_nc_u32_e32 v10, v7, v5
	s_delay_alu instid0(VALU_DEP_1) | instskip(NEXT) | instid1(VALU_DEP_1)
	v_lshrrev_b32_e32 v11, 31, v10
	v_add_nc_u32_e32 v10, v10, v11
	s_delay_alu instid0(VALU_DEP_1) | instskip(NEXT) | instid1(VALU_DEP_1)
	v_ashrrev_i32_e32 v10, 1, v10
	v_add_nc_u32_e32 v10, v10, v5
	s_delay_alu instid0(VALU_DEP_1)
	v_add_nc_u32_e32 v11, v8, v10
	v_xad_u32 v14, v10, -1, v9
	v_add_nc_u32_e32 v15, 1, v10
	ds_load_u8 v11, v11
	ds_load_u8 v14, v14
	s_waitcnt lgkmcnt(0)
	v_cmp_lt_u16_e32 vcc_lo, v14, v11
	v_cndmask_b32_e32 v5, v15, v5, vcc_lo
	v_cndmask_b32_e32 v7, v7, v10, vcc_lo
	s_delay_alu instid0(VALU_DEP_1) | instskip(SKIP_1) | instid1(SALU_CYCLE_1)
	v_cmp_ge_i32_e32 vcc_lo, v5, v7
	s_or_b32 s1, vcc_lo, s1
	s_and_not1_b32 exec_lo, exec_lo, s1
	s_cbranch_execnz .LBB124_50
; %bb.51:
	s_or_b32 exec_lo, exec_lo, s1
.LBB124_52:
	s_delay_alu instid0(SALU_CYCLE_1) | instskip(SKIP_2) | instid1(VALU_DEP_2)
	s_or_b32 exec_lo, exec_lo, s0
	v_add_nc_u32_e32 v7, v6, v13
	v_add_nc_u32_e32 v11, v5, v12
	v_sub_nc_u32_e32 v10, v7, v5
	s_delay_alu instid0(VALU_DEP_2) | instskip(SKIP_1) | instid1(VALU_DEP_3)
	v_add_nc_u32_e32 v13, v0, v11
	v_cmp_le_i32_e32 vcc_lo, v6, v11
	v_add_nc_u32_e32 v12, v0, v10
	v_cmp_gt_i32_e64 s1, v4, v10
	ds_load_u8 v5, v13
	ds_load_u8 v7, v12
	s_waitcnt lgkmcnt(1)
	v_and_b32_e32 v8, 0xff, v5
	s_waitcnt lgkmcnt(0)
	v_and_b32_e32 v9, 0xff, v7
	s_delay_alu instid0(VALU_DEP_1) | instskip(NEXT) | instid1(VALU_DEP_1)
	v_cmp_lt_u16_e64 s0, v9, v8
                                        ; implicit-def: $vgpr8
                                        ; implicit-def: $vgpr9
	s_or_b32 s0, vcc_lo, s0
	s_delay_alu instid0(SALU_CYCLE_1) | instskip(NEXT) | instid1(SALU_CYCLE_1)
	s_and_b32 vcc_lo, s1, s0
	s_xor_b32 s0, vcc_lo, -1
	s_delay_alu instid0(SALU_CYCLE_1) | instskip(NEXT) | instid1(SALU_CYCLE_1)
	s_and_saveexec_b32 s1, s0
	s_xor_b32 s0, exec_lo, s1
	s_cbranch_execz .LBB124_54
; %bb.53:
	ds_load_u8 v9, v13 offset:1
	v_mov_b32_e32 v8, v7
                                        ; implicit-def: $vgpr12
.LBB124_54:
	s_and_not1_saveexec_b32 s0, s0
	s_cbranch_execz .LBB124_56
; %bb.55:
	ds_load_u8 v8, v12 offset:1
	s_waitcnt lgkmcnt(1)
	v_mov_b32_e32 v9, v5
.LBB124_56:
	s_or_b32 exec_lo, exec_lo, s0
	v_add_nc_u32_e32 v12, 1, v11
	v_add_nc_u32_e32 v14, 1, v10
	s_waitcnt lgkmcnt(0)
	v_and_b32_e32 v15, 0xff, v9
	s_delay_alu instid0(VALU_DEP_2) | instskip(SKIP_1) | instid1(VALU_DEP_2)
	v_dual_cndmask_b32 v13, v12, v11 :: v_dual_cndmask_b32 v12, v10, v14
	v_and_b32_e32 v11, 0xff, v8
                                        ; implicit-def: $vgpr10
	v_cmp_ge_i32_e64 s0, v13, v6
	s_delay_alu instid0(VALU_DEP_3) | instskip(NEXT) | instid1(VALU_DEP_3)
	v_cmp_lt_i32_e64 s2, v12, v4
	v_cmp_lt_u16_e64 s1, v11, v15
	s_delay_alu instid0(VALU_DEP_1)
	s_or_b32 s0, s0, s1
	s_delay_alu instid0(VALU_DEP_2) | instid1(SALU_CYCLE_1)
	s_and_b32 s0, s2, s0
	s_delay_alu instid0(SALU_CYCLE_1) | instskip(NEXT) | instid1(SALU_CYCLE_1)
	s_xor_b32 s1, s0, -1
	s_and_saveexec_b32 s2, s1
	s_delay_alu instid0(SALU_CYCLE_1)
	s_xor_b32 s1, exec_lo, s2
	s_cbranch_execz .LBB124_58
; %bb.57:
	v_add_nc_u32_e32 v10, v0, v13
	ds_load_u8 v10, v10 offset:1
.LBB124_58:
	s_or_saveexec_b32 s1, s1
	v_mov_b32_e32 v11, v8
	s_xor_b32 exec_lo, exec_lo, s1
	s_cbranch_execz .LBB124_60
; %bb.59:
	s_waitcnt lgkmcnt(0)
	v_add_nc_u32_e32 v10, v0, v12
	ds_load_u8 v11, v10 offset:1
	v_mov_b32_e32 v10, v9
.LBB124_60:
	s_or_b32 exec_lo, exec_lo, s1
	v_add_nc_u32_e32 v14, 1, v13
	v_add_nc_u32_e32 v15, 1, v12
	s_waitcnt lgkmcnt(0)
	v_and_b32_e32 v16, 0xff, v10
	s_delay_alu instid0(VALU_DEP_3) | instskip(SKIP_2) | instid1(VALU_DEP_3)
	v_cndmask_b32_e64 v14, v14, v13, s0
	v_and_b32_e32 v13, 0xff, v11
	v_cndmask_b32_e64 v12, v12, v15, s0
	v_cmp_ge_i32_e64 s1, v14, v6
	s_delay_alu instid0(VALU_DEP_3) | instskip(NEXT) | instid1(VALU_DEP_3)
	v_cmp_lt_u16_e64 s2, v13, v16
	v_cmp_lt_i32_e64 s3, v12, v4
                                        ; implicit-def: $vgpr13
	s_delay_alu instid0(VALU_DEP_2)
	s_or_b32 s1, s1, s2
	s_delay_alu instid0(VALU_DEP_1) | instid1(SALU_CYCLE_1)
	s_and_b32 s1, s3, s1
	s_delay_alu instid0(SALU_CYCLE_1) | instskip(NEXT) | instid1(SALU_CYCLE_1)
	s_xor_b32 s2, s1, -1
	s_and_saveexec_b32 s3, s2
	s_delay_alu instid0(SALU_CYCLE_1)
	s_xor_b32 s2, exec_lo, s3
	s_cbranch_execz .LBB124_62
; %bb.61:
	v_add_nc_u32_e32 v13, v0, v14
	ds_load_u8 v13, v13 offset:1
.LBB124_62:
	s_or_saveexec_b32 s2, s2
	v_mov_b32_e32 v15, v11
	s_xor_b32 exec_lo, exec_lo, s2
	s_cbranch_execz .LBB124_64
; %bb.63:
	s_waitcnt lgkmcnt(0)
	v_add_nc_u32_e32 v13, v0, v12
	ds_load_u8 v15, v13 offset:1
	v_mov_b32_e32 v13, v10
.LBB124_64:
	s_or_b32 exec_lo, exec_lo, s2
	v_dual_cndmask_b32 v5, v5, v7 :: v_dual_add_nc_u32 v16, 1, v14
	v_add_nc_u32_e32 v17, 1, v12
	s_waitcnt lgkmcnt(0)
	v_and_b32_e32 v18, 0xff, v13
	v_and_b32_e32 v19, 0xff, v15
	v_cndmask_b32_e64 v14, v16, v14, s1
	v_and_b32_e32 v2, 0x7c, v2
	v_cndmask_b32_e64 v10, v10, v11, s1
	v_cndmask_b32_e64 v11, v12, v17, s1
	v_cmp_lt_u16_e64 s1, v19, v18
	v_cmp_ge_i32_e64 s2, v14, v6
	v_cndmask_b32_e64 v8, v9, v8, s0
	v_subrev_nc_u32_e32 v6, 64, v2
	v_cmp_lt_i32_e64 s0, 63, v2
	v_cmp_lt_i32_e32 vcc_lo, v11, v4
	s_or_b32 s1, s2, s1
	v_min_i32_e32 v4, 64, v2
	s_delay_alu instid0(VALU_DEP_3)
	v_cndmask_b32_e64 v6, 0, v6, s0
	s_and_b32 vcc_lo, vcc_lo, s1
	s_mov_b32 s0, exec_lo
	v_cndmask_b32_e32 v7, v13, v15, vcc_lo
	; wave barrier
	ds_store_b8 v3, v5
	ds_store_b8 v3, v8 offset:1
	ds_store_b8 v3, v10 offset:2
	;; [unrolled: 1-line block ×3, first 2 shown]
	; wave barrier
	v_cmpx_lt_i32_e64 v6, v4
	s_cbranch_execz .LBB124_68
; %bb.65:
	v_add3_u32 v3, v0, 64, v2
	s_mov_b32 s1, 0
	.p2align	6
.LBB124_66:                             ; =>This Inner Loop Header: Depth=1
	v_sub_nc_u32_e32 v5, v4, v6
	s_delay_alu instid0(VALU_DEP_1) | instskip(NEXT) | instid1(VALU_DEP_1)
	v_lshrrev_b32_e32 v7, 31, v5
	v_add_nc_u32_e32 v5, v5, v7
	s_delay_alu instid0(VALU_DEP_1) | instskip(NEXT) | instid1(VALU_DEP_1)
	v_ashrrev_i32_e32 v5, 1, v5
	v_add_nc_u32_e32 v5, v5, v6
	s_delay_alu instid0(VALU_DEP_1)
	v_add_nc_u32_e32 v9, 1, v5
	v_add_nc_u32_e32 v7, v0, v5
	v_xad_u32 v8, v5, -1, v3
	ds_load_u8 v7, v7
	ds_load_u8 v8, v8
	s_waitcnt lgkmcnt(0)
	v_cmp_lt_u16_e32 vcc_lo, v8, v7
	v_cndmask_b32_e32 v6, v9, v6, vcc_lo
	v_cndmask_b32_e32 v4, v4, v5, vcc_lo
	s_delay_alu instid0(VALU_DEP_1) | instskip(SKIP_1) | instid1(SALU_CYCLE_1)
	v_cmp_ge_i32_e32 vcc_lo, v6, v4
	s_or_b32 s1, vcc_lo, s1
	s_and_not1_b32 exec_lo, exec_lo, s1
	s_cbranch_execnz .LBB124_66
; %bb.67:
	s_or_b32 exec_lo, exec_lo, s1
.LBB124_68:
	s_delay_alu instid0(SALU_CYCLE_1) | instskip(SKIP_3) | instid1(VALU_DEP_3)
	s_or_b32 exec_lo, exec_lo, s0
	v_add_nc_u32_e32 v2, 64, v2
	v_add_nc_u32_e32 v9, v0, v6
	v_cmp_le_i32_e32 vcc_lo, 64, v6
	v_sub_nc_u32_e32 v7, v2, v6
	s_delay_alu instid0(VALU_DEP_1)
	v_add_nc_u32_e32 v8, v0, v7
	v_cmp_gt_i32_e64 s1, 0x80, v7
	ds_load_u8 v2, v9
	ds_load_u8 v3, v8
	s_waitcnt lgkmcnt(1)
	v_and_b32_e32 v4, 0xff, v2
	s_waitcnt lgkmcnt(0)
	v_and_b32_e32 v5, 0xff, v3
	s_delay_alu instid0(VALU_DEP_1) | instskip(NEXT) | instid1(VALU_DEP_1)
	v_cmp_lt_u16_e64 s0, v5, v4
                                        ; implicit-def: $vgpr4
                                        ; implicit-def: $vgpr5
	s_or_b32 s0, vcc_lo, s0
	s_delay_alu instid0(SALU_CYCLE_1) | instskip(NEXT) | instid1(SALU_CYCLE_1)
	s_and_b32 vcc_lo, s1, s0
	s_xor_b32 s0, vcc_lo, -1
	s_delay_alu instid0(SALU_CYCLE_1) | instskip(NEXT) | instid1(SALU_CYCLE_1)
	s_and_saveexec_b32 s1, s0
	s_xor_b32 s0, exec_lo, s1
	s_cbranch_execz .LBB124_70
; %bb.69:
	ds_load_u8 v5, v9 offset:1
	v_mov_b32_e32 v4, v3
                                        ; implicit-def: $vgpr8
.LBB124_70:
	s_and_not1_saveexec_b32 s0, s0
	s_cbranch_execz .LBB124_72
; %bb.71:
	ds_load_u8 v4, v8 offset:1
	s_waitcnt lgkmcnt(1)
	v_mov_b32_e32 v5, v2
.LBB124_72:
	s_or_b32 exec_lo, exec_lo, s0
	v_add_nc_u32_e32 v8, 1, v6
	v_add_nc_u32_e32 v10, 1, v7
	s_waitcnt lgkmcnt(0)
	v_and_b32_e32 v11, 0xff, v5
	s_delay_alu instid0(VALU_DEP_3) | instskip(NEXT) | instid1(VALU_DEP_3)
	v_cndmask_b32_e32 v9, v8, v6, vcc_lo
	v_cndmask_b32_e32 v8, v7, v10, vcc_lo
	v_and_b32_e32 v6, 0xff, v4
                                        ; implicit-def: $vgpr7
	s_delay_alu instid0(VALU_DEP_3) | instskip(NEXT) | instid1(VALU_DEP_3)
	v_cmp_le_i32_e64 s0, 64, v9
	v_cmp_gt_i32_e64 s2, 0x80, v8
	s_delay_alu instid0(VALU_DEP_3) | instskip(NEXT) | instid1(VALU_DEP_1)
	v_cmp_lt_u16_e64 s1, v6, v11
	s_or_b32 s0, s0, s1
	s_delay_alu instid0(VALU_DEP_2) | instid1(SALU_CYCLE_1)
	s_and_b32 s0, s2, s0
	s_delay_alu instid0(SALU_CYCLE_1) | instskip(NEXT) | instid1(SALU_CYCLE_1)
	s_xor_b32 s1, s0, -1
	s_and_saveexec_b32 s2, s1
	s_delay_alu instid0(SALU_CYCLE_1)
	s_xor_b32 s1, exec_lo, s2
	s_cbranch_execz .LBB124_74
; %bb.73:
	v_add_nc_u32_e32 v6, v0, v9
	ds_load_u8 v7, v6 offset:1
.LBB124_74:
	s_or_saveexec_b32 s1, s1
	v_mov_b32_e32 v6, v4
	s_xor_b32 exec_lo, exec_lo, s1
	s_cbranch_execz .LBB124_76
; %bb.75:
	s_waitcnt lgkmcnt(0)
	v_dual_mov_b32 v7, v5 :: v_dual_add_nc_u32 v6, v0, v8
	ds_load_u8 v6, v6 offset:1
.LBB124_76:
	s_or_b32 exec_lo, exec_lo, s1
	v_add_nc_u32_e32 v10, 1, v9
	v_add_nc_u32_e32 v12, 1, v8
	s_waitcnt lgkmcnt(0)
	v_and_b32_e32 v13, 0xff, v7
	s_delay_alu instid0(VALU_DEP_3) | instskip(SKIP_2) | instid1(VALU_DEP_3)
	v_cndmask_b32_e64 v11, v10, v9, s0
	v_and_b32_e32 v9, 0xff, v6
	v_cndmask_b32_e64 v8, v8, v12, s0
                                        ; implicit-def: $vgpr10
	v_cmp_gt_i32_e64 s1, 64, v11
	s_delay_alu instid0(VALU_DEP_3) | instskip(NEXT) | instid1(VALU_DEP_3)
	v_cmp_ge_u16_e64 s2, v9, v13
	v_cmp_le_i32_e64 s3, 0x80, v8
                                        ; implicit-def: $vgpr9
	s_delay_alu instid0(VALU_DEP_2)
	s_and_b32 s1, s1, s2
	s_delay_alu instid0(VALU_DEP_1) | instid1(SALU_CYCLE_1)
	s_or_b32 s1, s3, s1
	s_delay_alu instid0(SALU_CYCLE_1) | instskip(NEXT) | instid1(SALU_CYCLE_1)
	s_and_saveexec_b32 s2, s1
	s_xor_b32 s1, exec_lo, s2
	s_cbranch_execz .LBB124_78
; %bb.77:
	v_add_nc_u32_e32 v0, v0, v11
	v_add_nc_u32_e32 v10, 1, v11
                                        ; implicit-def: $vgpr11
	ds_load_u8 v9, v0 offset:1
                                        ; implicit-def: $vgpr0
.LBB124_78:
	s_or_saveexec_b32 s1, s1
	v_mov_b32_e32 v12, v7
	s_xor_b32 exec_lo, exec_lo, s1
	s_cbranch_execz .LBB124_80
; %bb.79:
	s_waitcnt lgkmcnt(0)
	v_dual_mov_b32 v9, v7 :: v_dual_add_nc_u32 v0, v0, v8
	v_add_nc_u32_e32 v8, 1, v8
	v_mov_b32_e32 v12, v6
	v_mov_b32_e32 v10, v11
	ds_load_u8 v0, v0 offset:1
	s_waitcnt lgkmcnt(0)
	v_mov_b32_e32 v6, v0
.LBB124_80:
	s_or_b32 exec_lo, exec_lo, s1
	s_waitcnt lgkmcnt(0)
	v_and_b32_e32 v0, 0xff, v9
	s_delay_alu instid0(VALU_DEP_2) | instskip(SKIP_2) | instid1(VALU_DEP_3)
	v_dual_cndmask_b32 v2, v2, v3 :: v_dual_and_b32 v7, 0xff, v6
	v_cmp_le_i32_e64 s1, 64, v10
	v_cmp_gt_i32_e64 s3, 0x80, v8
	v_cmp_lt_u16_e64 s2, v7, v0
	v_cndmask_b32_e64 v0, v5, v4, s0
	v_and_b32_e32 v2, 0xff, v2
	v_and_b32_e32 v4, 0xff, v12
	s_delay_alu instid0(VALU_DEP_4) | instskip(NEXT) | instid1(VALU_DEP_3)
	s_or_b32 s0, s1, s2
	v_lshlrev_b16 v0, 8, v0
	s_and_b32 vcc_lo, s3, s0
	s_add_u32 s0, s6, s8
	v_cndmask_b32_e32 v3, v9, v6, vcc_lo
	s_addc_u32 s1, s7, 0
	v_or_b32_e32 v0, v2, v0
	s_delay_alu instid0(VALU_DEP_2) | instskip(NEXT) | instid1(VALU_DEP_1)
	v_lshlrev_b16 v3, 8, v3
	v_or_b32_e32 v2, v4, v3
	s_delay_alu instid0(VALU_DEP_3) | instskip(SKIP_1) | instid1(VALU_DEP_1)
	v_and_b32_e32 v3, 0xffff, v0
	v_add_co_u32 v0, s0, s0, v1
	v_add_co_ci_u32_e64 v1, null, s1, 0, s0
	s_delay_alu instid0(VALU_DEP_4) | instskip(NEXT) | instid1(VALU_DEP_1)
	v_lshlrev_b32_e32 v2, 16, v2
	v_or_b32_e32 v2, v3, v2
	global_store_b32 v[0:1], v2, off
	s_nop 0
	s_sendmsg sendmsg(MSG_DEALLOC_VGPRS)
	s_endpgm
	.section	.rodata,"a",@progbits
	.p2align	6, 0x0
	.amdhsa_kernel _Z9sort_keysILj256ELj32ELj4EhN10test_utils4lessEEvPKT2_PS2_T3_
		.amdhsa_group_segment_fixed_size 1032
		.amdhsa_private_segment_fixed_size 0
		.amdhsa_kernarg_size 20
		.amdhsa_user_sgpr_count 15
		.amdhsa_user_sgpr_dispatch_ptr 0
		.amdhsa_user_sgpr_queue_ptr 0
		.amdhsa_user_sgpr_kernarg_segment_ptr 1
		.amdhsa_user_sgpr_dispatch_id 0
		.amdhsa_user_sgpr_private_segment_size 0
		.amdhsa_wavefront_size32 1
		.amdhsa_uses_dynamic_stack 0
		.amdhsa_enable_private_segment 0
		.amdhsa_system_sgpr_workgroup_id_x 1
		.amdhsa_system_sgpr_workgroup_id_y 0
		.amdhsa_system_sgpr_workgroup_id_z 0
		.amdhsa_system_sgpr_workgroup_info 0
		.amdhsa_system_vgpr_workitem_id 0
		.amdhsa_next_free_vgpr 22
		.amdhsa_next_free_sgpr 16
		.amdhsa_reserve_vcc 1
		.amdhsa_float_round_mode_32 0
		.amdhsa_float_round_mode_16_64 0
		.amdhsa_float_denorm_mode_32 3
		.amdhsa_float_denorm_mode_16_64 3
		.amdhsa_dx10_clamp 1
		.amdhsa_ieee_mode 1
		.amdhsa_fp16_overflow 0
		.amdhsa_workgroup_processor_mode 1
		.amdhsa_memory_ordered 1
		.amdhsa_forward_progress 0
		.amdhsa_shared_vgpr_count 0
		.amdhsa_exception_fp_ieee_invalid_op 0
		.amdhsa_exception_fp_denorm_src 0
		.amdhsa_exception_fp_ieee_div_zero 0
		.amdhsa_exception_fp_ieee_overflow 0
		.amdhsa_exception_fp_ieee_underflow 0
		.amdhsa_exception_fp_ieee_inexact 0
		.amdhsa_exception_int_div_zero 0
	.end_amdhsa_kernel
	.section	.text._Z9sort_keysILj256ELj32ELj4EhN10test_utils4lessEEvPKT2_PS2_T3_,"axG",@progbits,_Z9sort_keysILj256ELj32ELj4EhN10test_utils4lessEEvPKT2_PS2_T3_,comdat
.Lfunc_end124:
	.size	_Z9sort_keysILj256ELj32ELj4EhN10test_utils4lessEEvPKT2_PS2_T3_, .Lfunc_end124-_Z9sort_keysILj256ELj32ELj4EhN10test_utils4lessEEvPKT2_PS2_T3_
                                        ; -- End function
	.section	.AMDGPU.csdata,"",@progbits
; Kernel info:
; codeLenInByte = 4692
; NumSgprs: 18
; NumVgprs: 22
; ScratchSize: 0
; MemoryBound: 0
; FloatMode: 240
; IeeeMode: 1
; LDSByteSize: 1032 bytes/workgroup (compile time only)
; SGPRBlocks: 2
; VGPRBlocks: 2
; NumSGPRsForWavesPerEU: 18
; NumVGPRsForWavesPerEU: 22
; Occupancy: 16
; WaveLimiterHint : 0
; COMPUTE_PGM_RSRC2:SCRATCH_EN: 0
; COMPUTE_PGM_RSRC2:USER_SGPR: 15
; COMPUTE_PGM_RSRC2:TRAP_HANDLER: 0
; COMPUTE_PGM_RSRC2:TGID_X_EN: 1
; COMPUTE_PGM_RSRC2:TGID_Y_EN: 0
; COMPUTE_PGM_RSRC2:TGID_Z_EN: 0
; COMPUTE_PGM_RSRC2:TIDIG_COMP_CNT: 0
	.section	.text._Z10sort_pairsILj256ELj32ELj4EhN10test_utils4lessEEvPKT2_PS2_T3_,"axG",@progbits,_Z10sort_pairsILj256ELj32ELj4EhN10test_utils4lessEEvPKT2_PS2_T3_,comdat
	.protected	_Z10sort_pairsILj256ELj32ELj4EhN10test_utils4lessEEvPKT2_PS2_T3_ ; -- Begin function _Z10sort_pairsILj256ELj32ELj4EhN10test_utils4lessEEvPKT2_PS2_T3_
	.globl	_Z10sort_pairsILj256ELj32ELj4EhN10test_utils4lessEEvPKT2_PS2_T3_
	.p2align	8
	.type	_Z10sort_pairsILj256ELj32ELj4EhN10test_utils4lessEEvPKT2_PS2_T3_,@function
_Z10sort_pairsILj256ELj32ELj4EhN10test_utils4lessEEvPKT2_PS2_T3_: ; @_Z10sort_pairsILj256ELj32ELj4EhN10test_utils4lessEEvPKT2_PS2_T3_
; %bb.0:
	s_load_b128 s[8:11], s[0:1], 0x0
	s_lshl_b32 s12, s15, 10
	v_lshlrev_b32_e32 v1, 2, v0
	v_lshrrev_b32_e32 v0, 5, v0
	s_mov_b32 s6, 0
	s_mov_b32 s7, exec_lo
	s_waitcnt lgkmcnt(0)
	s_add_u32 s0, s8, s12
	s_addc_u32 s1, s9, 0
	global_load_b32 v3, v1, s[0:1]
	; wave barrier
	s_waitcnt vmcnt(0)
	v_lshrrev_b32_e32 v4, 8, v3
	v_and_b32_e32 v2, 0xff, v3
	v_perm_b32 v6, v3, v3, 0x7060405
	s_delay_alu instid0(VALU_DEP_3) | instskip(NEXT) | instid1(VALU_DEP_1)
	v_and_b32_e32 v5, 0xff, v4
	v_cmp_lt_u16_e64 s0, v5, v2
	s_delay_alu instid0(VALU_DEP_1) | instskip(NEXT) | instid1(VALU_DEP_1)
	v_cndmask_b32_e64 v2, v3, v6, s0
	v_lshrrev_b32_e32 v5, 16, v2
	v_lshrrev_b32_e32 v7, 24, v2
	s_delay_alu instid0(VALU_DEP_2) | instskip(SKIP_1) | instid1(VALU_DEP_2)
	v_perm_b32 v6, 0, v5, 0xc0c0001
	v_and_b32_e32 v5, 0xff, v5
	v_lshlrev_b32_e32 v6, 16, v6
	s_delay_alu instid0(VALU_DEP_2) | instskip(SKIP_1) | instid1(VALU_DEP_3)
	v_cmp_lt_u16_e64 s1, v7, v5
	v_min_u16 v5, v7, v5
	v_and_or_b32 v6, 0xffff, v2, v6
	s_delay_alu instid0(VALU_DEP_2) | instskip(NEXT) | instid1(VALU_DEP_2)
	v_lshlrev_b16 v7, 8, v5
	v_cndmask_b32_e64 v2, v2, v6, s1
	s_delay_alu instid0(VALU_DEP_1) | instskip(SKIP_2) | instid1(VALU_DEP_3)
	v_lshrrev_b32_e32 v6, 16, v2
	v_lshrrev_b16 v8, 8, v2
	v_and_b32_e32 v9, 0xff, v2
	v_and_b32_e32 v6, 0xffffff00, v6
	s_delay_alu instid0(VALU_DEP_2) | instskip(NEXT) | instid1(VALU_DEP_2)
	v_or_b32_e32 v7, v9, v7
	v_or_b32_e32 v6, v8, v6
	v_lshrrev_b32_e32 v8, 8, v2
	s_delay_alu instid0(VALU_DEP_3) | instskip(NEXT) | instid1(VALU_DEP_3)
	v_and_b32_e32 v7, 0xffff, v7
	v_lshlrev_b32_e32 v6, 16, v6
	s_delay_alu instid0(VALU_DEP_3) | instskip(NEXT) | instid1(VALU_DEP_2)
	v_and_b32_e32 v8, 0xff, v8
	v_or_b32_e32 v6, v7, v6
	s_delay_alu instid0(VALU_DEP_2) | instskip(SKIP_2) | instid1(VALU_DEP_3)
	v_cmp_lt_u16_e64 s2, v5, v8
	v_min_u16 v5, v5, v8
	v_mbcnt_lo_u32_b32 v8, -1, 0
	v_cndmask_b32_e64 v2, v2, v6, s2
	s_delay_alu instid0(VALU_DEP_1) | instskip(SKIP_1) | instid1(VALU_DEP_2)
	v_lshlrev_b16 v6, 8, v2
	v_and_b32_e32 v7, 0xff, v2
	v_or_b32_e32 v6, v5, v6
	s_delay_alu instid0(VALU_DEP_2) | instskip(NEXT) | instid1(VALU_DEP_2)
	v_cmp_lt_u16_e64 s3, v5, v7
	v_and_b32_e32 v6, 0xffff, v6
	s_delay_alu instid0(VALU_DEP_1) | instskip(NEXT) | instid1(VALU_DEP_1)
	v_and_or_b32 v6, 0xffff0000, v2, v6
	v_cndmask_b32_e64 v2, v2, v6, s3
	s_delay_alu instid0(VALU_DEP_1) | instskip(SKIP_1) | instid1(VALU_DEP_2)
	v_lshrrev_b32_e32 v5, 16, v2
	v_lshrrev_b32_e32 v7, 24, v2
	v_perm_b32 v6, 0, v5, 0xc0c0001
	v_and_b32_e32 v5, 0xff, v5
	s_delay_alu instid0(VALU_DEP_2) | instskip(NEXT) | instid1(VALU_DEP_2)
	v_lshlrev_b32_e32 v6, 16, v6
	v_cmp_lt_u16_e32 vcc_lo, v7, v5
	v_min_u16 v12, v7, v5
	s_delay_alu instid0(VALU_DEP_3) | instskip(NEXT) | instid1(VALU_DEP_1)
	v_and_or_b32 v6, 0xffff, v2, v6
	v_dual_cndmask_b32 v11, v2, v6 :: v_dual_lshlrev_b32 v2, 2, v8
	s_delay_alu instid0(VALU_DEP_3) | instskip(NEXT) | instid1(VALU_DEP_2)
	v_lshlrev_b16 v8, 8, v12
	v_lshrrev_b32_e32 v5, 16, v11
	s_delay_alu instid0(VALU_DEP_3)
	v_and_b32_e32 v7, 0x78, v2
	v_lshrrev_b16 v9, 8, v11
	v_and_b32_e32 v10, 0xff, v11
	v_lshrrev_b32_e32 v14, 8, v11
	v_and_b32_e32 v13, 0xffffff00, v5
	v_or_b32_e32 v6, 4, v7
	v_add_nc_u32_e32 v5, 8, v7
	v_or_b32_e32 v10, v10, v8
	v_and_b32_e32 v8, 4, v2
	v_or_b32_e32 v9, v9, v13
	v_and_b32_e32 v14, 0xff, v14
	v_sub_nc_u32_e32 v13, v5, v6
	v_and_b32_e32 v10, 0xffff, v10
	v_sub_nc_u32_e32 v15, v6, v7
	v_lshlrev_b32_e32 v9, 16, v9
	v_mad_u32_u24 v16, 0x81, v0, v2
	v_sub_nc_u32_e32 v17, v8, v13
	v_cmp_ge_i32_e64 s4, v8, v13
	v_mul_u32_u24_e32 v0, 0x81, v0
	v_or_b32_e32 v18, v10, v9
	v_min_i32_e32 v10, v8, v15
	s_delay_alu instid0(VALU_DEP_4) | instskip(SKIP_1) | instid1(VALU_DEP_1)
	v_cndmask_b32_e64 v9, 0, v17, s4
	v_cmp_lt_u16_e64 s4, v12, v14
	v_cndmask_b32_e64 v11, v11, v18, s4
	ds_store_b32 v16, v11
	; wave barrier
	v_cmpx_lt_i32_e64 v9, v10
	s_cbranch_execz .LBB125_4
; %bb.1:
	v_add_nc_u32_e32 v11, v0, v7
	v_add3_u32 v12, v0, v6, v8
	.p2align	6
.LBB125_2:                              ; =>This Inner Loop Header: Depth=1
	v_sub_nc_u32_e32 v13, v10, v9
	s_delay_alu instid0(VALU_DEP_1) | instskip(NEXT) | instid1(VALU_DEP_1)
	v_lshrrev_b32_e32 v14, 31, v13
	v_add_nc_u32_e32 v13, v13, v14
	s_delay_alu instid0(VALU_DEP_1) | instskip(NEXT) | instid1(VALU_DEP_1)
	v_ashrrev_i32_e32 v13, 1, v13
	v_add_nc_u32_e32 v13, v13, v9
	s_delay_alu instid0(VALU_DEP_1)
	v_add_nc_u32_e32 v14, v11, v13
	v_xad_u32 v15, v13, -1, v12
	v_add_nc_u32_e32 v16, 1, v13
	ds_load_u8 v14, v14
	ds_load_u8 v15, v15
	s_waitcnt lgkmcnt(0)
	v_cmp_lt_u16_e64 s5, v15, v14
	s_delay_alu instid0(VALU_DEP_1) | instskip(SKIP_1) | instid1(VALU_DEP_1)
	v_cndmask_b32_e64 v10, v10, v13, s5
	v_cndmask_b32_e64 v9, v16, v9, s5
	v_cmp_ge_i32_e64 s5, v9, v10
	s_delay_alu instid0(VALU_DEP_1) | instskip(NEXT) | instid1(SALU_CYCLE_1)
	s_or_b32 s6, s5, s6
	s_and_not1_b32 exec_lo, exec_lo, s6
	s_cbranch_execnz .LBB125_2
; %bb.3:
	s_or_b32 exec_lo, exec_lo, s6
.LBB125_4:
	s_delay_alu instid0(SALU_CYCLE_1) | instskip(SKIP_4) | instid1(VALU_DEP_4)
	s_or_b32 exec_lo, exec_lo, s7
	v_add_nc_u32_e32 v8, v6, v8
	v_add_nc_u32_e32 v7, v9, v7
	v_lshrrev_b32_e32 v16, 16, v3
	v_lshrrev_b32_e32 v11, 24, v3
	v_sub_nc_u32_e32 v10, v8, v9
	s_delay_alu instid0(VALU_DEP_4) | instskip(SKIP_1) | instid1(VALU_DEP_3)
	v_add_nc_u32_e32 v15, v0, v7
	v_cmp_le_i32_e64 s5, v6, v7
	v_add_nc_u32_e32 v14, v0, v10
	v_cmp_gt_i32_e64 s7, v5, v10
	ds_load_u8 v8, v15
	ds_load_u8 v9, v14
	s_waitcnt lgkmcnt(1)
	v_and_b32_e32 v12, 0xff, v8
	s_waitcnt lgkmcnt(0)
	v_and_b32_e32 v13, 0xff, v9
	s_delay_alu instid0(VALU_DEP_1) | instskip(NEXT) | instid1(VALU_DEP_1)
	v_cmp_lt_u16_e64 s6, v13, v12
                                        ; implicit-def: $vgpr12
                                        ; implicit-def: $vgpr13
	s_or_b32 s5, s5, s6
	s_delay_alu instid0(SALU_CYCLE_1) | instskip(NEXT) | instid1(SALU_CYCLE_1)
	s_and_b32 s5, s7, s5
	s_xor_b32 s6, s5, -1
	s_delay_alu instid0(SALU_CYCLE_1) | instskip(NEXT) | instid1(SALU_CYCLE_1)
	s_and_saveexec_b32 s7, s6
	s_xor_b32 s6, exec_lo, s7
	s_cbranch_execz .LBB125_6
; %bb.5:
	ds_load_u8 v13, v15 offset:1
	v_mov_b32_e32 v12, v9
                                        ; implicit-def: $vgpr14
.LBB125_6:
	s_and_not1_saveexec_b32 s6, s6
	s_cbranch_execz .LBB125_8
; %bb.7:
	ds_load_u8 v12, v14 offset:1
	s_waitcnt lgkmcnt(1)
	v_mov_b32_e32 v13, v8
.LBB125_8:
	s_or_b32 exec_lo, exec_lo, s6
	v_add_nc_u32_e32 v14, 1, v7
	v_add_nc_u32_e32 v15, 1, v10
	s_waitcnt lgkmcnt(0)
	v_and_b32_e32 v19, 0xff, v13
	s_delay_alu instid0(VALU_DEP_3) | instskip(SKIP_2) | instid1(VALU_DEP_3)
	v_cndmask_b32_e64 v17, v14, v7, s5
	v_and_b32_e32 v14, 0xff, v12
	v_cndmask_b32_e64 v18, v10, v15, s5
	v_cmp_ge_i32_e64 s6, v17, v6
	s_delay_alu instid0(VALU_DEP_3) | instskip(NEXT) | instid1(VALU_DEP_3)
	v_cmp_lt_u16_e64 s7, v14, v19
	v_cmp_lt_i32_e64 s8, v18, v5
                                        ; implicit-def: $vgpr14
	s_delay_alu instid0(VALU_DEP_2)
	s_or_b32 s6, s6, s7
	s_delay_alu instid0(VALU_DEP_1) | instid1(SALU_CYCLE_1)
	s_and_b32 s6, s8, s6
	s_delay_alu instid0(SALU_CYCLE_1) | instskip(NEXT) | instid1(SALU_CYCLE_1)
	s_xor_b32 s7, s6, -1
	s_and_saveexec_b32 s8, s7
	s_delay_alu instid0(SALU_CYCLE_1)
	s_xor_b32 s7, exec_lo, s8
	s_cbranch_execz .LBB125_10
; %bb.9:
	v_add_nc_u32_e32 v14, v0, v17
	ds_load_u8 v14, v14 offset:1
.LBB125_10:
	s_or_saveexec_b32 s7, s7
	v_mov_b32_e32 v15, v12
	s_xor_b32 exec_lo, exec_lo, s7
	s_cbranch_execz .LBB125_12
; %bb.11:
	s_waitcnt lgkmcnt(0)
	v_add_nc_u32_e32 v14, v0, v18
	ds_load_u8 v15, v14 offset:1
	v_mov_b32_e32 v14, v13
.LBB125_12:
	s_or_b32 exec_lo, exec_lo, s7
	v_add_nc_u32_e32 v19, 1, v17
	v_add_nc_u32_e32 v21, 1, v18
	s_waitcnt lgkmcnt(0)
	v_and_b32_e32 v22, 0xff, v14
	v_and_b32_e32 v23, 0xff, v15
	v_cndmask_b32_e64 v20, v19, v17, s6
	v_cndmask_b32_e64 v19, v18, v21, s6
                                        ; implicit-def: $vgpr21
	s_delay_alu instid0(VALU_DEP_3) | instskip(NEXT) | instid1(VALU_DEP_3)
	v_cmp_lt_u16_e64 s8, v23, v22
	v_cmp_ge_i32_e64 s7, v20, v6
	s_delay_alu instid0(VALU_DEP_3) | instskip(NEXT) | instid1(VALU_DEP_2)
	v_cmp_lt_i32_e64 s9, v19, v5
	s_or_b32 s7, s7, s8
	s_delay_alu instid0(VALU_DEP_1) | instid1(SALU_CYCLE_1)
	s_and_b32 s7, s9, s7
	s_delay_alu instid0(SALU_CYCLE_1) | instskip(NEXT) | instid1(SALU_CYCLE_1)
	s_xor_b32 s8, s7, -1
	s_and_saveexec_b32 s9, s8
	s_delay_alu instid0(SALU_CYCLE_1)
	s_xor_b32 s8, exec_lo, s9
	s_cbranch_execz .LBB125_14
; %bb.13:
	v_add_nc_u32_e32 v21, v0, v20
	ds_load_u8 v21, v21 offset:1
.LBB125_14:
	s_or_saveexec_b32 s8, s8
	v_mov_b32_e32 v22, v15
	s_xor_b32 exec_lo, exec_lo, s8
	s_cbranch_execz .LBB125_16
; %bb.15:
	s_waitcnt lgkmcnt(0)
	v_add_nc_u32_e32 v21, v0, v19
	ds_load_u8 v22, v21 offset:1
	v_mov_b32_e32 v21, v14
.LBB125_16:
	s_or_b32 exec_lo, exec_lo, s8
	v_add_nc_u16 v16, v16, 1
	v_add_nc_u16 v4, v4, 1
	;; [unrolled: 1-line block ×3, first 2 shown]
	v_lshlrev_b16 v11, 8, v11
	v_cndmask_b32_e64 v18, v17, v18, s6
	v_and_b32_e32 v16, 0xff, v16
	v_lshlrev_b16 v23, 8, v4
	v_and_b32_e32 v24, 0xff, v3
	v_lshlrev_b16 v3, 8, v3
	v_cndmask_b32_e64 v7, v7, v10, s5
	v_or_b32_e32 v11, v11, v16
	s_waitcnt lgkmcnt(0)
	v_and_b32_e32 v10, 0xff, v21
	v_or_b32_e32 v16, v24, v23
	v_add_nc_u32_e32 v23, 1, v20
	v_cndmask_b32_e64 v24, v20, v19, s7
	v_and_b32_e32 v25, 0xff, v22
	; wave barrier
	s_delay_alu instid0(VALU_DEP_3) | instskip(SKIP_3) | instid1(VALU_DEP_3)
	v_cndmask_b32_e64 v20, v23, v20, s7
	v_and_b32_e32 v4, 0xff, v4
	v_cndmask_b32_e64 v8, v8, v9, s5
	v_cndmask_b32_e64 v9, v13, v12, s6
	v_or_b32_e32 v3, v4, v3
	v_add_nc_u16 v4, v11, 0x100
	v_and_b32_e32 v11, 0xffff, v16
	s_delay_alu instid0(VALU_DEP_3) | instskip(NEXT) | instid1(VALU_DEP_3)
	v_and_b32_e32 v3, 0xffff, v3
	v_lshlrev_b32_e32 v16, 16, v4
	v_perm_b32 v4, 0, v4, 0xc0c0001
	s_delay_alu instid0(VALU_DEP_3) | instskip(SKIP_1) | instid1(VALU_DEP_3)
	v_cndmask_b32_e64 v3, v11, v3, s0
	v_add_nc_u32_e32 v11, 1, v19
	v_lshlrev_b32_e32 v4, 16, v4
	v_cmp_lt_u16_e64 s0, v25, v10
	s_delay_alu instid0(VALU_DEP_4) | instskip(NEXT) | instid1(VALU_DEP_4)
	v_or_b32_e32 v3, v3, v16
	v_cndmask_b32_e64 v19, v19, v11, s7
	v_and_b32_e32 v16, 0x70, v2
	s_delay_alu instid0(VALU_DEP_3) | instskip(NEXT) | instid1(VALU_DEP_2)
	v_and_or_b32 v4, 0xffff, v3, v4
	v_or_b32_e32 v10, 8, v16
	v_add_nc_u32_e32 v11, 16, v16
	s_delay_alu instid0(VALU_DEP_3) | instskip(SKIP_2) | instid1(VALU_DEP_3)
	v_cndmask_b32_e64 v3, v3, v4, s1
	v_cmp_ge_i32_e64 s1, v20, v6
	v_add_nc_u32_e32 v6, v0, v7
	v_perm_b32 v4, v3, v3, 0x7050604
	s_delay_alu instid0(VALU_DEP_3) | instskip(SKIP_1) | instid1(VALU_DEP_1)
	s_or_b32 s0, s1, s0
	s_mov_b32 s1, 0
	v_cndmask_b32_e64 v3, v3, v4, s2
	s_delay_alu instid0(VALU_DEP_1) | instskip(NEXT) | instid1(VALU_DEP_1)
	v_perm_b32 v4, 0, v3, 0xc0c0001
	v_and_or_b32 v4, 0xffff0000, v3, v4
	s_delay_alu instid0(VALU_DEP_1) | instskip(NEXT) | instid1(VALU_DEP_1)
	v_cndmask_b32_e64 v4, v3, v4, s3
	v_lshrrev_b32_e32 v3, 16, v4
	s_delay_alu instid0(VALU_DEP_1) | instskip(NEXT) | instid1(VALU_DEP_1)
	v_perm_b32 v3, 0, v3, 0xc0c0001
	v_lshlrev_b32_e32 v17, 16, v3
	v_add_nc_u32_e32 v3, v0, v2
	s_delay_alu instid0(VALU_DEP_2) | instskip(NEXT) | instid1(VALU_DEP_1)
	v_and_or_b32 v23, 0xffff, v4, v17
	v_dual_cndmask_b32 v4, v4, v23 :: v_dual_and_b32 v17, 12, v2
	v_cmp_lt_i32_e32 vcc_lo, v19, v5
	s_delay_alu instid0(VALU_DEP_2)
	v_perm_b32 v5, v4, v4, 0x7050604
	s_and_b32 vcc_lo, vcc_lo, s0
	s_mov_b32 s0, exec_lo
	v_cndmask_b32_e32 v7, v20, v19, vcc_lo
	v_sub_nc_u32_e32 v19, v11, v10
	v_cndmask_b32_e64 v4, v4, v5, s4
	v_add_nc_u32_e32 v5, v0, v18
	v_add_nc_u32_e32 v18, v0, v24
	;; [unrolled: 1-line block ×3, first 2 shown]
	v_cndmask_b32_e32 v21, v21, v22, vcc_lo
	ds_store_b32 v3, v4
	; wave barrier
	ds_load_u8 v4, v6
	ds_load_u8 v5, v5
	;; [unrolled: 1-line block ×4, first 2 shown]
	v_sub_nc_u32_e32 v18, v17, v19
	v_sub_nc_u32_e32 v20, v10, v16
	v_cmp_ge_i32_e32 vcc_lo, v17, v19
	v_cndmask_b32_e64 v22, v14, v15, s7
	; wave barrier
	s_delay_alu instid0(VALU_DEP_3)
	v_min_i32_e32 v15, v17, v20
	v_cndmask_b32_e32 v14, 0, v18, vcc_lo
	ds_store_b8 v3, v8
	ds_store_b8 v3, v9 offset:1
	ds_store_b8 v3, v22 offset:2
	;; [unrolled: 1-line block ×3, first 2 shown]
	; wave barrier
	v_cmpx_lt_i32_e64 v14, v15
	s_cbranch_execz .LBB125_20
; %bb.17:
	v_add_nc_u32_e32 v8, v0, v16
	v_add3_u32 v9, v0, v10, v17
	.p2align	6
.LBB125_18:                             ; =>This Inner Loop Header: Depth=1
	v_sub_nc_u32_e32 v12, v15, v14
	s_delay_alu instid0(VALU_DEP_1) | instskip(NEXT) | instid1(VALU_DEP_1)
	v_lshrrev_b32_e32 v13, 31, v12
	v_add_nc_u32_e32 v12, v12, v13
	s_delay_alu instid0(VALU_DEP_1) | instskip(NEXT) | instid1(VALU_DEP_1)
	v_ashrrev_i32_e32 v12, 1, v12
	v_add_nc_u32_e32 v12, v12, v14
	s_delay_alu instid0(VALU_DEP_1)
	v_add_nc_u32_e32 v19, 1, v12
	v_add_nc_u32_e32 v13, v8, v12
	v_xad_u32 v18, v12, -1, v9
	ds_load_u8 v13, v13
	ds_load_u8 v18, v18
	s_waitcnt lgkmcnt(0)
	v_cmp_lt_u16_e32 vcc_lo, v18, v13
	v_cndmask_b32_e32 v14, v19, v14, vcc_lo
	v_cndmask_b32_e32 v15, v15, v12, vcc_lo
	s_delay_alu instid0(VALU_DEP_1) | instskip(SKIP_1) | instid1(SALU_CYCLE_1)
	v_cmp_ge_i32_e32 vcc_lo, v14, v15
	s_or_b32 s1, vcc_lo, s1
	s_and_not1_b32 exec_lo, exec_lo, s1
	s_cbranch_execnz .LBB125_18
; %bb.19:
	s_or_b32 exec_lo, exec_lo, s1
.LBB125_20:
	s_delay_alu instid0(SALU_CYCLE_1) | instskip(SKIP_2) | instid1(VALU_DEP_2)
	s_or_b32 exec_lo, exec_lo, s0
	v_add_nc_u32_e32 v9, v10, v17
	v_add_nc_u32_e32 v8, v14, v16
	v_sub_nc_u32_e32 v9, v9, v14
	s_delay_alu instid0(VALU_DEP_2) | instskip(SKIP_1) | instid1(VALU_DEP_3)
	v_add_nc_u32_e32 v17, v0, v8
	v_cmp_le_i32_e32 vcc_lo, v10, v8
	v_add_nc_u32_e32 v16, v0, v9
	v_cmp_gt_i32_e64 s1, v11, v9
	ds_load_u8 v12, v17
	ds_load_u8 v13, v16
	s_waitcnt lgkmcnt(1)
	v_and_b32_e32 v14, 0xff, v12
	s_waitcnt lgkmcnt(0)
	v_and_b32_e32 v15, 0xff, v13
	s_delay_alu instid0(VALU_DEP_1) | instskip(NEXT) | instid1(VALU_DEP_1)
	v_cmp_lt_u16_e64 s0, v15, v14
                                        ; implicit-def: $vgpr14
                                        ; implicit-def: $vgpr15
	s_or_b32 s0, vcc_lo, s0
	s_delay_alu instid0(SALU_CYCLE_1) | instskip(NEXT) | instid1(SALU_CYCLE_1)
	s_and_b32 vcc_lo, s1, s0
	s_xor_b32 s0, vcc_lo, -1
	s_delay_alu instid0(SALU_CYCLE_1) | instskip(NEXT) | instid1(SALU_CYCLE_1)
	s_and_saveexec_b32 s1, s0
	s_xor_b32 s0, exec_lo, s1
	s_cbranch_execz .LBB125_22
; %bb.21:
	ds_load_u8 v15, v17 offset:1
	v_mov_b32_e32 v14, v13
                                        ; implicit-def: $vgpr16
.LBB125_22:
	s_and_not1_saveexec_b32 s0, s0
	s_cbranch_execz .LBB125_24
; %bb.23:
	ds_load_u8 v14, v16 offset:1
	s_waitcnt lgkmcnt(1)
	v_mov_b32_e32 v15, v12
.LBB125_24:
	s_or_b32 exec_lo, exec_lo, s0
	v_add_nc_u32_e32 v17, 1, v9
	v_add_nc_u32_e32 v16, 1, v8
	s_waitcnt lgkmcnt(0)
	s_delay_alu instid0(VALU_DEP_2) | instskip(NEXT) | instid1(VALU_DEP_2)
	v_dual_cndmask_b32 v19, v9, v17 :: v_dual_and_b32 v20, 0xff, v15
	v_cndmask_b32_e32 v18, v16, v8, vcc_lo
	v_and_b32_e32 v16, 0xff, v14
	s_delay_alu instid0(VALU_DEP_3) | instskip(NEXT) | instid1(VALU_DEP_3)
	v_cmp_lt_i32_e64 s2, v19, v11
	v_cmp_ge_i32_e64 s0, v18, v10
	s_delay_alu instid0(VALU_DEP_3) | instskip(NEXT) | instid1(VALU_DEP_1)
	v_cmp_lt_u16_e64 s1, v16, v20
                                        ; implicit-def: $vgpr16
	s_or_b32 s0, s0, s1
	s_delay_alu instid0(VALU_DEP_3) | instid1(SALU_CYCLE_1)
	s_and_b32 s0, s2, s0
	s_delay_alu instid0(SALU_CYCLE_1) | instskip(NEXT) | instid1(SALU_CYCLE_1)
	s_xor_b32 s1, s0, -1
	s_and_saveexec_b32 s2, s1
	s_delay_alu instid0(SALU_CYCLE_1)
	s_xor_b32 s1, exec_lo, s2
	s_cbranch_execz .LBB125_26
; %bb.25:
	v_add_nc_u32_e32 v16, v0, v18
	ds_load_u8 v16, v16 offset:1
.LBB125_26:
	s_or_saveexec_b32 s1, s1
	v_mov_b32_e32 v17, v14
	s_xor_b32 exec_lo, exec_lo, s1
	s_cbranch_execz .LBB125_28
; %bb.27:
	s_waitcnt lgkmcnt(0)
	v_add_nc_u32_e32 v16, v0, v19
	ds_load_u8 v17, v16 offset:1
	v_mov_b32_e32 v16, v15
.LBB125_28:
	s_or_b32 exec_lo, exec_lo, s1
	v_add_nc_u32_e32 v20, 1, v18
	v_add_nc_u32_e32 v21, 1, v19
	s_waitcnt lgkmcnt(0)
	v_and_b32_e32 v24, 0xff, v16
	s_delay_alu instid0(VALU_DEP_3) | instskip(SKIP_2) | instid1(VALU_DEP_3)
	v_cndmask_b32_e64 v22, v20, v18, s0
	v_and_b32_e32 v20, 0xff, v17
	v_cndmask_b32_e64 v23, v19, v21, s0
	v_cmp_ge_i32_e64 s1, v22, v10
	s_delay_alu instid0(VALU_DEP_3) | instskip(NEXT) | instid1(VALU_DEP_3)
	v_cmp_lt_u16_e64 s2, v20, v24
	v_cmp_lt_i32_e64 s3, v23, v11
                                        ; implicit-def: $vgpr20
	s_delay_alu instid0(VALU_DEP_2)
	s_or_b32 s1, s1, s2
	s_delay_alu instid0(VALU_DEP_1) | instid1(SALU_CYCLE_1)
	s_and_b32 s1, s3, s1
	s_delay_alu instid0(SALU_CYCLE_1) | instskip(NEXT) | instid1(SALU_CYCLE_1)
	s_xor_b32 s2, s1, -1
	s_and_saveexec_b32 s3, s2
	s_delay_alu instid0(SALU_CYCLE_1)
	s_xor_b32 s2, exec_lo, s3
	s_cbranch_execz .LBB125_30
; %bb.29:
	v_add_nc_u32_e32 v20, v0, v22
	ds_load_u8 v20, v20 offset:1
.LBB125_30:
	s_or_saveexec_b32 s2, s2
	v_mov_b32_e32 v21, v17
	s_xor_b32 exec_lo, exec_lo, s2
	s_cbranch_execz .LBB125_32
; %bb.31:
	s_waitcnt lgkmcnt(0)
	v_add_nc_u32_e32 v20, v0, v23
	ds_load_u8 v21, v20 offset:1
	v_mov_b32_e32 v20, v16
.LBB125_32:
	s_or_b32 exec_lo, exec_lo, s2
	v_add_nc_u32_e32 v24, 1, v22
	v_dual_cndmask_b32 v8, v8, v9 :: v_dual_add_nc_u32 v25, 1, v23
	s_waitcnt lgkmcnt(0)
	v_and_b32_e32 v26, 0xff, v20
	v_and_b32_e32 v27, 0xff, v21
	v_cndmask_b32_e64 v24, v24, v22, s1
	v_cndmask_b32_e64 v22, v22, v23, s1
	;; [unrolled: 1-line block ×4, first 2 shown]
	v_cmp_lt_u16_e64 s2, v27, v26
	v_cmp_ge_i32_e64 s3, v24, v10
	s_delay_alu instid0(VALU_DEP_4)
	v_cmp_lt_i32_e64 s4, v23, v11
	; wave barrier
	ds_store_b8 v3, v4
	ds_store_b8 v3, v5 offset:1
	ds_store_b8 v3, v6 offset:2
	;; [unrolled: 1-line block ×3, first 2 shown]
	s_or_b32 s2, s3, s2
	v_add_nc_u32_e32 v4, v0, v8
	s_and_b32 s2, s4, s2
	v_add_nc_u32_e32 v5, v0, v18
	v_cndmask_b32_e64 v11, v24, v23, s2
	v_and_b32_e32 v10, 0x60, v2
	v_add_nc_u32_e32 v6, v0, v22
	; wave barrier
	s_delay_alu instid0(VALU_DEP_3) | instskip(NEXT) | instid1(VALU_DEP_3)
	v_add_nc_u32_e32 v7, v0, v11
	v_or_b32_e32 v9, 16, v10
	ds_load_u8 v4, v4
	ds_load_u8 v5, v5
	;; [unrolled: 1-line block ×4, first 2 shown]
	v_add_nc_u32_e32 v8, 32, v10
	v_dual_cndmask_b32 v12, v12, v13 :: v_dual_and_b32 v11, 28, v2
	v_cndmask_b32_e64 v19, v20, v21, s2
	v_sub_nc_u32_e32 v21, v9, v10
	s_delay_alu instid0(VALU_DEP_4)
	v_sub_nc_u32_e32 v18, v8, v9
	v_cndmask_b32_e64 v22, v16, v17, s1
	v_cndmask_b32_e64 v13, v15, v14, s0
	s_mov_b32 s0, exec_lo
	v_min_i32_e32 v17, v11, v21
	v_sub_nc_u32_e32 v20, v11, v18
	v_cmp_ge_i32_e64 s1, v11, v18
	; wave barrier
	ds_store_b8 v3, v12
	ds_store_b8 v3, v13 offset:1
	ds_store_b8 v3, v22 offset:2
	;; [unrolled: 1-line block ×3, first 2 shown]
	v_cndmask_b32_e64 v16, 0, v20, s1
	s_mov_b32 s1, 0
	; wave barrier
	s_delay_alu instid0(VALU_DEP_1)
	v_cmpx_lt_i32_e64 v16, v17
	s_cbranch_execz .LBB125_36
; %bb.33:
	v_add_nc_u32_e32 v12, v0, v10
	v_add3_u32 v13, v0, v9, v11
	.p2align	6
.LBB125_34:                             ; =>This Inner Loop Header: Depth=1
	v_sub_nc_u32_e32 v14, v17, v16
	s_delay_alu instid0(VALU_DEP_1) | instskip(NEXT) | instid1(VALU_DEP_1)
	v_lshrrev_b32_e32 v15, 31, v14
	v_add_nc_u32_e32 v14, v14, v15
	s_delay_alu instid0(VALU_DEP_1) | instskip(NEXT) | instid1(VALU_DEP_1)
	v_ashrrev_i32_e32 v14, 1, v14
	v_add_nc_u32_e32 v14, v14, v16
	s_delay_alu instid0(VALU_DEP_1)
	v_add_nc_u32_e32 v19, 1, v14
	v_add_nc_u32_e32 v15, v12, v14
	v_xad_u32 v18, v14, -1, v13
	ds_load_u8 v15, v15
	ds_load_u8 v18, v18
	s_waitcnt lgkmcnt(0)
	v_cmp_lt_u16_e32 vcc_lo, v18, v15
	v_dual_cndmask_b32 v16, v19, v16 :: v_dual_cndmask_b32 v17, v17, v14
	s_delay_alu instid0(VALU_DEP_1) | instskip(SKIP_1) | instid1(SALU_CYCLE_1)
	v_cmp_ge_i32_e32 vcc_lo, v16, v17
	s_or_b32 s1, vcc_lo, s1
	s_and_not1_b32 exec_lo, exec_lo, s1
	s_cbranch_execnz .LBB125_34
; %bb.35:
	s_or_b32 exec_lo, exec_lo, s1
.LBB125_36:
	s_delay_alu instid0(SALU_CYCLE_1) | instskip(SKIP_2) | instid1(VALU_DEP_2)
	s_or_b32 exec_lo, exec_lo, s0
	v_add_nc_u32_e32 v11, v9, v11
	v_add_nc_u32_e32 v14, v16, v10
	v_sub_nc_u32_e32 v15, v11, v16
	s_delay_alu instid0(VALU_DEP_2) | instskip(SKIP_1) | instid1(VALU_DEP_3)
	v_add_nc_u32_e32 v17, v0, v14
	v_cmp_le_i32_e32 vcc_lo, v9, v14
	v_add_nc_u32_e32 v16, v0, v15
	v_cmp_gt_i32_e64 s1, v8, v15
	ds_load_u8 v10, v17
	ds_load_u8 v11, v16
	s_waitcnt lgkmcnt(1)
	v_and_b32_e32 v12, 0xff, v10
	s_waitcnt lgkmcnt(0)
	v_and_b32_e32 v13, 0xff, v11
	s_delay_alu instid0(VALU_DEP_1) | instskip(NEXT) | instid1(VALU_DEP_1)
	v_cmp_lt_u16_e64 s0, v13, v12
                                        ; implicit-def: $vgpr12
                                        ; implicit-def: $vgpr13
	s_or_b32 s0, vcc_lo, s0
	s_delay_alu instid0(SALU_CYCLE_1) | instskip(NEXT) | instid1(SALU_CYCLE_1)
	s_and_b32 vcc_lo, s1, s0
	s_xor_b32 s0, vcc_lo, -1
	s_delay_alu instid0(SALU_CYCLE_1) | instskip(NEXT) | instid1(SALU_CYCLE_1)
	s_and_saveexec_b32 s1, s0
	s_xor_b32 s0, exec_lo, s1
	s_cbranch_execz .LBB125_38
; %bb.37:
	ds_load_u8 v13, v17 offset:1
	v_mov_b32_e32 v12, v11
                                        ; implicit-def: $vgpr16
.LBB125_38:
	s_and_not1_saveexec_b32 s0, s0
	s_cbranch_execz .LBB125_40
; %bb.39:
	ds_load_u8 v12, v16 offset:1
	s_waitcnt lgkmcnt(1)
	v_mov_b32_e32 v13, v10
.LBB125_40:
	s_or_b32 exec_lo, exec_lo, s0
	v_add_nc_u32_e32 v17, 1, v15
	v_add_nc_u32_e32 v16, 1, v14
	s_waitcnt lgkmcnt(0)
	v_and_b32_e32 v20, 0xff, v13
	s_delay_alu instid0(VALU_DEP_2) | instskip(SKIP_1) | instid1(VALU_DEP_2)
	v_dual_cndmask_b32 v19, v15, v17 :: v_dual_cndmask_b32 v18, v16, v14
	v_and_b32_e32 v16, 0xff, v12
	v_cmp_lt_i32_e64 s2, v19, v8
	s_delay_alu instid0(VALU_DEP_3) | instskip(NEXT) | instid1(VALU_DEP_3)
	v_cmp_ge_i32_e64 s0, v18, v9
	v_cmp_lt_u16_e64 s1, v16, v20
                                        ; implicit-def: $vgpr16
	s_delay_alu instid0(VALU_DEP_1)
	s_or_b32 s0, s0, s1
	s_delay_alu instid0(VALU_DEP_3) | instid1(SALU_CYCLE_1)
	s_and_b32 s0, s2, s0
	s_delay_alu instid0(SALU_CYCLE_1) | instskip(NEXT) | instid1(SALU_CYCLE_1)
	s_xor_b32 s1, s0, -1
	s_and_saveexec_b32 s2, s1
	s_delay_alu instid0(SALU_CYCLE_1)
	s_xor_b32 s1, exec_lo, s2
	s_cbranch_execz .LBB125_42
; %bb.41:
	v_add_nc_u32_e32 v16, v0, v18
	ds_load_u8 v16, v16 offset:1
.LBB125_42:
	s_or_saveexec_b32 s1, s1
	v_mov_b32_e32 v17, v12
	s_xor_b32 exec_lo, exec_lo, s1
	s_cbranch_execz .LBB125_44
; %bb.43:
	s_waitcnt lgkmcnt(0)
	v_add_nc_u32_e32 v16, v0, v19
	ds_load_u8 v17, v16 offset:1
	v_mov_b32_e32 v16, v13
.LBB125_44:
	s_or_b32 exec_lo, exec_lo, s1
	v_add_nc_u32_e32 v20, 1, v18
	v_add_nc_u32_e32 v21, 1, v19
	s_waitcnt lgkmcnt(0)
	v_and_b32_e32 v24, 0xff, v16
	s_delay_alu instid0(VALU_DEP_3) | instskip(SKIP_2) | instid1(VALU_DEP_3)
	v_cndmask_b32_e64 v22, v20, v18, s0
	v_and_b32_e32 v20, 0xff, v17
	v_cndmask_b32_e64 v23, v19, v21, s0
	v_cmp_ge_i32_e64 s1, v22, v9
	s_delay_alu instid0(VALU_DEP_3) | instskip(NEXT) | instid1(VALU_DEP_3)
	v_cmp_lt_u16_e64 s2, v20, v24
	v_cmp_lt_i32_e64 s3, v23, v8
                                        ; implicit-def: $vgpr20
	s_delay_alu instid0(VALU_DEP_2)
	s_or_b32 s1, s1, s2
	s_delay_alu instid0(VALU_DEP_1) | instid1(SALU_CYCLE_1)
	s_and_b32 s1, s3, s1
	s_delay_alu instid0(SALU_CYCLE_1) | instskip(NEXT) | instid1(SALU_CYCLE_1)
	s_xor_b32 s2, s1, -1
	s_and_saveexec_b32 s3, s2
	s_delay_alu instid0(SALU_CYCLE_1)
	s_xor_b32 s2, exec_lo, s3
	s_cbranch_execz .LBB125_46
; %bb.45:
	v_add_nc_u32_e32 v20, v0, v22
	ds_load_u8 v20, v20 offset:1
.LBB125_46:
	s_or_saveexec_b32 s2, s2
	v_mov_b32_e32 v21, v17
	s_xor_b32 exec_lo, exec_lo, s2
	s_cbranch_execz .LBB125_48
; %bb.47:
	s_waitcnt lgkmcnt(0)
	v_add_nc_u32_e32 v20, v0, v23
	ds_load_u8 v21, v20 offset:1
	v_mov_b32_e32 v20, v16
.LBB125_48:
	s_or_b32 exec_lo, exec_lo, s2
	v_add_nc_u32_e32 v24, 1, v22
	v_add_nc_u32_e32 v25, 1, v23
	s_waitcnt lgkmcnt(0)
	v_and_b32_e32 v26, 0xff, v20
	v_dual_cndmask_b32 v10, v10, v11 :: v_dual_and_b32 v27, 0xff, v21
	v_cndmask_b32_e64 v24, v24, v22, s1
	v_cndmask_b32_e64 v22, v22, v23, s1
	;; [unrolled: 1-line block ×3, first 2 shown]
	s_delay_alu instid0(VALU_DEP_4) | instskip(SKIP_4) | instid1(VALU_DEP_3)
	v_cmp_lt_u16_e64 s2, v27, v26
	v_cndmask_b32_e64 v18, v18, v19, s0
	v_cmp_ge_i32_e64 s3, v24, v9
	v_cndmask_b32_e32 v9, v14, v15, vcc_lo
	v_cmp_lt_i32_e64 s4, v23, v8
	; wave barrier
	s_or_b32 s2, s3, s2
	ds_store_b8 v3, v4
	ds_store_b8 v3, v5 offset:1
	ds_store_b8 v3, v6 offset:2
	;; [unrolled: 1-line block ×3, first 2 shown]
	s_and_b32 s2, s4, s2
	v_add_nc_u32_e32 v4, v0, v9
	v_cndmask_b32_e64 v15, v24, v23, s2
	v_add_nc_u32_e32 v5, v0, v18
	v_and_b32_e32 v14, 64, v2
	v_add_nc_u32_e32 v6, v0, v22
	s_delay_alu instid0(VALU_DEP_4)
	v_add_nc_u32_e32 v7, v0, v15
	; wave barrier
	ds_load_u8 v4, v4
	ds_load_u8 v5, v5
	;; [unrolled: 1-line block ×4, first 2 shown]
	v_or_b32_e32 v9, 32, v14
	v_add_nc_u32_e32 v8, 64, v14
	v_and_b32_e32 v15, 60, v2
	v_cndmask_b32_e64 v19, v20, v21, s2
	v_cndmask_b32_e64 v22, v16, v17, s1
	v_sub_nc_u32_e32 v21, v9, v14
	v_sub_nc_u32_e32 v18, v8, v9
	v_cndmask_b32_e64 v11, v13, v12, s0
	s_mov_b32 s0, exec_lo
	s_delay_alu instid0(VALU_DEP_3) | instskip(NEXT) | instid1(VALU_DEP_3)
	v_min_i32_e32 v17, v15, v21
	v_sub_nc_u32_e32 v20, v15, v18
	v_cmp_ge_i32_e64 s1, v15, v18
	; wave barrier
	ds_store_b8 v3, v10
	ds_store_b8 v3, v11 offset:1
	ds_store_b8 v3, v22 offset:2
	;; [unrolled: 1-line block ×3, first 2 shown]
	; wave barrier
	v_cndmask_b32_e64 v16, 0, v20, s1
	s_mov_b32 s1, 0
	s_delay_alu instid0(VALU_DEP_1)
	v_cmpx_lt_i32_e64 v16, v17
	s_cbranch_execz .LBB125_52
; %bb.49:
	v_add_nc_u32_e32 v10, v0, v14
	v_add3_u32 v11, v0, v9, v15
	.p2align	6
.LBB125_50:                             ; =>This Inner Loop Header: Depth=1
	v_sub_nc_u32_e32 v12, v17, v16
	s_delay_alu instid0(VALU_DEP_1) | instskip(NEXT) | instid1(VALU_DEP_1)
	v_lshrrev_b32_e32 v13, 31, v12
	v_add_nc_u32_e32 v12, v12, v13
	s_delay_alu instid0(VALU_DEP_1) | instskip(NEXT) | instid1(VALU_DEP_1)
	v_ashrrev_i32_e32 v12, 1, v12
	v_add_nc_u32_e32 v12, v12, v16
	s_delay_alu instid0(VALU_DEP_1)
	v_add_nc_u32_e32 v13, v10, v12
	v_xad_u32 v18, v12, -1, v11
	v_add_nc_u32_e32 v19, 1, v12
	ds_load_u8 v13, v13
	ds_load_u8 v18, v18
	s_waitcnt lgkmcnt(0)
	v_cmp_lt_u16_e32 vcc_lo, v18, v13
	v_cndmask_b32_e32 v17, v17, v12, vcc_lo
	v_cndmask_b32_e32 v16, v19, v16, vcc_lo
	s_delay_alu instid0(VALU_DEP_1) | instskip(SKIP_1) | instid1(SALU_CYCLE_1)
	v_cmp_ge_i32_e32 vcc_lo, v16, v17
	s_or_b32 s1, vcc_lo, s1
	s_and_not1_b32 exec_lo, exec_lo, s1
	s_cbranch_execnz .LBB125_50
; %bb.51:
	s_or_b32 exec_lo, exec_lo, s1
.LBB125_52:
	s_delay_alu instid0(SALU_CYCLE_1) | instskip(SKIP_2) | instid1(VALU_DEP_2)
	s_or_b32 exec_lo, exec_lo, s0
	v_add_nc_u32_e32 v10, v9, v15
	v_add_nc_u32_e32 v14, v16, v14
	v_sub_nc_u32_e32 v15, v10, v16
	s_delay_alu instid0(VALU_DEP_2) | instskip(SKIP_1) | instid1(VALU_DEP_3)
	v_add_nc_u32_e32 v17, v0, v14
	v_cmp_le_i32_e32 vcc_lo, v9, v14
	v_add_nc_u32_e32 v16, v0, v15
	v_cmp_gt_i32_e64 s1, v8, v15
	ds_load_u8 v10, v17
	ds_load_u8 v11, v16
	s_waitcnt lgkmcnt(1)
	v_and_b32_e32 v12, 0xff, v10
	s_waitcnt lgkmcnt(0)
	v_and_b32_e32 v13, 0xff, v11
	s_delay_alu instid0(VALU_DEP_1) | instskip(NEXT) | instid1(VALU_DEP_1)
	v_cmp_lt_u16_e64 s0, v13, v12
                                        ; implicit-def: $vgpr12
                                        ; implicit-def: $vgpr13
	s_or_b32 s0, vcc_lo, s0
	s_delay_alu instid0(SALU_CYCLE_1) | instskip(NEXT) | instid1(SALU_CYCLE_1)
	s_and_b32 vcc_lo, s1, s0
	s_xor_b32 s0, vcc_lo, -1
	s_delay_alu instid0(SALU_CYCLE_1) | instskip(NEXT) | instid1(SALU_CYCLE_1)
	s_and_saveexec_b32 s1, s0
	s_xor_b32 s0, exec_lo, s1
	s_cbranch_execz .LBB125_54
; %bb.53:
	ds_load_u8 v13, v17 offset:1
	v_mov_b32_e32 v12, v11
                                        ; implicit-def: $vgpr16
.LBB125_54:
	s_and_not1_saveexec_b32 s0, s0
	s_cbranch_execz .LBB125_56
; %bb.55:
	ds_load_u8 v12, v16 offset:1
	s_waitcnt lgkmcnt(1)
	v_mov_b32_e32 v13, v10
.LBB125_56:
	s_or_b32 exec_lo, exec_lo, s0
	v_add_nc_u32_e32 v17, 1, v15
	v_add_nc_u32_e32 v16, 1, v14
	s_waitcnt lgkmcnt(0)
	v_and_b32_e32 v20, 0xff, v13
	s_delay_alu instid0(VALU_DEP_2) | instskip(SKIP_1) | instid1(VALU_DEP_2)
	v_dual_cndmask_b32 v19, v15, v17 :: v_dual_cndmask_b32 v18, v16, v14
	v_and_b32_e32 v16, 0xff, v12
	v_cmp_lt_i32_e64 s2, v19, v8
	s_delay_alu instid0(VALU_DEP_3) | instskip(NEXT) | instid1(VALU_DEP_3)
	v_cmp_ge_i32_e64 s0, v18, v9
	v_cmp_lt_u16_e64 s1, v16, v20
                                        ; implicit-def: $vgpr16
	s_delay_alu instid0(VALU_DEP_1)
	s_or_b32 s0, s0, s1
	s_delay_alu instid0(VALU_DEP_3) | instid1(SALU_CYCLE_1)
	s_and_b32 s0, s2, s0
	s_delay_alu instid0(SALU_CYCLE_1) | instskip(NEXT) | instid1(SALU_CYCLE_1)
	s_xor_b32 s1, s0, -1
	s_and_saveexec_b32 s2, s1
	s_delay_alu instid0(SALU_CYCLE_1)
	s_xor_b32 s1, exec_lo, s2
	s_cbranch_execz .LBB125_58
; %bb.57:
	v_add_nc_u32_e32 v16, v0, v18
	ds_load_u8 v16, v16 offset:1
.LBB125_58:
	s_or_saveexec_b32 s1, s1
	v_mov_b32_e32 v17, v12
	s_xor_b32 exec_lo, exec_lo, s1
	s_cbranch_execz .LBB125_60
; %bb.59:
	s_waitcnt lgkmcnt(0)
	v_add_nc_u32_e32 v16, v0, v19
	ds_load_u8 v17, v16 offset:1
	v_mov_b32_e32 v16, v13
.LBB125_60:
	s_or_b32 exec_lo, exec_lo, s1
	v_add_nc_u32_e32 v20, 1, v18
	v_add_nc_u32_e32 v21, 1, v19
	s_waitcnt lgkmcnt(0)
	v_and_b32_e32 v23, 0xff, v16
	v_and_b32_e32 v24, 0xff, v17
	v_cndmask_b32_e64 v20, v20, v18, s0
	v_cndmask_b32_e64 v22, v19, v21, s0
                                        ; implicit-def: $vgpr21
	s_delay_alu instid0(VALU_DEP_3) | instskip(NEXT) | instid1(VALU_DEP_3)
	v_cmp_lt_u16_e64 s2, v24, v23
	v_cmp_ge_i32_e64 s1, v20, v9
	s_delay_alu instid0(VALU_DEP_3) | instskip(NEXT) | instid1(VALU_DEP_2)
	v_cmp_lt_i32_e64 s3, v22, v8
	s_or_b32 s1, s1, s2
	s_delay_alu instid0(VALU_DEP_1) | instid1(SALU_CYCLE_1)
	s_and_b32 s1, s3, s1
	s_delay_alu instid0(SALU_CYCLE_1) | instskip(NEXT) | instid1(SALU_CYCLE_1)
	s_xor_b32 s2, s1, -1
	s_and_saveexec_b32 s3, s2
	s_delay_alu instid0(SALU_CYCLE_1)
	s_xor_b32 s2, exec_lo, s3
	s_cbranch_execz .LBB125_62
; %bb.61:
	v_add_nc_u32_e32 v21, v0, v20
	ds_load_u8 v21, v21 offset:1
.LBB125_62:
	s_or_saveexec_b32 s2, s2
	v_mov_b32_e32 v23, v17
	s_xor_b32 exec_lo, exec_lo, s2
	s_cbranch_execz .LBB125_64
; %bb.63:
	s_waitcnt lgkmcnt(0)
	v_add_nc_u32_e32 v21, v0, v22
	ds_load_u8 v23, v21 offset:1
	v_mov_b32_e32 v21, v16
.LBB125_64:
	s_or_b32 exec_lo, exec_lo, s2
	v_add_nc_u32_e32 v24, 1, v20
	v_add_nc_u32_e32 v25, 1, v22
	s_waitcnt lgkmcnt(0)
	v_and_b32_e32 v26, 0xff, v21
	v_and_b32_e32 v27, 0xff, v23
	v_cndmask_b32_e64 v24, v24, v20, s1
	v_cndmask_b32_e64 v25, v22, v25, s1
	;; [unrolled: 1-line block ×3, first 2 shown]
	s_delay_alu instid0(VALU_DEP_4) | instskip(NEXT) | instid1(VALU_DEP_4)
	v_cmp_lt_u16_e64 s2, v27, v26
	; wave barrier
	v_cmp_ge_i32_e64 s3, v24, v9
	s_delay_alu instid0(VALU_DEP_4)
	v_cmp_lt_i32_e64 s4, v25, v8
	v_cndmask_b32_e32 v8, v14, v15, vcc_lo
	v_cndmask_b32_e64 v9, v18, v19, s0
	ds_store_b8 v3, v4
	ds_store_b8 v3, v5 offset:1
	ds_store_b8 v3, v6 offset:2
	;; [unrolled: 1-line block ×3, first 2 shown]
	s_or_b32 s2, s3, s2
	v_add_nc_u32_e32 v6, v0, v20
	s_and_b32 s2, s4, s2
	v_add_nc_u32_e32 v4, v0, v8
	v_cndmask_b32_e64 v15, v24, v25, s2
	v_dual_cndmask_b32 v10, v10, v11 :: v_dual_add_nc_u32 v5, v0, v9
	; wave barrier
	s_delay_alu instid0(VALU_DEP_2)
	v_add_nc_u32_e32 v7, v0, v15
	v_and_b32_e32 v8, 0x7c, v2
	ds_load_u8 v2, v4
	ds_load_u8 v4, v5
	;; [unrolled: 1-line block ×4, first 2 shown]
	v_cndmask_b32_e64 v15, v16, v17, s1
	v_cndmask_b32_e64 v11, v13, v12, s0
	;; [unrolled: 1-line block ×3, first 2 shown]
	v_subrev_nc_u32_e32 v7, 64, v8
	v_cmp_lt_i32_e64 s1, 63, v8
	v_min_i32_e32 v9, 64, v8
	s_mov_b32 s0, exec_lo
	; wave barrier
	s_delay_alu instid0(VALU_DEP_2)
	v_cndmask_b32_e64 v7, 0, v7, s1
	ds_store_b8 v3, v10
	ds_store_b8 v3, v11 offset:1
	ds_store_b8 v3, v15 offset:2
	;; [unrolled: 1-line block ×3, first 2 shown]
	; wave barrier
	v_cmpx_lt_i32_e64 v7, v9
	s_cbranch_execz .LBB125_68
; %bb.65:
	v_add3_u32 v10, v0, 64, v8
	s_mov_b32 s1, 0
	.p2align	6
.LBB125_66:                             ; =>This Inner Loop Header: Depth=1
	v_sub_nc_u32_e32 v11, v9, v7
	s_delay_alu instid0(VALU_DEP_1) | instskip(NEXT) | instid1(VALU_DEP_1)
	v_lshrrev_b32_e32 v12, 31, v11
	v_add_nc_u32_e32 v11, v11, v12
	s_delay_alu instid0(VALU_DEP_1) | instskip(NEXT) | instid1(VALU_DEP_1)
	v_ashrrev_i32_e32 v11, 1, v11
	v_add_nc_u32_e32 v11, v11, v7
	s_delay_alu instid0(VALU_DEP_1)
	v_add_nc_u32_e32 v12, v0, v11
	v_xad_u32 v13, v11, -1, v10
	v_add_nc_u32_e32 v14, 1, v11
	ds_load_u8 v12, v12
	ds_load_u8 v13, v13
	s_waitcnt lgkmcnt(0)
	v_cmp_lt_u16_e32 vcc_lo, v13, v12
	v_cndmask_b32_e32 v9, v9, v11, vcc_lo
	v_cndmask_b32_e32 v7, v14, v7, vcc_lo
	s_delay_alu instid0(VALU_DEP_1) | instskip(SKIP_1) | instid1(SALU_CYCLE_1)
	v_cmp_ge_i32_e32 vcc_lo, v7, v9
	s_or_b32 s1, vcc_lo, s1
	s_and_not1_b32 exec_lo, exec_lo, s1
	s_cbranch_execnz .LBB125_66
; %bb.67:
	s_or_b32 exec_lo, exec_lo, s1
.LBB125_68:
	s_delay_alu instid0(SALU_CYCLE_1) | instskip(SKIP_3) | instid1(VALU_DEP_3)
	s_or_b32 exec_lo, exec_lo, s0
	v_add_nc_u32_e32 v8, 64, v8
	v_add_nc_u32_e32 v14, v0, v7
	v_cmp_le_i32_e32 vcc_lo, 64, v7
	v_sub_nc_u32_e32 v12, v8, v7
	s_delay_alu instid0(VALU_DEP_1)
	v_add_nc_u32_e32 v13, v0, v12
	v_cmp_gt_i32_e64 s1, 0x80, v12
	ds_load_u8 v8, v14
	ds_load_u8 v9, v13
	s_waitcnt lgkmcnt(1)
	v_and_b32_e32 v10, 0xff, v8
	s_waitcnt lgkmcnt(0)
	v_and_b32_e32 v11, 0xff, v9
	s_delay_alu instid0(VALU_DEP_1) | instskip(NEXT) | instid1(VALU_DEP_1)
	v_cmp_lt_u16_e64 s0, v11, v10
                                        ; implicit-def: $vgpr10
                                        ; implicit-def: $vgpr11
	s_or_b32 s0, vcc_lo, s0
	s_delay_alu instid0(SALU_CYCLE_1) | instskip(NEXT) | instid1(SALU_CYCLE_1)
	s_and_b32 vcc_lo, s1, s0
	s_xor_b32 s0, vcc_lo, -1
	s_delay_alu instid0(SALU_CYCLE_1) | instskip(NEXT) | instid1(SALU_CYCLE_1)
	s_and_saveexec_b32 s1, s0
	s_xor_b32 s0, exec_lo, s1
	s_cbranch_execz .LBB125_70
; %bb.69:
	ds_load_u8 v11, v14 offset:1
	v_mov_b32_e32 v10, v9
                                        ; implicit-def: $vgpr13
.LBB125_70:
	s_and_not1_saveexec_b32 s0, s0
	s_cbranch_execz .LBB125_72
; %bb.71:
	ds_load_u8 v10, v13 offset:1
	s_waitcnt lgkmcnt(1)
	v_mov_b32_e32 v11, v8
.LBB125_72:
	s_or_b32 exec_lo, exec_lo, s0
	v_add_nc_u32_e32 v14, 1, v12
	v_add_nc_u32_e32 v13, 1, v7
	s_waitcnt lgkmcnt(0)
	v_and_b32_e32 v15, 0xff, v11
	v_and_b32_e32 v16, 0xff, v10
	s_delay_alu instid0(VALU_DEP_3) | instskip(NEXT) | instid1(VALU_DEP_2)
	v_dual_cndmask_b32 v14, v12, v14 :: v_dual_cndmask_b32 v13, v13, v7
	v_cmp_lt_u16_e64 s1, v16, v15
                                        ; implicit-def: $vgpr16
	s_delay_alu instid0(VALU_DEP_2) | instskip(NEXT) | instid1(VALU_DEP_3)
	v_cmp_gt_i32_e64 s2, 0x80, v14
	v_cmp_le_i32_e64 s0, 64, v13
	s_delay_alu instid0(VALU_DEP_1)
	s_or_b32 s0, s0, s1
	s_delay_alu instid0(VALU_DEP_2) | instid1(SALU_CYCLE_1)
	s_and_b32 s0, s2, s0
	s_delay_alu instid0(SALU_CYCLE_1) | instskip(NEXT) | instid1(SALU_CYCLE_1)
	s_xor_b32 s1, s0, -1
	s_and_saveexec_b32 s2, s1
	s_delay_alu instid0(SALU_CYCLE_1)
	s_xor_b32 s1, exec_lo, s2
	s_cbranch_execz .LBB125_74
; %bb.73:
	v_add_nc_u32_e32 v15, v0, v13
	ds_load_u8 v16, v15 offset:1
.LBB125_74:
	s_or_saveexec_b32 s1, s1
	v_mov_b32_e32 v15, v10
	s_xor_b32 exec_lo, exec_lo, s1
	s_cbranch_execz .LBB125_76
; %bb.75:
	s_waitcnt lgkmcnt(0)
	v_dual_mov_b32 v16, v11 :: v_dual_add_nc_u32 v15, v0, v14
	ds_load_u8 v15, v15 offset:1
.LBB125_76:
	s_or_b32 exec_lo, exec_lo, s1
	v_add_nc_u32_e32 v17, 1, v13
	v_add_nc_u32_e32 v18, 1, v14
	s_waitcnt lgkmcnt(0)
	v_and_b32_e32 v19, 0xff, v16
	v_and_b32_e32 v20, 0xff, v15
	v_cndmask_b32_e64 v22, v17, v13, s0
	v_cndmask_b32_e64 v17, v14, v18, s0
	s_delay_alu instid0(VALU_DEP_3) | instskip(NEXT) | instid1(VALU_DEP_3)
	v_cmp_ge_u16_e64 s2, v20, v19
                                        ; implicit-def: $vgpr20
                                        ; implicit-def: $vgpr19
	v_cmp_gt_i32_e64 s1, 64, v22
	s_delay_alu instid0(VALU_DEP_3) | instskip(NEXT) | instid1(VALU_DEP_2)
	v_cmp_le_i32_e64 s3, 0x80, v17
	s_and_b32 s1, s1, s2
	s_delay_alu instid0(VALU_DEP_1) | instid1(SALU_CYCLE_1)
	s_or_b32 s1, s3, s1
	s_delay_alu instid0(SALU_CYCLE_1) | instskip(NEXT) | instid1(SALU_CYCLE_1)
	s_and_saveexec_b32 s2, s1
	s_xor_b32 s1, exec_lo, s2
	s_cbranch_execz .LBB125_78
; %bb.77:
	v_add_nc_u32_e32 v18, v0, v22
	v_add_nc_u32_e32 v19, 1, v22
	ds_load_u8 v20, v18 offset:1
.LBB125_78:
	s_or_saveexec_b32 s1, s1
	v_dual_mov_b32 v18, v16 :: v_dual_mov_b32 v21, v22
	s_xor_b32 exec_lo, exec_lo, s1
	s_cbranch_execz .LBB125_80
; %bb.79:
	v_dual_mov_b32 v21, v17 :: v_dual_add_nc_u32 v18, v0, v17
	s_waitcnt lgkmcnt(0)
	v_dual_mov_b32 v19, v22 :: v_dual_add_nc_u32 v20, 1, v17
	ds_load_u8 v23, v18 offset:1
	v_dual_mov_b32 v18, v15 :: v_dual_mov_b32 v17, v20
	s_waitcnt lgkmcnt(0)
	v_dual_mov_b32 v20, v16 :: v_dual_mov_b32 v15, v23
.LBB125_80:
	s_or_b32 exec_lo, exec_lo, s1
	s_waitcnt lgkmcnt(0)
	s_delay_alu instid0(VALU_DEP_1) | instskip(NEXT) | instid1(VALU_DEP_2)
	v_and_b32_e32 v16, 0xff, v20
	v_dual_cndmask_b32 v7, v7, v12 :: v_dual_and_b32 v22, 0xff, v15
	v_cmp_le_i32_e64 s1, 64, v19
	v_cmp_gt_i32_e64 s3, 0x80, v17
	v_cndmask_b32_e64 v13, v13, v14, s0
	s_delay_alu instid0(VALU_DEP_4)
	v_cmp_lt_u16_e64 s2, v22, v16
	; wave barrier
	ds_store_b8 v3, v2
	ds_store_b8 v3, v4 offset:1
	ds_store_b8 v3, v5 offset:2
	;; [unrolled: 1-line block ×3, first 2 shown]
	v_add_nc_u32_e32 v2, v0, v13
	s_or_b32 s1, s1, s2
	v_add_nc_u32_e32 v3, v0, v7
	s_and_b32 s1, s3, s1
	s_delay_alu instid0(SALU_CYCLE_1) | instskip(SKIP_3) | instid1(VALU_DEP_4)
	v_cndmask_b32_e64 v14, v19, v17, s1
	; wave barrier
	v_cndmask_b32_e64 v12, v20, v15, s1
	v_cndmask_b32_e64 v5, v11, v10, s0
	v_cndmask_b32_e32 v6, v8, v9, vcc_lo
	v_add_nc_u32_e32 v4, v0, v14
	v_add_nc_u32_e32 v0, v0, v21
	ds_load_u8 v2, v2
	ds_load_u8 v3, v3
	;; [unrolled: 1-line block ×4, first 2 shown]
	s_add_u32 s0, s10, s12
	s_addc_u32 s1, s11, 0
	s_waitcnt lgkmcnt(3)
	v_add_nc_u16 v2, v2, v5
	s_waitcnt lgkmcnt(2)
	v_add_nc_u16 v3, v3, v6
	;; [unrolled: 2-line block ×4, first 2 shown]
	v_lshlrev_b16 v2, 8, v2
	v_and_b32_e32 v3, 0xff, v3
	v_lshlrev_b16 v4, 8, v4
	s_delay_alu instid0(VALU_DEP_4) | instskip(NEXT) | instid1(VALU_DEP_3)
	v_and_b32_e32 v0, 0xff, v0
	v_or_b32_e32 v2, v3, v2
	s_delay_alu instid0(VALU_DEP_2) | instskip(NEXT) | instid1(VALU_DEP_2)
	v_or_b32_e32 v0, v0, v4
	v_and_b32_e32 v2, 0xffff, v2
	s_delay_alu instid0(VALU_DEP_2) | instskip(SKIP_1) | instid1(VALU_DEP_1)
	v_lshlrev_b32_e32 v3, 16, v0
	v_add_co_u32 v0, s0, s0, v1
	v_add_co_ci_u32_e64 v1, null, s1, 0, s0
	s_delay_alu instid0(VALU_DEP_3)
	v_or_b32_e32 v2, v2, v3
	global_store_b32 v[0:1], v2, off
	s_nop 0
	s_sendmsg sendmsg(MSG_DEALLOC_VGPRS)
	s_endpgm
	.section	.rodata,"a",@progbits
	.p2align	6, 0x0
	.amdhsa_kernel _Z10sort_pairsILj256ELj32ELj4EhN10test_utils4lessEEvPKT2_PS2_T3_
		.amdhsa_group_segment_fixed_size 1032
		.amdhsa_private_segment_fixed_size 0
		.amdhsa_kernarg_size 20
		.amdhsa_user_sgpr_count 15
		.amdhsa_user_sgpr_dispatch_ptr 0
		.amdhsa_user_sgpr_queue_ptr 0
		.amdhsa_user_sgpr_kernarg_segment_ptr 1
		.amdhsa_user_sgpr_dispatch_id 0
		.amdhsa_user_sgpr_private_segment_size 0
		.amdhsa_wavefront_size32 1
		.amdhsa_uses_dynamic_stack 0
		.amdhsa_enable_private_segment 0
		.amdhsa_system_sgpr_workgroup_id_x 1
		.amdhsa_system_sgpr_workgroup_id_y 0
		.amdhsa_system_sgpr_workgroup_id_z 0
		.amdhsa_system_sgpr_workgroup_info 0
		.amdhsa_system_vgpr_workitem_id 0
		.amdhsa_next_free_vgpr 28
		.amdhsa_next_free_sgpr 16
		.amdhsa_reserve_vcc 1
		.amdhsa_float_round_mode_32 0
		.amdhsa_float_round_mode_16_64 0
		.amdhsa_float_denorm_mode_32 3
		.amdhsa_float_denorm_mode_16_64 3
		.amdhsa_dx10_clamp 1
		.amdhsa_ieee_mode 1
		.amdhsa_fp16_overflow 0
		.amdhsa_workgroup_processor_mode 1
		.amdhsa_memory_ordered 1
		.amdhsa_forward_progress 0
		.amdhsa_shared_vgpr_count 0
		.amdhsa_exception_fp_ieee_invalid_op 0
		.amdhsa_exception_fp_denorm_src 0
		.amdhsa_exception_fp_ieee_div_zero 0
		.amdhsa_exception_fp_ieee_overflow 0
		.amdhsa_exception_fp_ieee_underflow 0
		.amdhsa_exception_fp_ieee_inexact 0
		.amdhsa_exception_int_div_zero 0
	.end_amdhsa_kernel
	.section	.text._Z10sort_pairsILj256ELj32ELj4EhN10test_utils4lessEEvPKT2_PS2_T3_,"axG",@progbits,_Z10sort_pairsILj256ELj32ELj4EhN10test_utils4lessEEvPKT2_PS2_T3_,comdat
.Lfunc_end125:
	.size	_Z10sort_pairsILj256ELj32ELj4EhN10test_utils4lessEEvPKT2_PS2_T3_, .Lfunc_end125-_Z10sort_pairsILj256ELj32ELj4EhN10test_utils4lessEEvPKT2_PS2_T3_
                                        ; -- End function
	.section	.AMDGPU.csdata,"",@progbits
; Kernel info:
; codeLenInByte = 5700
; NumSgprs: 18
; NumVgprs: 28
; ScratchSize: 0
; MemoryBound: 0
; FloatMode: 240
; IeeeMode: 1
; LDSByteSize: 1032 bytes/workgroup (compile time only)
; SGPRBlocks: 2
; VGPRBlocks: 3
; NumSGPRsForWavesPerEU: 18
; NumVGPRsForWavesPerEU: 28
; Occupancy: 16
; WaveLimiterHint : 0
; COMPUTE_PGM_RSRC2:SCRATCH_EN: 0
; COMPUTE_PGM_RSRC2:USER_SGPR: 15
; COMPUTE_PGM_RSRC2:TRAP_HANDLER: 0
; COMPUTE_PGM_RSRC2:TGID_X_EN: 1
; COMPUTE_PGM_RSRC2:TGID_Y_EN: 0
; COMPUTE_PGM_RSRC2:TGID_Z_EN: 0
; COMPUTE_PGM_RSRC2:TIDIG_COMP_CNT: 0
	.section	.text._Z19sort_keys_segmentedILj256ELj32ELj4EhN10test_utils4lessEEvPKT2_PS2_PKjT3_,"axG",@progbits,_Z19sort_keys_segmentedILj256ELj32ELj4EhN10test_utils4lessEEvPKT2_PS2_PKjT3_,comdat
	.protected	_Z19sort_keys_segmentedILj256ELj32ELj4EhN10test_utils4lessEEvPKT2_PS2_PKjT3_ ; -- Begin function _Z19sort_keys_segmentedILj256ELj32ELj4EhN10test_utils4lessEEvPKT2_PS2_PKjT3_
	.globl	_Z19sort_keys_segmentedILj256ELj32ELj4EhN10test_utils4lessEEvPKT2_PS2_PKjT3_
	.p2align	8
	.type	_Z19sort_keys_segmentedILj256ELj32ELj4EhN10test_utils4lessEEvPKT2_PS2_PKjT3_,@function
_Z19sort_keys_segmentedILj256ELj32ELj4EhN10test_utils4lessEEvPKT2_PS2_PKjT3_: ; @_Z19sort_keys_segmentedILj256ELj32ELj4EhN10test_utils4lessEEvPKT2_PS2_PKjT3_
; %bb.0:
	s_clause 0x1
	s_load_b64 s[2:3], s[0:1], 0x10
	s_load_b128 s[8:11], s[0:1], 0x0
	v_lshrrev_b32_e32 v5, 5, v0
                                        ; implicit-def: $vgpr7
	s_delay_alu instid0(VALU_DEP_1) | instskip(SKIP_1) | instid1(VALU_DEP_1)
	v_lshl_or_b32 v0, s15, 3, v5
	v_mov_b32_e32 v1, 0
	v_lshlrev_b64 v[1:2], 2, v[0:1]
	s_waitcnt lgkmcnt(0)
	s_delay_alu instid0(VALU_DEP_1) | instskip(NEXT) | instid1(VALU_DEP_2)
	v_add_co_u32 v1, vcc_lo, s2, v1
	v_add_co_ci_u32_e32 v2, vcc_lo, s3, v2, vcc_lo
	global_load_b32 v4, v[1:2], off
	v_lshlrev_b32_e32 v2, 7, v0
	v_mbcnt_lo_u32_b32 v1, -1, 0
	s_delay_alu instid0(VALU_DEP_2) | instskip(NEXT) | instid1(VALU_DEP_2)
	v_add_co_u32 v0, s0, s8, v2
	v_lshlrev_b32_e32 v3, 2, v1
	v_add_co_ci_u32_e64 v1, null, s9, 0, s0
	s_delay_alu instid0(VALU_DEP_2) | instskip(NEXT) | instid1(VALU_DEP_2)
	v_add_co_u32 v0, vcc_lo, v0, v3
	v_add_co_ci_u32_e32 v1, vcc_lo, 0, v1, vcc_lo
	s_waitcnt vmcnt(0)
	v_cmp_lt_u32_e32 vcc_lo, v3, v4
	s_and_saveexec_b32 s0, vcc_lo
	s_cbranch_execz .LBB126_2
; %bb.1:
	global_load_u8 v7, v[0:1], off
.LBB126_2:
	s_or_b32 exec_lo, exec_lo, s0
	v_or_b32_e32 v6, 1, v3
                                        ; implicit-def: $vgpr9
	s_delay_alu instid0(VALU_DEP_1) | instskip(NEXT) | instid1(VALU_DEP_1)
	v_cmp_lt_u32_e64 s0, v6, v4
	s_and_saveexec_b32 s1, s0
	s_cbranch_execz .LBB126_4
; %bb.3:
	global_load_u8 v9, v[0:1], off offset:1
.LBB126_4:
	s_or_b32 exec_lo, exec_lo, s1
	v_or_b32_e32 v8, 2, v3
                                        ; implicit-def: $vgpr11
	s_delay_alu instid0(VALU_DEP_1) | instskip(NEXT) | instid1(VALU_DEP_1)
	v_cmp_lt_u32_e64 s1, v8, v4
	s_and_saveexec_b32 s2, s1
	s_cbranch_execz .LBB126_6
; %bb.5:
	global_load_u8 v11, v[0:1], off offset:2
.LBB126_6:
	s_or_b32 exec_lo, exec_lo, s2
	v_or_b32_e32 v10, 3, v3
                                        ; implicit-def: $vgpr12
	s_delay_alu instid0(VALU_DEP_1) | instskip(NEXT) | instid1(VALU_DEP_1)
	v_cmp_lt_u32_e64 s2, v10, v4
	s_and_saveexec_b32 s3, s2
	s_cbranch_execz .LBB126_8
; %bb.7:
	global_load_u8 v12, v[0:1], off offset:3
.LBB126_8:
	s_or_b32 exec_lo, exec_lo, s3
	s_waitcnt vmcnt(0)
	v_and_b32_e32 v0, 0xff, v7
	v_lshlrev_b16 v1, 8, v9
	v_and_b32_e32 v7, 0xff, v11
	v_lshlrev_b16 v9, 8, v12
	v_cmp_lt_i32_e64 s3, v6, v4
	s_mov_b32 s5, exec_lo
	v_or_b32_e32 v1, v0, v1
	v_or_b32_e32 v0, 0xffffff00, v0
	;; [unrolled: 1-line block ×3, first 2 shown]
	s_delay_alu instid0(VALU_DEP_3) | instskip(NEXT) | instid1(VALU_DEP_3)
	v_and_b32_e32 v1, 0xffff, v1
	v_and_b32_e32 v0, 0xffff, v0
	s_delay_alu instid0(VALU_DEP_3) | instskip(NEXT) | instid1(VALU_DEP_1)
	v_lshlrev_b32_e32 v7, 16, v7
	v_or_b32_e32 v1, v1, v7
	s_delay_alu instid0(VALU_DEP_3) | instskip(NEXT) | instid1(VALU_DEP_1)
	v_or_b32_e32 v0, v0, v7
	v_cndmask_b32_e64 v0, v0, v1, s3
	v_cmp_lt_i32_e64 s3, v8, v4
	s_delay_alu instid0(VALU_DEP_2) | instskip(NEXT) | instid1(VALU_DEP_1)
	v_lshrrev_b32_e32 v6, 16, v0
	v_or_b32_e32 v6, 0xff, v6
	s_delay_alu instid0(VALU_DEP_1) | instskip(NEXT) | instid1(VALU_DEP_1)
	v_lshlrev_b32_e32 v6, 16, v6
	v_and_or_b32 v0, 0xffff, v0, v6
	s_delay_alu instid0(VALU_DEP_1) | instskip(SKIP_1) | instid1(VALU_DEP_2)
	v_cndmask_b32_e64 v0, v0, v1, s3
	v_cmp_lt_i32_e64 s3, v10, v4
	v_lshrrev_b32_e32 v6, 16, v0
	s_delay_alu instid0(VALU_DEP_1) | instskip(NEXT) | instid1(VALU_DEP_1)
	v_or_b32_e32 v6, 0xffffff00, v6
	v_lshlrev_b32_e32 v6, 16, v6
	s_delay_alu instid0(VALU_DEP_1) | instskip(NEXT) | instid1(VALU_DEP_1)
	v_and_or_b32 v0, 0xffff, v0, v6
	v_cndmask_b32_e64 v10, v0, v1, s3
	v_cmpx_lt_i32_e64 v3, v4
	s_cbranch_execz .LBB126_10
; %bb.9:
	s_delay_alu instid0(VALU_DEP_2) | instskip(SKIP_2) | instid1(VALU_DEP_3)
	v_lshrrev_b32_e32 v0, 8, v10
	v_and_b32_e32 v1, 0xff, v10
	v_perm_b32 v6, v10, v10, 0x7060405
	v_and_b32_e32 v0, 0xff, v0
	s_delay_alu instid0(VALU_DEP_1) | instskip(SKIP_2) | instid1(VALU_DEP_3)
	v_cmp_lt_u16_e64 s3, v0, v1
	v_max_u16 v11, v0, v1
	v_min_u16 v0, v0, v1
	v_cndmask_b32_e64 v6, v10, v6, s3
	s_delay_alu instid0(VALU_DEP_1) | instskip(SKIP_1) | instid1(VALU_DEP_2)
	v_lshrrev_b32_e32 v7, 16, v6
	v_lshrrev_b32_e32 v9, 24, v6
	v_perm_b32 v8, 0, v7, 0xc0c0001
	v_and_b32_e32 v7, 0xff, v7
	s_delay_alu instid0(VALU_DEP_2) | instskip(NEXT) | instid1(VALU_DEP_2)
	v_lshlrev_b32_e32 v8, 16, v8
	v_cmp_lt_u16_e64 s3, v9, v7
	s_delay_alu instid0(VALU_DEP_2) | instskip(NEXT) | instid1(VALU_DEP_1)
	v_and_or_b32 v8, 0xffff, v6, v8
	v_cndmask_b32_e64 v6, v6, v8, s3
	v_min_u16 v8, v9, v7
	v_max_u16 v7, v9, v7
	s_delay_alu instid0(VALU_DEP_3) | instskip(NEXT) | instid1(VALU_DEP_3)
	v_lshrrev_b32_e32 v10, 16, v6
	v_lshlrev_b16 v12, 8, v8
	v_and_b32_e32 v13, 0xff, v6
	v_cmp_lt_u16_e64 s3, v8, v11
	v_cmp_gt_u16_e64 s4, v11, v7
	v_and_b32_e32 v10, 0xffffff00, v10
	s_delay_alu instid0(VALU_DEP_4) | instskip(SKIP_2) | instid1(VALU_DEP_4)
	v_or_b32_e32 v1, v13, v12
	v_lshlrev_b16 v12, 8, v0
	v_min_u16 v13, v8, v11
	v_or_b32_e32 v10, v11, v10
	s_delay_alu instid0(VALU_DEP_4) | instskip(NEXT) | instid1(VALU_DEP_3)
	v_and_b32_e32 v1, 0xffff, v1
	v_or_b32_e32 v12, v13, v12
	s_delay_alu instid0(VALU_DEP_3) | instskip(NEXT) | instid1(VALU_DEP_2)
	v_lshlrev_b32_e32 v10, 16, v10
	v_and_b32_e32 v9, 0xffff, v12
	s_delay_alu instid0(VALU_DEP_2) | instskip(SKIP_1) | instid1(VALU_DEP_2)
	v_or_b32_e32 v1, v1, v10
	v_max_u16 v10, v8, v11
	v_cndmask_b32_e64 v1, v6, v1, s3
	s_delay_alu instid0(VALU_DEP_2) | instskip(SKIP_1) | instid1(VALU_DEP_3)
	v_lshlrev_b16 v6, 8, v10
	v_cmp_lt_u16_e64 s3, v8, v0
	v_and_or_b32 v9, 0xffff0000, v1, v9
	s_delay_alu instid0(VALU_DEP_3) | instskip(NEXT) | instid1(VALU_DEP_3)
	v_or_b32_e32 v6, v7, v6
	v_cndmask_b32_e64 v0, v13, v0, s3
	s_delay_alu instid0(VALU_DEP_3) | instskip(NEXT) | instid1(VALU_DEP_3)
	v_cndmask_b32_e64 v1, v1, v9, s3
	v_lshlrev_b32_e32 v6, 16, v6
	s_delay_alu instid0(VALU_DEP_1) | instskip(NEXT) | instid1(VALU_DEP_1)
	v_and_or_b32 v6, 0xffff, v1, v6
	v_cndmask_b32_e64 v1, v1, v6, s4
	v_cndmask_b32_e64 v6, v10, v7, s4
	s_delay_alu instid0(VALU_DEP_2) | instskip(SKIP_1) | instid1(VALU_DEP_3)
	v_lshrrev_b32_e32 v7, 16, v1
	v_and_b32_e32 v8, 0xff, v1
	v_lshlrev_b16 v9, 8, v6
	v_cmp_lt_u16_e64 s3, v6, v0
	s_delay_alu instid0(VALU_DEP_4) | instskip(NEXT) | instid1(VALU_DEP_3)
	v_and_b32_e32 v7, 0xffffff00, v7
	v_or_b32_e32 v8, v8, v9
	s_delay_alu instid0(VALU_DEP_2) | instskip(NEXT) | instid1(VALU_DEP_2)
	v_or_b32_e32 v7, v0, v7
	v_and_b32_e32 v8, 0xffff, v8
	s_delay_alu instid0(VALU_DEP_2) | instskip(NEXT) | instid1(VALU_DEP_1)
	v_lshlrev_b32_e32 v7, 16, v7
	v_or_b32_e32 v7, v8, v7
	s_delay_alu instid0(VALU_DEP_1)
	v_cndmask_b32_e64 v10, v1, v7, s3
.LBB126_10:
	s_or_b32 exec_lo, exec_lo, s5
	v_and_b32_e32 v0, 0x78, v3
	v_and_b32_e32 v7, 4, v3
	v_mad_u32_u24 v12, 0x81, v5, v3
	s_mov_b32 s5, 0
	s_mov_b32 s4, exec_lo
	v_min_i32_e32 v1, v4, v0
	v_min_i32_e32 v7, v4, v7
	; wave barrier
	ds_store_b32 v12, v10
	v_add_nc_u32_e32 v0, 4, v1
	; wave barrier
	s_delay_alu instid0(VALU_DEP_1) | instskip(NEXT) | instid1(VALU_DEP_1)
	v_min_i32_e32 v6, v4, v0
	v_add_nc_u32_e32 v0, 4, v6
	v_sub_nc_u32_e32 v11, v6, v1
	s_delay_alu instid0(VALU_DEP_2) | instskip(NEXT) | instid1(VALU_DEP_2)
	v_min_i32_e32 v8, v4, v0
	v_min_i32_e32 v11, v7, v11
	s_delay_alu instid0(VALU_DEP_2) | instskip(NEXT) | instid1(VALU_DEP_1)
	v_sub_nc_u32_e32 v0, v8, v6
	v_sub_nc_u32_e32 v9, v7, v0
	v_cmp_ge_i32_e64 s3, v7, v0
	v_mul_u32_u24_e32 v0, 0x81, v5
	s_delay_alu instid0(VALU_DEP_2) | instskip(NEXT) | instid1(VALU_DEP_1)
	v_cndmask_b32_e64 v9, 0, v9, s3
	v_cmpx_lt_i32_e64 v9, v11
	s_cbranch_execz .LBB126_14
; %bb.11:
	s_delay_alu instid0(VALU_DEP_3)
	v_add_nc_u32_e32 v5, v0, v1
	v_add3_u32 v10, v0, v6, v7
	.p2align	6
.LBB126_12:                             ; =>This Inner Loop Header: Depth=1
	v_sub_nc_u32_e32 v12, v11, v9
	s_delay_alu instid0(VALU_DEP_1) | instskip(NEXT) | instid1(VALU_DEP_1)
	v_lshrrev_b32_e32 v13, 31, v12
	v_add_nc_u32_e32 v12, v12, v13
	s_delay_alu instid0(VALU_DEP_1) | instskip(NEXT) | instid1(VALU_DEP_1)
	v_ashrrev_i32_e32 v12, 1, v12
	v_add_nc_u32_e32 v12, v12, v9
	s_delay_alu instid0(VALU_DEP_1)
	v_add_nc_u32_e32 v13, v5, v12
	v_xad_u32 v14, v12, -1, v10
	v_add_nc_u32_e32 v15, 1, v12
	ds_load_u8 v13, v13
	ds_load_u8 v14, v14
	s_waitcnt lgkmcnt(0)
	v_cmp_lt_u16_e64 s3, v14, v13
	s_delay_alu instid0(VALU_DEP_1) | instskip(SKIP_1) | instid1(VALU_DEP_1)
	v_cndmask_b32_e64 v11, v11, v12, s3
	v_cndmask_b32_e64 v9, v15, v9, s3
	v_cmp_ge_i32_e64 s3, v9, v11
	s_delay_alu instid0(VALU_DEP_1) | instskip(NEXT) | instid1(SALU_CYCLE_1)
	s_or_b32 s5, s3, s5
	s_and_not1_b32 exec_lo, exec_lo, s5
	s_cbranch_execnz .LBB126_12
; %bb.13:
	s_or_b32 exec_lo, exec_lo, s5
.LBB126_14:
	s_delay_alu instid0(SALU_CYCLE_1) | instskip(SKIP_2) | instid1(VALU_DEP_2)
	s_or_b32 exec_lo, exec_lo, s4
	v_add_nc_u32_e32 v5, v6, v7
	v_add_nc_u32_e32 v11, v9, v1
	v_sub_nc_u32_e32 v5, v5, v9
	s_delay_alu instid0(VALU_DEP_2) | instskip(SKIP_1) | instid1(VALU_DEP_3)
	v_add_nc_u32_e32 v13, v0, v11
	v_cmp_le_i32_e64 s3, v6, v11
	v_add_nc_u32_e32 v12, v0, v5
	v_cmp_gt_i32_e64 s5, v8, v5
	ds_load_u8 v1, v13
	ds_load_u8 v7, v12
	s_waitcnt lgkmcnt(1)
	v_and_b32_e32 v9, 0xff, v1
	s_waitcnt lgkmcnt(0)
	v_and_b32_e32 v10, 0xff, v7
	s_delay_alu instid0(VALU_DEP_1) | instskip(NEXT) | instid1(VALU_DEP_1)
	v_cmp_lt_u16_e64 s4, v10, v9
                                        ; implicit-def: $vgpr9
                                        ; implicit-def: $vgpr10
	s_or_b32 s3, s3, s4
	s_delay_alu instid0(SALU_CYCLE_1) | instskip(NEXT) | instid1(SALU_CYCLE_1)
	s_and_b32 s3, s5, s3
	s_xor_b32 s4, s3, -1
	s_delay_alu instid0(SALU_CYCLE_1) | instskip(NEXT) | instid1(SALU_CYCLE_1)
	s_and_saveexec_b32 s5, s4
	s_xor_b32 s4, exec_lo, s5
	s_cbranch_execz .LBB126_16
; %bb.15:
	ds_load_u8 v10, v13 offset:1
	v_mov_b32_e32 v9, v7
                                        ; implicit-def: $vgpr12
.LBB126_16:
	s_and_not1_saveexec_b32 s4, s4
	s_cbranch_execz .LBB126_18
; %bb.17:
	ds_load_u8 v9, v12 offset:1
	s_waitcnt lgkmcnt(1)
	v_mov_b32_e32 v10, v1
.LBB126_18:
	s_or_b32 exec_lo, exec_lo, s4
	v_add_nc_u32_e32 v12, 1, v11
	v_add_nc_u32_e32 v13, 1, v5
	s_waitcnt lgkmcnt(0)
	v_and_b32_e32 v14, 0xff, v10
	s_delay_alu instid0(VALU_DEP_3) | instskip(SKIP_2) | instid1(VALU_DEP_3)
	v_cndmask_b32_e64 v12, v12, v11, s3
	v_and_b32_e32 v11, 0xff, v9
	v_cndmask_b32_e64 v5, v5, v13, s3
	v_cmp_ge_i32_e64 s4, v12, v6
	s_delay_alu instid0(VALU_DEP_3) | instskip(NEXT) | instid1(VALU_DEP_3)
	v_cmp_lt_u16_e64 s5, v11, v14
	v_cmp_lt_i32_e64 s6, v5, v8
                                        ; implicit-def: $vgpr11
	s_delay_alu instid0(VALU_DEP_2)
	s_or_b32 s4, s4, s5
	s_delay_alu instid0(VALU_DEP_1) | instid1(SALU_CYCLE_1)
	s_and_b32 s4, s6, s4
	s_delay_alu instid0(SALU_CYCLE_1) | instskip(NEXT) | instid1(SALU_CYCLE_1)
	s_xor_b32 s5, s4, -1
	s_and_saveexec_b32 s6, s5
	s_delay_alu instid0(SALU_CYCLE_1)
	s_xor_b32 s5, exec_lo, s6
	s_cbranch_execz .LBB126_20
; %bb.19:
	v_add_nc_u32_e32 v11, v0, v12
	ds_load_u8 v11, v11 offset:1
.LBB126_20:
	s_or_saveexec_b32 s5, s5
	v_mov_b32_e32 v13, v9
	s_xor_b32 exec_lo, exec_lo, s5
	s_cbranch_execz .LBB126_22
; %bb.21:
	s_waitcnt lgkmcnt(0)
	v_add_nc_u32_e32 v11, v0, v5
	ds_load_u8 v13, v11 offset:1
	v_mov_b32_e32 v11, v10
.LBB126_22:
	s_or_b32 exec_lo, exec_lo, s5
	v_add_nc_u32_e32 v14, 1, v12
	v_add_nc_u32_e32 v16, 1, v5
	s_waitcnt lgkmcnt(0)
	v_and_b32_e32 v17, 0xff, v11
	s_delay_alu instid0(VALU_DEP_3) | instskip(SKIP_2) | instid1(VALU_DEP_3)
	v_cndmask_b32_e64 v15, v14, v12, s4
	v_and_b32_e32 v12, 0xff, v13
	v_cndmask_b32_e64 v16, v5, v16, s4
                                        ; implicit-def: $vgpr14
	v_cmp_ge_i32_e64 s5, v15, v6
	s_delay_alu instid0(VALU_DEP_3) | instskip(NEXT) | instid1(VALU_DEP_3)
	v_cmp_lt_u16_e64 s6, v12, v17
	v_cmp_lt_i32_e64 s7, v16, v8
	s_delay_alu instid0(VALU_DEP_2)
	s_or_b32 s5, s5, s6
	s_delay_alu instid0(VALU_DEP_1) | instid1(SALU_CYCLE_1)
	s_and_b32 s5, s7, s5
	s_delay_alu instid0(SALU_CYCLE_1) | instskip(NEXT) | instid1(SALU_CYCLE_1)
	s_xor_b32 s6, s5, -1
	s_and_saveexec_b32 s7, s6
	s_delay_alu instid0(SALU_CYCLE_1)
	s_xor_b32 s6, exec_lo, s7
	s_cbranch_execz .LBB126_24
; %bb.23:
	v_add_nc_u32_e32 v5, v0, v15
	ds_load_u8 v14, v5 offset:1
.LBB126_24:
	s_or_saveexec_b32 s6, s6
	v_mov_b32_e32 v17, v13
	s_xor_b32 exec_lo, exec_lo, s6
	s_cbranch_execz .LBB126_26
; %bb.25:
	s_waitcnt lgkmcnt(0)
	v_dual_mov_b32 v14, v11 :: v_dual_add_nc_u32 v5, v0, v16
	ds_load_u8 v17, v5 offset:1
.LBB126_26:
	s_or_b32 exec_lo, exec_lo, s6
	v_and_b32_e32 v5, 0x70, v3
	v_add_nc_u32_e32 v18, 1, v15
	v_cndmask_b32_e64 v10, v10, v9, s4
	v_cndmask_b32_e64 v20, v1, v7, s3
	v_and_b32_e32 v9, 12, v3
	v_min_i32_e32 v12, v4, v5
	v_cndmask_b32_e64 v11, v11, v13, s5
	v_add_nc_u32_e32 v13, 1, v16
	s_waitcnt lgkmcnt(0)
	v_and_b32_e32 v21, 0xff, v14
	v_cndmask_b32_e64 v15, v18, v15, s5
	v_add_nc_u32_e32 v5, 8, v12
	v_min_i32_e32 v9, v4, v9
	v_cndmask_b32_e64 v13, v16, v13, s5
	v_add_nc_u32_e32 v1, v0, v3
	v_cmp_ge_i32_e64 s4, v15, v6
	v_min_i32_e32 v5, v4, v5
	s_delay_alu instid0(VALU_DEP_4) | instskip(NEXT) | instid1(VALU_DEP_2)
	v_cmp_lt_i32_e64 s5, v13, v8
	; wave barrier
	v_add_nc_u32_e32 v19, 8, v5
	v_sub_nc_u32_e32 v16, v5, v12
	s_delay_alu instid0(VALU_DEP_2) | instskip(SKIP_1) | instid1(VALU_DEP_3)
	v_min_i32_e32 v7, v4, v19
	v_and_b32_e32 v19, 0xff, v17
	v_min_i32_e32 v8, v9, v16
	s_delay_alu instid0(VALU_DEP_3) | instskip(NEXT) | instid1(VALU_DEP_3)
	v_sub_nc_u32_e32 v22, v7, v5
	v_cmp_lt_u16_e64 s3, v19, v21
	s_delay_alu instid0(VALU_DEP_2) | instskip(SKIP_1) | instid1(VALU_DEP_3)
	v_sub_nc_u32_e32 v18, v9, v22
	v_cmp_ge_i32_e64 s6, v9, v22
	s_or_b32 s3, s4, s3
	s_mov_b32 s4, exec_lo
	s_and_b32 s3, s5, s3
	s_mov_b32 s5, 0
	v_cndmask_b32_e64 v6, 0, v18, s6
	v_cndmask_b32_e64 v13, v14, v17, s3
	ds_store_b8 v1, v20
	ds_store_b8 v1, v10 offset:1
	ds_store_b8 v1, v11 offset:2
	;; [unrolled: 1-line block ×3, first 2 shown]
	; wave barrier
	v_cmpx_lt_i32_e64 v6, v8
	s_cbranch_execz .LBB126_30
; %bb.27:
	v_add_nc_u32_e32 v10, v0, v12
	v_add3_u32 v11, v0, v5, v9
	.p2align	6
.LBB126_28:                             ; =>This Inner Loop Header: Depth=1
	v_sub_nc_u32_e32 v13, v8, v6
	s_delay_alu instid0(VALU_DEP_1) | instskip(NEXT) | instid1(VALU_DEP_1)
	v_lshrrev_b32_e32 v14, 31, v13
	v_add_nc_u32_e32 v13, v13, v14
	s_delay_alu instid0(VALU_DEP_1) | instskip(NEXT) | instid1(VALU_DEP_1)
	v_ashrrev_i32_e32 v13, 1, v13
	v_add_nc_u32_e32 v13, v13, v6
	s_delay_alu instid0(VALU_DEP_1)
	v_add_nc_u32_e32 v14, v10, v13
	v_xad_u32 v15, v13, -1, v11
	v_add_nc_u32_e32 v16, 1, v13
	ds_load_u8 v14, v14
	ds_load_u8 v15, v15
	s_waitcnt lgkmcnt(0)
	v_cmp_lt_u16_e64 s3, v15, v14
	s_delay_alu instid0(VALU_DEP_1) | instskip(SKIP_1) | instid1(VALU_DEP_1)
	v_cndmask_b32_e64 v8, v8, v13, s3
	v_cndmask_b32_e64 v6, v16, v6, s3
	v_cmp_ge_i32_e64 s3, v6, v8
	s_delay_alu instid0(VALU_DEP_1) | instskip(NEXT) | instid1(SALU_CYCLE_1)
	s_or_b32 s5, s3, s5
	s_and_not1_b32 exec_lo, exec_lo, s5
	s_cbranch_execnz .LBB126_28
; %bb.29:
	s_or_b32 exec_lo, exec_lo, s5
.LBB126_30:
	s_delay_alu instid0(SALU_CYCLE_1) | instskip(SKIP_2) | instid1(VALU_DEP_2)
	s_or_b32 exec_lo, exec_lo, s4
	v_add_nc_u32_e32 v8, v5, v9
	v_add_nc_u32_e32 v12, v6, v12
	v_sub_nc_u32_e32 v6, v8, v6
	s_delay_alu instid0(VALU_DEP_2) | instskip(SKIP_1) | instid1(VALU_DEP_3)
	v_add_nc_u32_e32 v14, v0, v12
	v_cmp_le_i32_e64 s3, v5, v12
	v_add_nc_u32_e32 v13, v0, v6
	v_cmp_gt_i32_e64 s5, v7, v6
	ds_load_u8 v8, v14
	ds_load_u8 v9, v13
	s_waitcnt lgkmcnt(1)
	v_and_b32_e32 v10, 0xff, v8
	s_waitcnt lgkmcnt(0)
	v_and_b32_e32 v11, 0xff, v9
	s_delay_alu instid0(VALU_DEP_1) | instskip(NEXT) | instid1(VALU_DEP_1)
	v_cmp_lt_u16_e64 s4, v11, v10
                                        ; implicit-def: $vgpr10
                                        ; implicit-def: $vgpr11
	s_or_b32 s3, s3, s4
	s_delay_alu instid0(SALU_CYCLE_1) | instskip(NEXT) | instid1(SALU_CYCLE_1)
	s_and_b32 s3, s5, s3
	s_xor_b32 s4, s3, -1
	s_delay_alu instid0(SALU_CYCLE_1) | instskip(NEXT) | instid1(SALU_CYCLE_1)
	s_and_saveexec_b32 s5, s4
	s_xor_b32 s4, exec_lo, s5
	s_cbranch_execz .LBB126_32
; %bb.31:
	ds_load_u8 v11, v14 offset:1
	v_mov_b32_e32 v10, v9
                                        ; implicit-def: $vgpr13
.LBB126_32:
	s_and_not1_saveexec_b32 s4, s4
	s_cbranch_execz .LBB126_34
; %bb.33:
	ds_load_u8 v10, v13 offset:1
	s_waitcnt lgkmcnt(1)
	v_mov_b32_e32 v11, v8
.LBB126_34:
	s_or_b32 exec_lo, exec_lo, s4
	v_add_nc_u32_e32 v13, 1, v12
	v_add_nc_u32_e32 v14, 1, v6
	s_waitcnt lgkmcnt(0)
	v_and_b32_e32 v15, 0xff, v11
	s_delay_alu instid0(VALU_DEP_3) | instskip(SKIP_2) | instid1(VALU_DEP_3)
	v_cndmask_b32_e64 v13, v13, v12, s3
	v_and_b32_e32 v12, 0xff, v10
	v_cndmask_b32_e64 v6, v6, v14, s3
	v_cmp_ge_i32_e64 s4, v13, v5
	s_delay_alu instid0(VALU_DEP_3) | instskip(NEXT) | instid1(VALU_DEP_3)
	v_cmp_lt_u16_e64 s5, v12, v15
	v_cmp_lt_i32_e64 s6, v6, v7
                                        ; implicit-def: $vgpr12
	s_delay_alu instid0(VALU_DEP_2)
	s_or_b32 s4, s4, s5
	s_delay_alu instid0(VALU_DEP_1) | instid1(SALU_CYCLE_1)
	s_and_b32 s4, s6, s4
	s_delay_alu instid0(SALU_CYCLE_1) | instskip(NEXT) | instid1(SALU_CYCLE_1)
	s_xor_b32 s5, s4, -1
	s_and_saveexec_b32 s6, s5
	s_delay_alu instid0(SALU_CYCLE_1)
	s_xor_b32 s5, exec_lo, s6
	s_cbranch_execz .LBB126_36
; %bb.35:
	v_add_nc_u32_e32 v12, v0, v13
	ds_load_u8 v12, v12 offset:1
.LBB126_36:
	s_or_saveexec_b32 s5, s5
	v_mov_b32_e32 v14, v10
	s_xor_b32 exec_lo, exec_lo, s5
	s_cbranch_execz .LBB126_38
; %bb.37:
	s_waitcnt lgkmcnt(0)
	v_add_nc_u32_e32 v12, v0, v6
	ds_load_u8 v14, v12 offset:1
	v_mov_b32_e32 v12, v11
.LBB126_38:
	s_or_b32 exec_lo, exec_lo, s5
	v_add_nc_u32_e32 v15, 1, v13
	v_add_nc_u32_e32 v17, 1, v6
	s_waitcnt lgkmcnt(0)
	v_and_b32_e32 v18, 0xff, v12
	s_delay_alu instid0(VALU_DEP_3) | instskip(SKIP_2) | instid1(VALU_DEP_3)
	v_cndmask_b32_e64 v16, v15, v13, s4
	v_and_b32_e32 v13, 0xff, v14
	v_cndmask_b32_e64 v17, v6, v17, s4
                                        ; implicit-def: $vgpr15
	v_cmp_ge_i32_e64 s5, v16, v5
	s_delay_alu instid0(VALU_DEP_3) | instskip(NEXT) | instid1(VALU_DEP_3)
	v_cmp_lt_u16_e64 s6, v13, v18
	v_cmp_lt_i32_e64 s7, v17, v7
	s_delay_alu instid0(VALU_DEP_2)
	s_or_b32 s5, s5, s6
	s_delay_alu instid0(VALU_DEP_1) | instid1(SALU_CYCLE_1)
	s_and_b32 s5, s7, s5
	s_delay_alu instid0(SALU_CYCLE_1) | instskip(NEXT) | instid1(SALU_CYCLE_1)
	s_xor_b32 s6, s5, -1
	s_and_saveexec_b32 s7, s6
	s_delay_alu instid0(SALU_CYCLE_1)
	s_xor_b32 s6, exec_lo, s7
	s_cbranch_execz .LBB126_40
; %bb.39:
	v_add_nc_u32_e32 v6, v0, v16
	ds_load_u8 v15, v6 offset:1
.LBB126_40:
	s_or_saveexec_b32 s6, s6
	v_mov_b32_e32 v18, v14
	s_xor_b32 exec_lo, exec_lo, s6
	s_cbranch_execz .LBB126_42
; %bb.41:
	v_add_nc_u32_e32 v6, v0, v17
	s_waitcnt lgkmcnt(0)
	v_mov_b32_e32 v15, v12
	ds_load_u8 v18, v6 offset:1
.LBB126_42:
	s_or_b32 exec_lo, exec_lo, s6
	v_and_b32_e32 v6, 0x60, v3
	v_add_nc_u32_e32 v20, 1, v16
	v_cndmask_b32_e64 v10, v11, v10, s4
	v_cndmask_b32_e64 v11, v8, v9, s3
	v_and_b32_e32 v9, 28, v3
	v_min_i32_e32 v13, v4, v6
	v_cndmask_b32_e64 v12, v12, v14, s5
	v_add_nc_u32_e32 v14, 1, v17
	s_waitcnt lgkmcnt(0)
	v_and_b32_e32 v21, 0xff, v18
	v_cndmask_b32_e64 v16, v20, v16, s5
	v_add_nc_u32_e32 v6, 16, v13
	v_min_i32_e32 v9, v4, v9
	v_cndmask_b32_e64 v14, v17, v14, s5
	s_delay_alu instid0(VALU_DEP_4) | instskip(NEXT) | instid1(VALU_DEP_4)
	v_cmp_ge_i32_e64 s4, v16, v5
	v_min_i32_e32 v6, v4, v6
	; wave barrier
	s_delay_alu instid0(VALU_DEP_3) | instskip(NEXT) | instid1(VALU_DEP_2)
	v_cmp_lt_i32_e64 s5, v14, v7
	v_add_nc_u32_e32 v19, 16, v6
	v_sub_nc_u32_e32 v17, v6, v13
	s_delay_alu instid0(VALU_DEP_2) | instskip(SKIP_1) | instid1(VALU_DEP_3)
	v_min_i32_e32 v8, v4, v19
	v_and_b32_e32 v19, 0xff, v15
	v_min_i32_e32 v7, v9, v17
	s_delay_alu instid0(VALU_DEP_3) | instskip(NEXT) | instid1(VALU_DEP_3)
	v_sub_nc_u32_e32 v22, v8, v6
	v_cmp_lt_u16_e64 s3, v21, v19
	s_delay_alu instid0(VALU_DEP_2) | instskip(SKIP_1) | instid1(VALU_DEP_3)
	v_sub_nc_u32_e32 v19, v9, v22
	v_cmp_ge_i32_e64 s6, v9, v22
	s_or_b32 s3, s4, s3
	s_mov_b32 s4, exec_lo
	s_and_b32 s3, s5, s3
	s_mov_b32 s5, 0
	v_cndmask_b32_e64 v5, 0, v19, s6
	v_cndmask_b32_e64 v14, v15, v18, s3
	ds_store_b8 v1, v11
	ds_store_b8 v1, v10 offset:1
	ds_store_b8 v1, v12 offset:2
	;; [unrolled: 1-line block ×3, first 2 shown]
	; wave barrier
	v_cmpx_lt_i32_e64 v5, v7
	s_cbranch_execz .LBB126_46
; %bb.43:
	v_add_nc_u32_e32 v10, v0, v13
	v_add3_u32 v11, v0, v6, v9
	.p2align	6
.LBB126_44:                             ; =>This Inner Loop Header: Depth=1
	v_sub_nc_u32_e32 v12, v7, v5
	s_delay_alu instid0(VALU_DEP_1) | instskip(NEXT) | instid1(VALU_DEP_1)
	v_lshrrev_b32_e32 v14, 31, v12
	v_add_nc_u32_e32 v12, v12, v14
	s_delay_alu instid0(VALU_DEP_1) | instskip(NEXT) | instid1(VALU_DEP_1)
	v_ashrrev_i32_e32 v12, 1, v12
	v_add_nc_u32_e32 v12, v12, v5
	s_delay_alu instid0(VALU_DEP_1)
	v_add_nc_u32_e32 v14, v10, v12
	v_xad_u32 v15, v12, -1, v11
	v_add_nc_u32_e32 v16, 1, v12
	ds_load_u8 v14, v14
	ds_load_u8 v15, v15
	s_waitcnt lgkmcnt(0)
	v_cmp_lt_u16_e64 s3, v15, v14
	s_delay_alu instid0(VALU_DEP_1) | instskip(SKIP_1) | instid1(VALU_DEP_1)
	v_cndmask_b32_e64 v7, v7, v12, s3
	v_cndmask_b32_e64 v5, v16, v5, s3
	v_cmp_ge_i32_e64 s3, v5, v7
	s_delay_alu instid0(VALU_DEP_1) | instskip(NEXT) | instid1(SALU_CYCLE_1)
	s_or_b32 s5, s3, s5
	s_and_not1_b32 exec_lo, exec_lo, s5
	s_cbranch_execnz .LBB126_44
; %bb.45:
	s_or_b32 exec_lo, exec_lo, s5
.LBB126_46:
	s_delay_alu instid0(SALU_CYCLE_1) | instskip(SKIP_2) | instid1(VALU_DEP_2)
	s_or_b32 exec_lo, exec_lo, s4
	v_add_nc_u32_e32 v7, v6, v9
	v_add_nc_u32_e32 v12, v5, v13
	v_sub_nc_u32_e32 v7, v7, v5
	s_delay_alu instid0(VALU_DEP_2) | instskip(SKIP_1) | instid1(VALU_DEP_3)
	v_add_nc_u32_e32 v14, v0, v12
	v_cmp_le_i32_e64 s3, v6, v12
	v_add_nc_u32_e32 v13, v0, v7
	v_cmp_gt_i32_e64 s5, v8, v7
	ds_load_u8 v5, v14
	ds_load_u8 v9, v13
	s_waitcnt lgkmcnt(1)
	v_and_b32_e32 v10, 0xff, v5
	s_waitcnt lgkmcnt(0)
	v_and_b32_e32 v11, 0xff, v9
	s_delay_alu instid0(VALU_DEP_1) | instskip(NEXT) | instid1(VALU_DEP_1)
	v_cmp_lt_u16_e64 s4, v11, v10
                                        ; implicit-def: $vgpr10
                                        ; implicit-def: $vgpr11
	s_or_b32 s3, s3, s4
	s_delay_alu instid0(SALU_CYCLE_1) | instskip(NEXT) | instid1(SALU_CYCLE_1)
	s_and_b32 s3, s5, s3
	s_xor_b32 s4, s3, -1
	s_delay_alu instid0(SALU_CYCLE_1) | instskip(NEXT) | instid1(SALU_CYCLE_1)
	s_and_saveexec_b32 s5, s4
	s_xor_b32 s4, exec_lo, s5
	s_cbranch_execz .LBB126_48
; %bb.47:
	ds_load_u8 v11, v14 offset:1
	v_mov_b32_e32 v10, v9
                                        ; implicit-def: $vgpr13
.LBB126_48:
	s_and_not1_saveexec_b32 s4, s4
	s_cbranch_execz .LBB126_50
; %bb.49:
	ds_load_u8 v10, v13 offset:1
	s_waitcnt lgkmcnt(1)
	v_mov_b32_e32 v11, v5
.LBB126_50:
	s_or_b32 exec_lo, exec_lo, s4
	v_add_nc_u32_e32 v13, 1, v12
	v_add_nc_u32_e32 v14, 1, v7
	s_waitcnt lgkmcnt(0)
	v_and_b32_e32 v15, 0xff, v11
	s_delay_alu instid0(VALU_DEP_3) | instskip(SKIP_2) | instid1(VALU_DEP_3)
	v_cndmask_b32_e64 v13, v13, v12, s3
	v_and_b32_e32 v12, 0xff, v10
	v_cndmask_b32_e64 v7, v7, v14, s3
	v_cmp_ge_i32_e64 s4, v13, v6
	s_delay_alu instid0(VALU_DEP_3) | instskip(NEXT) | instid1(VALU_DEP_3)
	v_cmp_lt_u16_e64 s5, v12, v15
	v_cmp_lt_i32_e64 s6, v7, v8
                                        ; implicit-def: $vgpr12
	s_delay_alu instid0(VALU_DEP_2)
	s_or_b32 s4, s4, s5
	s_delay_alu instid0(VALU_DEP_1) | instid1(SALU_CYCLE_1)
	s_and_b32 s4, s6, s4
	s_delay_alu instid0(SALU_CYCLE_1) | instskip(NEXT) | instid1(SALU_CYCLE_1)
	s_xor_b32 s5, s4, -1
	s_and_saveexec_b32 s6, s5
	s_delay_alu instid0(SALU_CYCLE_1)
	s_xor_b32 s5, exec_lo, s6
	s_cbranch_execz .LBB126_52
; %bb.51:
	v_add_nc_u32_e32 v12, v0, v13
	ds_load_u8 v12, v12 offset:1
.LBB126_52:
	s_or_saveexec_b32 s5, s5
	v_mov_b32_e32 v14, v10
	s_xor_b32 exec_lo, exec_lo, s5
	s_cbranch_execz .LBB126_54
; %bb.53:
	s_waitcnt lgkmcnt(0)
	v_add_nc_u32_e32 v12, v0, v7
	ds_load_u8 v14, v12 offset:1
	v_mov_b32_e32 v12, v11
.LBB126_54:
	s_or_b32 exec_lo, exec_lo, s5
	v_add_nc_u32_e32 v15, 1, v13
	v_add_nc_u32_e32 v17, 1, v7
	s_waitcnt lgkmcnt(0)
	v_and_b32_e32 v18, 0xff, v12
	s_delay_alu instid0(VALU_DEP_3) | instskip(SKIP_2) | instid1(VALU_DEP_3)
	v_cndmask_b32_e64 v16, v15, v13, s4
	v_and_b32_e32 v13, 0xff, v14
	v_cndmask_b32_e64 v17, v7, v17, s4
                                        ; implicit-def: $vgpr15
	v_cmp_ge_i32_e64 s5, v16, v6
	s_delay_alu instid0(VALU_DEP_3) | instskip(NEXT) | instid1(VALU_DEP_3)
	v_cmp_lt_u16_e64 s6, v13, v18
	v_cmp_lt_i32_e64 s7, v17, v8
	s_delay_alu instid0(VALU_DEP_2)
	s_or_b32 s5, s5, s6
	s_delay_alu instid0(VALU_DEP_1) | instid1(SALU_CYCLE_1)
	s_and_b32 s5, s7, s5
	s_delay_alu instid0(SALU_CYCLE_1) | instskip(NEXT) | instid1(SALU_CYCLE_1)
	s_xor_b32 s6, s5, -1
	s_and_saveexec_b32 s7, s6
	s_delay_alu instid0(SALU_CYCLE_1)
	s_xor_b32 s6, exec_lo, s7
	s_cbranch_execz .LBB126_56
; %bb.55:
	v_add_nc_u32_e32 v7, v0, v16
	ds_load_u8 v15, v7 offset:1
.LBB126_56:
	s_or_saveexec_b32 s6, s6
	v_mov_b32_e32 v18, v14
	s_xor_b32 exec_lo, exec_lo, s6
	s_cbranch_execz .LBB126_58
; %bb.57:
	v_add_nc_u32_e32 v7, v0, v17
	s_waitcnt lgkmcnt(0)
	v_mov_b32_e32 v15, v12
	ds_load_u8 v18, v7 offset:1
.LBB126_58:
	s_or_b32 exec_lo, exec_lo, s6
	v_and_b32_e32 v7, 64, v3
	v_add_nc_u32_e32 v20, 1, v16
	v_cndmask_b32_e64 v10, v11, v10, s4
	v_cndmask_b32_e64 v11, v5, v9, s3
	v_and_b32_e32 v5, 60, v3
	v_min_i32_e32 v13, v4, v7
	v_cndmask_b32_e64 v12, v12, v14, s5
	v_add_nc_u32_e32 v14, 1, v17
	s_waitcnt lgkmcnt(0)
	v_and_b32_e32 v21, 0xff, v18
	v_cndmask_b32_e64 v16, v20, v16, s5
	v_add_nc_u32_e32 v7, 32, v13
	v_min_i32_e32 v5, v4, v5
	v_cndmask_b32_e64 v14, v17, v14, s5
	s_delay_alu instid0(VALU_DEP_4) | instskip(NEXT) | instid1(VALU_DEP_4)
	v_cmp_ge_i32_e64 s4, v16, v6
	v_min_i32_e32 v7, v4, v7
	; wave barrier
	s_delay_alu instid0(VALU_DEP_3) | instskip(NEXT) | instid1(VALU_DEP_2)
	v_cmp_lt_i32_e64 s5, v14, v8
	v_add_nc_u32_e32 v19, 32, v7
	v_sub_nc_u32_e32 v17, v7, v13
	s_delay_alu instid0(VALU_DEP_2) | instskip(SKIP_1) | instid1(VALU_DEP_3)
	v_min_i32_e32 v9, v4, v19
	v_and_b32_e32 v19, 0xff, v15
	v_min_i32_e32 v8, v5, v17
	s_delay_alu instid0(VALU_DEP_3) | instskip(NEXT) | instid1(VALU_DEP_3)
	v_sub_nc_u32_e32 v22, v9, v7
	v_cmp_lt_u16_e64 s3, v21, v19
	s_delay_alu instid0(VALU_DEP_2) | instskip(SKIP_1) | instid1(VALU_DEP_3)
	v_sub_nc_u32_e32 v19, v5, v22
	v_cmp_ge_i32_e64 s6, v5, v22
	s_or_b32 s3, s4, s3
	s_mov_b32 s4, exec_lo
	s_and_b32 s3, s5, s3
	s_mov_b32 s5, 0
	v_cndmask_b32_e64 v6, 0, v19, s6
	v_cndmask_b32_e64 v14, v15, v18, s3
	ds_store_b8 v1, v11
	ds_store_b8 v1, v10 offset:1
	ds_store_b8 v1, v12 offset:2
	;; [unrolled: 1-line block ×3, first 2 shown]
	; wave barrier
	v_cmpx_lt_i32_e64 v6, v8
	s_cbranch_execz .LBB126_62
; %bb.59:
	v_add_nc_u32_e32 v10, v0, v13
	v_add3_u32 v11, v0, v7, v5
	.p2align	6
.LBB126_60:                             ; =>This Inner Loop Header: Depth=1
	v_sub_nc_u32_e32 v12, v8, v6
	s_delay_alu instid0(VALU_DEP_1) | instskip(NEXT) | instid1(VALU_DEP_1)
	v_lshrrev_b32_e32 v14, 31, v12
	v_add_nc_u32_e32 v12, v12, v14
	s_delay_alu instid0(VALU_DEP_1) | instskip(NEXT) | instid1(VALU_DEP_1)
	v_ashrrev_i32_e32 v12, 1, v12
	v_add_nc_u32_e32 v12, v12, v6
	s_delay_alu instid0(VALU_DEP_1)
	v_add_nc_u32_e32 v14, v10, v12
	v_xad_u32 v15, v12, -1, v11
	v_add_nc_u32_e32 v16, 1, v12
	ds_load_u8 v14, v14
	ds_load_u8 v15, v15
	s_waitcnt lgkmcnt(0)
	v_cmp_lt_u16_e64 s3, v15, v14
	s_delay_alu instid0(VALU_DEP_1) | instskip(SKIP_1) | instid1(VALU_DEP_1)
	v_cndmask_b32_e64 v8, v8, v12, s3
	v_cndmask_b32_e64 v6, v16, v6, s3
	v_cmp_ge_i32_e64 s3, v6, v8
	s_delay_alu instid0(VALU_DEP_1) | instskip(NEXT) | instid1(SALU_CYCLE_1)
	s_or_b32 s5, s3, s5
	s_and_not1_b32 exec_lo, exec_lo, s5
	s_cbranch_execnz .LBB126_60
; %bb.61:
	s_or_b32 exec_lo, exec_lo, s5
.LBB126_62:
	s_delay_alu instid0(SALU_CYCLE_1) | instskip(SKIP_2) | instid1(VALU_DEP_2)
	s_or_b32 exec_lo, exec_lo, s4
	v_add_nc_u32_e32 v5, v7, v5
	v_add_nc_u32_e32 v12, v6, v13
	v_sub_nc_u32_e32 v5, v5, v6
	s_delay_alu instid0(VALU_DEP_2) | instskip(SKIP_1) | instid1(VALU_DEP_3)
	v_add_nc_u32_e32 v14, v0, v12
	v_cmp_le_i32_e64 s3, v7, v12
	v_add_nc_u32_e32 v13, v0, v5
	v_cmp_gt_i32_e64 s5, v9, v5
	ds_load_u8 v6, v14
	ds_load_u8 v8, v13
	s_waitcnt lgkmcnt(1)
	v_and_b32_e32 v10, 0xff, v6
	s_waitcnt lgkmcnt(0)
	v_and_b32_e32 v11, 0xff, v8
	s_delay_alu instid0(VALU_DEP_1) | instskip(NEXT) | instid1(VALU_DEP_1)
	v_cmp_lt_u16_e64 s4, v11, v10
                                        ; implicit-def: $vgpr10
                                        ; implicit-def: $vgpr11
	s_or_b32 s3, s3, s4
	s_delay_alu instid0(SALU_CYCLE_1) | instskip(NEXT) | instid1(SALU_CYCLE_1)
	s_and_b32 s3, s5, s3
	s_xor_b32 s4, s3, -1
	s_delay_alu instid0(SALU_CYCLE_1) | instskip(NEXT) | instid1(SALU_CYCLE_1)
	s_and_saveexec_b32 s5, s4
	s_xor_b32 s4, exec_lo, s5
	s_cbranch_execz .LBB126_64
; %bb.63:
	ds_load_u8 v11, v14 offset:1
	v_mov_b32_e32 v10, v8
                                        ; implicit-def: $vgpr13
.LBB126_64:
	s_and_not1_saveexec_b32 s4, s4
	s_cbranch_execz .LBB126_66
; %bb.65:
	ds_load_u8 v10, v13 offset:1
	s_waitcnt lgkmcnt(1)
	v_mov_b32_e32 v11, v6
.LBB126_66:
	s_or_b32 exec_lo, exec_lo, s4
	v_add_nc_u32_e32 v13, 1, v12
	v_add_nc_u32_e32 v14, 1, v5
	s_waitcnt lgkmcnt(0)
	v_and_b32_e32 v15, 0xff, v11
	s_delay_alu instid0(VALU_DEP_3) | instskip(SKIP_2) | instid1(VALU_DEP_3)
	v_cndmask_b32_e64 v13, v13, v12, s3
	v_and_b32_e32 v12, 0xff, v10
	v_cndmask_b32_e64 v5, v5, v14, s3
	v_cmp_ge_i32_e64 s4, v13, v7
	s_delay_alu instid0(VALU_DEP_3) | instskip(NEXT) | instid1(VALU_DEP_3)
	v_cmp_lt_u16_e64 s5, v12, v15
	v_cmp_lt_i32_e64 s6, v5, v9
                                        ; implicit-def: $vgpr12
	s_delay_alu instid0(VALU_DEP_2)
	s_or_b32 s4, s4, s5
	s_delay_alu instid0(VALU_DEP_1) | instid1(SALU_CYCLE_1)
	s_and_b32 s4, s6, s4
	s_delay_alu instid0(SALU_CYCLE_1) | instskip(NEXT) | instid1(SALU_CYCLE_1)
	s_xor_b32 s5, s4, -1
	s_and_saveexec_b32 s6, s5
	s_delay_alu instid0(SALU_CYCLE_1)
	s_xor_b32 s5, exec_lo, s6
	s_cbranch_execz .LBB126_68
; %bb.67:
	v_add_nc_u32_e32 v12, v0, v13
	ds_load_u8 v12, v12 offset:1
.LBB126_68:
	s_or_saveexec_b32 s5, s5
	v_mov_b32_e32 v14, v10
	s_xor_b32 exec_lo, exec_lo, s5
	s_cbranch_execz .LBB126_70
; %bb.69:
	s_waitcnt lgkmcnt(0)
	v_add_nc_u32_e32 v12, v0, v5
	ds_load_u8 v14, v12 offset:1
	v_mov_b32_e32 v12, v11
.LBB126_70:
	s_or_b32 exec_lo, exec_lo, s5
	v_add_nc_u32_e32 v15, 1, v13
	v_add_nc_u32_e32 v16, 1, v5
	s_waitcnt lgkmcnt(0)
	v_and_b32_e32 v18, 0xff, v12
	s_delay_alu instid0(VALU_DEP_3) | instskip(SKIP_2) | instid1(VALU_DEP_3)
	v_cndmask_b32_e64 v15, v15, v13, s4
	v_and_b32_e32 v13, 0xff, v14
	v_cndmask_b32_e64 v17, v5, v16, s4
                                        ; implicit-def: $vgpr16
	v_cmp_ge_i32_e64 s5, v15, v7
	s_delay_alu instid0(VALU_DEP_3) | instskip(NEXT) | instid1(VALU_DEP_3)
	v_cmp_lt_u16_e64 s6, v13, v18
	v_cmp_lt_i32_e64 s7, v17, v9
	s_delay_alu instid0(VALU_DEP_2)
	s_or_b32 s5, s5, s6
	s_delay_alu instid0(VALU_DEP_1) | instid1(SALU_CYCLE_1)
	s_and_b32 s5, s7, s5
	s_delay_alu instid0(SALU_CYCLE_1) | instskip(NEXT) | instid1(SALU_CYCLE_1)
	s_xor_b32 s6, s5, -1
	s_and_saveexec_b32 s7, s6
	s_delay_alu instid0(SALU_CYCLE_1)
	s_xor_b32 s6, exec_lo, s7
	s_cbranch_execz .LBB126_72
; %bb.71:
	v_add_nc_u32_e32 v5, v0, v15
	ds_load_u8 v16, v5 offset:1
.LBB126_72:
	s_or_saveexec_b32 s6, s6
	v_mov_b32_e32 v18, v14
	s_xor_b32 exec_lo, exec_lo, s6
	s_cbranch_execz .LBB126_74
; %bb.73:
	v_add_nc_u32_e32 v5, v0, v17
	s_waitcnt lgkmcnt(0)
	v_mov_b32_e32 v16, v12
	ds_load_u8 v18, v5 offset:1
.LBB126_74:
	s_or_b32 exec_lo, exec_lo, s6
	v_min_i32_e32 v13, 0, v4
	v_add_nc_u32_e32 v20, 1, v15
	v_cndmask_b32_e64 v10, v11, v10, s4
	v_cndmask_b32_e64 v11, v6, v8, s3
	v_and_b32_e32 v8, 0x7c, v3
	v_add_nc_u32_e32 v5, 64, v13
	v_cndmask_b32_e64 v12, v12, v14, s5
	v_add_nc_u32_e32 v14, 1, v17
	s_waitcnt lgkmcnt(0)
	v_and_b32_e32 v21, 0xff, v18
	v_min_i32_e32 v5, v4, v5
	; wave barrier
	s_delay_alu instid0(VALU_DEP_3) | instskip(NEXT) | instid1(VALU_DEP_2)
	v_cndmask_b32_e64 v14, v17, v14, s5
	v_add_nc_u32_e32 v19, 64, v5
	s_delay_alu instid0(VALU_DEP_1)
	v_min_i32_e32 v6, v4, v19
	v_and_b32_e32 v19, 0xff, v16
	v_min_i32_e32 v4, v4, v8
	v_cndmask_b32_e64 v8, v20, v15, s5
	v_sub_nc_u32_e32 v15, v5, v13
	v_sub_nc_u32_e32 v22, v6, v5
	v_cmp_lt_u16_e64 s3, v21, v19
	v_cmp_lt_i32_e64 s5, v14, v9
	v_cmp_ge_i32_e64 s4, v8, v7
	v_min_i32_e32 v8, v4, v15
	v_sub_nc_u32_e32 v17, v4, v22
	v_cmp_ge_i32_e64 s6, v4, v22
	s_delay_alu instid0(VALU_DEP_4) | instskip(SKIP_2) | instid1(VALU_DEP_1)
	s_or_b32 s3, s4, s3
	s_mov_b32 s4, exec_lo
	s_and_b32 s3, s5, s3
	v_cndmask_b32_e64 v7, 0, v17, s6
	v_cndmask_b32_e64 v9, v16, v18, s3
	s_mov_b32 s5, 0
	ds_store_b8 v1, v11
	ds_store_b8 v1, v10 offset:1
	ds_store_b8 v1, v12 offset:2
	;; [unrolled: 1-line block ×3, first 2 shown]
	; wave barrier
	v_cmpx_lt_i32_e64 v7, v8
	s_cbranch_execz .LBB126_78
; %bb.75:
	v_add_nc_u32_e32 v1, v0, v13
	v_add3_u32 v9, v0, v5, v4
	.p2align	6
.LBB126_76:                             ; =>This Inner Loop Header: Depth=1
	v_sub_nc_u32_e32 v10, v8, v7
	s_delay_alu instid0(VALU_DEP_1) | instskip(NEXT) | instid1(VALU_DEP_1)
	v_lshrrev_b32_e32 v11, 31, v10
	v_add_nc_u32_e32 v10, v10, v11
	s_delay_alu instid0(VALU_DEP_1) | instskip(NEXT) | instid1(VALU_DEP_1)
	v_ashrrev_i32_e32 v10, 1, v10
	v_add_nc_u32_e32 v10, v10, v7
	s_delay_alu instid0(VALU_DEP_1)
	v_add_nc_u32_e32 v11, v1, v10
	v_xad_u32 v12, v10, -1, v9
	v_add_nc_u32_e32 v14, 1, v10
	ds_load_u8 v11, v11
	ds_load_u8 v12, v12
	s_waitcnt lgkmcnt(0)
	v_cmp_lt_u16_e64 s3, v12, v11
	s_delay_alu instid0(VALU_DEP_1) | instskip(SKIP_1) | instid1(VALU_DEP_1)
	v_cndmask_b32_e64 v8, v8, v10, s3
	v_cndmask_b32_e64 v7, v14, v7, s3
	v_cmp_ge_i32_e64 s3, v7, v8
	s_delay_alu instid0(VALU_DEP_1) | instskip(NEXT) | instid1(SALU_CYCLE_1)
	s_or_b32 s5, s3, s5
	s_and_not1_b32 exec_lo, exec_lo, s5
	s_cbranch_execnz .LBB126_76
; %bb.77:
	s_or_b32 exec_lo, exec_lo, s5
.LBB126_78:
	s_delay_alu instid0(SALU_CYCLE_1) | instskip(SKIP_2) | instid1(VALU_DEP_2)
	s_or_b32 exec_lo, exec_lo, s4
	v_add_nc_u32_e32 v1, v5, v4
	v_add_nc_u32_e32 v10, v7, v13
	v_sub_nc_u32_e32 v1, v1, v7
	s_delay_alu instid0(VALU_DEP_2) | instskip(SKIP_1) | instid1(VALU_DEP_3)
	v_add_nc_u32_e32 v12, v0, v10
	v_cmp_le_i32_e64 s3, v5, v10
	v_add_nc_u32_e32 v11, v0, v1
	v_cmp_gt_i32_e64 s5, v6, v1
	ds_load_u8 v4, v12
	ds_load_u8 v7, v11
	s_waitcnt lgkmcnt(1)
	v_and_b32_e32 v8, 0xff, v4
	s_waitcnt lgkmcnt(0)
	v_and_b32_e32 v9, 0xff, v7
	s_delay_alu instid0(VALU_DEP_1) | instskip(NEXT) | instid1(VALU_DEP_1)
	v_cmp_lt_u16_e64 s4, v9, v8
                                        ; implicit-def: $vgpr8
                                        ; implicit-def: $vgpr9
	s_or_b32 s3, s3, s4
	s_delay_alu instid0(SALU_CYCLE_1) | instskip(NEXT) | instid1(SALU_CYCLE_1)
	s_and_b32 s3, s5, s3
	s_xor_b32 s4, s3, -1
	s_delay_alu instid0(SALU_CYCLE_1) | instskip(NEXT) | instid1(SALU_CYCLE_1)
	s_and_saveexec_b32 s5, s4
	s_xor_b32 s4, exec_lo, s5
	s_cbranch_execz .LBB126_80
; %bb.79:
	ds_load_u8 v9, v12 offset:1
	v_mov_b32_e32 v8, v7
                                        ; implicit-def: $vgpr11
.LBB126_80:
	s_and_not1_saveexec_b32 s4, s4
	s_cbranch_execz .LBB126_82
; %bb.81:
	ds_load_u8 v8, v11 offset:1
	s_waitcnt lgkmcnt(1)
	v_mov_b32_e32 v9, v4
.LBB126_82:
	s_or_b32 exec_lo, exec_lo, s4
	v_add_nc_u32_e32 v11, 1, v10
	v_add_nc_u32_e32 v13, 1, v1
	s_waitcnt lgkmcnt(0)
	v_and_b32_e32 v14, 0xff, v9
	s_delay_alu instid0(VALU_DEP_3) | instskip(SKIP_2) | instid1(VALU_DEP_3)
	v_cndmask_b32_e64 v12, v11, v10, s3
	v_and_b32_e32 v10, 0xff, v8
	v_cndmask_b32_e64 v1, v1, v13, s3
	v_cmp_ge_i32_e64 s4, v12, v5
	s_delay_alu instid0(VALU_DEP_3) | instskip(NEXT) | instid1(VALU_DEP_3)
	v_cmp_lt_u16_e64 s5, v10, v14
	v_cmp_lt_i32_e64 s6, v1, v6
                                        ; implicit-def: $vgpr10
	s_delay_alu instid0(VALU_DEP_2)
	s_or_b32 s4, s4, s5
	s_delay_alu instid0(VALU_DEP_1) | instid1(SALU_CYCLE_1)
	s_and_b32 s4, s6, s4
	s_delay_alu instid0(SALU_CYCLE_1) | instskip(NEXT) | instid1(SALU_CYCLE_1)
	s_xor_b32 s5, s4, -1
	s_and_saveexec_b32 s6, s5
	s_delay_alu instid0(SALU_CYCLE_1)
	s_xor_b32 s5, exec_lo, s6
	s_cbranch_execz .LBB126_84
; %bb.83:
	v_add_nc_u32_e32 v10, v0, v12
	ds_load_u8 v10, v10 offset:1
.LBB126_84:
	s_or_saveexec_b32 s5, s5
	v_mov_b32_e32 v11, v8
	s_xor_b32 exec_lo, exec_lo, s5
	s_cbranch_execz .LBB126_86
; %bb.85:
	s_waitcnt lgkmcnt(0)
	v_add_nc_u32_e32 v10, v0, v1
	ds_load_u8 v11, v10 offset:1
	v_mov_b32_e32 v10, v9
.LBB126_86:
	s_or_b32 exec_lo, exec_lo, s5
	v_add_nc_u32_e32 v13, 1, v12
	v_add_nc_u32_e32 v14, 1, v1
	s_waitcnt lgkmcnt(0)
	v_and_b32_e32 v15, 0xff, v10
	s_delay_alu instid0(VALU_DEP_3) | instskip(SKIP_2) | instid1(VALU_DEP_3)
	v_cndmask_b32_e64 v16, v13, v12, s4
	v_and_b32_e32 v13, 0xff, v11
	v_cndmask_b32_e64 v12, v1, v14, s4
                                        ; implicit-def: $vgpr14
	v_cmp_ge_i32_e64 s5, v16, v5
	s_delay_alu instid0(VALU_DEP_3) | instskip(NEXT) | instid1(VALU_DEP_3)
	v_cmp_lt_u16_e64 s6, v13, v15
	v_cmp_lt_i32_e64 s7, v12, v6
                                        ; implicit-def: $vgpr13
	s_delay_alu instid0(VALU_DEP_2)
	s_or_b32 s5, s5, s6
	s_delay_alu instid0(VALU_DEP_1) | instid1(SALU_CYCLE_1)
	s_and_b32 s5, s7, s5
	s_delay_alu instid0(SALU_CYCLE_1) | instskip(NEXT) | instid1(SALU_CYCLE_1)
	s_xor_b32 s6, s5, -1
	s_and_saveexec_b32 s7, s6
	s_delay_alu instid0(SALU_CYCLE_1)
	s_xor_b32 s6, exec_lo, s7
	s_cbranch_execz .LBB126_88
; %bb.87:
	v_add_nc_u32_e32 v0, v0, v16
	v_add_nc_u32_e32 v14, 1, v16
                                        ; implicit-def: $vgpr16
	ds_load_u8 v13, v0 offset:1
                                        ; implicit-def: $vgpr0
.LBB126_88:
	s_or_saveexec_b32 s6, s6
	v_mov_b32_e32 v15, v11
	s_xor_b32 exec_lo, exec_lo, s6
	s_cbranch_execz .LBB126_90
; %bb.89:
	s_waitcnt lgkmcnt(0)
	v_dual_mov_b32 v13, v10 :: v_dual_add_nc_u32 v0, v0, v12
	v_add_nc_u32_e32 v12, 1, v12
	v_mov_b32_e32 v14, v16
	ds_load_u8 v15, v0 offset:1
.LBB126_90:
	s_or_b32 exec_lo, exec_lo, s6
	v_add_co_u32 v0, s6, s10, v2
	s_delay_alu instid0(VALU_DEP_1) | instskip(NEXT) | instid1(VALU_DEP_2)
	v_add_co_ci_u32_e64 v1, null, s11, 0, s6
	v_add_co_u32 v0, s6, v0, v3
	s_delay_alu instid0(VALU_DEP_1)
	v_add_co_ci_u32_e64 v1, s6, 0, v1, s6
	s_and_saveexec_b32 s6, vcc_lo
	s_cbranch_execnz .LBB126_95
; %bb.91:
	s_or_b32 exec_lo, exec_lo, s6
	s_and_saveexec_b32 s3, s0
	s_cbranch_execnz .LBB126_96
.LBB126_92:
	s_or_b32 exec_lo, exec_lo, s3
	s_and_saveexec_b32 s0, s1
	s_cbranch_execnz .LBB126_97
.LBB126_93:
	s_or_b32 exec_lo, exec_lo, s0
	s_and_saveexec_b32 s0, s2
	s_cbranch_execnz .LBB126_98
.LBB126_94:
	s_nop 0
	s_sendmsg sendmsg(MSG_DEALLOC_VGPRS)
	s_endpgm
.LBB126_95:
	v_cndmask_b32_e64 v2, v4, v7, s3
	global_store_b8 v[0:1], v2, off
	s_or_b32 exec_lo, exec_lo, s6
	s_and_saveexec_b32 s3, s0
	s_cbranch_execz .LBB126_92
.LBB126_96:
	v_cndmask_b32_e64 v2, v9, v8, s4
	global_store_b8 v[0:1], v2, off offset:1
	s_or_b32 exec_lo, exec_lo, s3
	s_and_saveexec_b32 s0, s1
	s_cbranch_execz .LBB126_93
.LBB126_97:
	v_cndmask_b32_e64 v2, v10, v11, s5
	global_store_b8 v[0:1], v2, off offset:2
	s_or_b32 exec_lo, exec_lo, s0
	s_and_saveexec_b32 s0, s2
	s_cbranch_execz .LBB126_94
.LBB126_98:
	s_waitcnt lgkmcnt(0)
	v_and_b32_e32 v2, 0xff, v13
	v_and_b32_e32 v3, 0xff, v15
	v_cmp_ge_i32_e32 vcc_lo, v14, v5
	v_cmp_lt_i32_e64 s1, v12, v6
	s_delay_alu instid0(VALU_DEP_3) | instskip(NEXT) | instid1(VALU_DEP_1)
	v_cmp_lt_u16_e64 s0, v3, v2
	s_or_b32 s0, vcc_lo, s0
	s_delay_alu instid0(VALU_DEP_2) | instid1(SALU_CYCLE_1)
	s_and_b32 vcc_lo, s1, s0
	v_cndmask_b32_e32 v2, v13, v15, vcc_lo
	global_store_b8 v[0:1], v2, off offset:3
	s_nop 0
	s_sendmsg sendmsg(MSG_DEALLOC_VGPRS)
	s_endpgm
	.section	.rodata,"a",@progbits
	.p2align	6, 0x0
	.amdhsa_kernel _Z19sort_keys_segmentedILj256ELj32ELj4EhN10test_utils4lessEEvPKT2_PS2_PKjT3_
		.amdhsa_group_segment_fixed_size 1032
		.amdhsa_private_segment_fixed_size 0
		.amdhsa_kernarg_size 28
		.amdhsa_user_sgpr_count 15
		.amdhsa_user_sgpr_dispatch_ptr 0
		.amdhsa_user_sgpr_queue_ptr 0
		.amdhsa_user_sgpr_kernarg_segment_ptr 1
		.amdhsa_user_sgpr_dispatch_id 0
		.amdhsa_user_sgpr_private_segment_size 0
		.amdhsa_wavefront_size32 1
		.amdhsa_uses_dynamic_stack 0
		.amdhsa_enable_private_segment 0
		.amdhsa_system_sgpr_workgroup_id_x 1
		.amdhsa_system_sgpr_workgroup_id_y 0
		.amdhsa_system_sgpr_workgroup_id_z 0
		.amdhsa_system_sgpr_workgroup_info 0
		.amdhsa_system_vgpr_workitem_id 0
		.amdhsa_next_free_vgpr 23
		.amdhsa_next_free_sgpr 16
		.amdhsa_reserve_vcc 1
		.amdhsa_float_round_mode_32 0
		.amdhsa_float_round_mode_16_64 0
		.amdhsa_float_denorm_mode_32 3
		.amdhsa_float_denorm_mode_16_64 3
		.amdhsa_dx10_clamp 1
		.amdhsa_ieee_mode 1
		.amdhsa_fp16_overflow 0
		.amdhsa_workgroup_processor_mode 1
		.amdhsa_memory_ordered 1
		.amdhsa_forward_progress 0
		.amdhsa_shared_vgpr_count 0
		.amdhsa_exception_fp_ieee_invalid_op 0
		.amdhsa_exception_fp_denorm_src 0
		.amdhsa_exception_fp_ieee_div_zero 0
		.amdhsa_exception_fp_ieee_overflow 0
		.amdhsa_exception_fp_ieee_underflow 0
		.amdhsa_exception_fp_ieee_inexact 0
		.amdhsa_exception_int_div_zero 0
	.end_amdhsa_kernel
	.section	.text._Z19sort_keys_segmentedILj256ELj32ELj4EhN10test_utils4lessEEvPKT2_PS2_PKjT3_,"axG",@progbits,_Z19sort_keys_segmentedILj256ELj32ELj4EhN10test_utils4lessEEvPKT2_PS2_PKjT3_,comdat
.Lfunc_end126:
	.size	_Z19sort_keys_segmentedILj256ELj32ELj4EhN10test_utils4lessEEvPKT2_PS2_PKjT3_, .Lfunc_end126-_Z19sort_keys_segmentedILj256ELj32ELj4EhN10test_utils4lessEEvPKT2_PS2_PKjT3_
                                        ; -- End function
	.section	.AMDGPU.csdata,"",@progbits
; Kernel info:
; codeLenInByte = 5580
; NumSgprs: 18
; NumVgprs: 23
; ScratchSize: 0
; MemoryBound: 0
; FloatMode: 240
; IeeeMode: 1
; LDSByteSize: 1032 bytes/workgroup (compile time only)
; SGPRBlocks: 2
; VGPRBlocks: 2
; NumSGPRsForWavesPerEU: 18
; NumVGPRsForWavesPerEU: 23
; Occupancy: 16
; WaveLimiterHint : 0
; COMPUTE_PGM_RSRC2:SCRATCH_EN: 0
; COMPUTE_PGM_RSRC2:USER_SGPR: 15
; COMPUTE_PGM_RSRC2:TRAP_HANDLER: 0
; COMPUTE_PGM_RSRC2:TGID_X_EN: 1
; COMPUTE_PGM_RSRC2:TGID_Y_EN: 0
; COMPUTE_PGM_RSRC2:TGID_Z_EN: 0
; COMPUTE_PGM_RSRC2:TIDIG_COMP_CNT: 0
	.section	.text._Z20sort_pairs_segmentedILj256ELj32ELj4EhN10test_utils4lessEEvPKT2_PS2_PKjT3_,"axG",@progbits,_Z20sort_pairs_segmentedILj256ELj32ELj4EhN10test_utils4lessEEvPKT2_PS2_PKjT3_,comdat
	.protected	_Z20sort_pairs_segmentedILj256ELj32ELj4EhN10test_utils4lessEEvPKT2_PS2_PKjT3_ ; -- Begin function _Z20sort_pairs_segmentedILj256ELj32ELj4EhN10test_utils4lessEEvPKT2_PS2_PKjT3_
	.globl	_Z20sort_pairs_segmentedILj256ELj32ELj4EhN10test_utils4lessEEvPKT2_PS2_PKjT3_
	.p2align	8
	.type	_Z20sort_pairs_segmentedILj256ELj32ELj4EhN10test_utils4lessEEvPKT2_PS2_PKjT3_,@function
_Z20sort_pairs_segmentedILj256ELj32ELj4EhN10test_utils4lessEEvPKT2_PS2_PKjT3_: ; @_Z20sort_pairs_segmentedILj256ELj32ELj4EhN10test_utils4lessEEvPKT2_PS2_PKjT3_
; %bb.0:
	s_clause 0x1
	s_load_b64 s[2:3], s[0:1], 0x10
	s_load_b128 s[8:11], s[0:1], 0x0
	v_lshrrev_b32_e32 v6, 5, v0
                                        ; implicit-def: $vgpr9
	s_delay_alu instid0(VALU_DEP_1) | instskip(SKIP_1) | instid1(VALU_DEP_1)
	v_lshl_or_b32 v0, s15, 3, v6
	v_mov_b32_e32 v1, 0
	v_lshlrev_b64 v[1:2], 2, v[0:1]
	s_waitcnt lgkmcnt(0)
	s_delay_alu instid0(VALU_DEP_1) | instskip(NEXT) | instid1(VALU_DEP_2)
	v_add_co_u32 v1, vcc_lo, s2, v1
	v_add_co_ci_u32_e32 v2, vcc_lo, s3, v2, vcc_lo
	global_load_b32 v4, v[1:2], off
	v_lshlrev_b32_e32 v2, 7, v0
	v_mbcnt_lo_u32_b32 v1, -1, 0
	s_delay_alu instid0(VALU_DEP_2) | instskip(NEXT) | instid1(VALU_DEP_2)
	v_add_co_u32 v0, s0, s8, v2
	v_lshlrev_b32_e32 v3, 2, v1
	v_add_co_ci_u32_e64 v1, null, s9, 0, s0
	s_delay_alu instid0(VALU_DEP_2) | instskip(NEXT) | instid1(VALU_DEP_2)
	v_add_co_u32 v0, vcc_lo, v0, v3
	v_add_co_ci_u32_e32 v1, vcc_lo, 0, v1, vcc_lo
	s_waitcnt vmcnt(0)
	v_cmp_lt_u32_e32 vcc_lo, v3, v4
	s_and_saveexec_b32 s0, vcc_lo
	s_cbranch_execz .LBB127_2
; %bb.1:
	global_load_u8 v9, v[0:1], off
.LBB127_2:
	s_or_b32 exec_lo, exec_lo, s0
	v_or_b32_e32 v5, 1, v3
                                        ; implicit-def: $vgpr11
	s_delay_alu instid0(VALU_DEP_1) | instskip(NEXT) | instid1(VALU_DEP_1)
	v_cmp_lt_u32_e64 s0, v5, v4
	s_and_saveexec_b32 s1, s0
	s_cbranch_execz .LBB127_4
; %bb.3:
	global_load_u8 v11, v[0:1], off offset:1
.LBB127_4:
	s_or_b32 exec_lo, exec_lo, s1
	v_or_b32_e32 v7, 2, v3
                                        ; implicit-def: $vgpr10
	s_delay_alu instid0(VALU_DEP_1) | instskip(NEXT) | instid1(VALU_DEP_1)
	v_cmp_lt_u32_e64 s1, v7, v4
	s_and_saveexec_b32 s2, s1
	s_cbranch_execz .LBB127_6
; %bb.5:
	global_load_u8 v10, v[0:1], off offset:2
.LBB127_6:
	s_or_b32 exec_lo, exec_lo, s2
	v_or_b32_e32 v8, 3, v3
                                        ; implicit-def: $vgpr12
	s_delay_alu instid0(VALU_DEP_1) | instskip(NEXT) | instid1(VALU_DEP_1)
	v_cmp_lt_u32_e64 s2, v8, v4
	s_and_saveexec_b32 s3, s2
	s_cbranch_execz .LBB127_8
; %bb.7:
	global_load_u8 v12, v[0:1], off offset:3
.LBB127_8:
	s_or_b32 exec_lo, exec_lo, s3
	s_waitcnt vmcnt(0)
	v_and_b32_e32 v0, 0xff, v9
	v_lshlrev_b16 v1, 8, v11
	v_and_b32_e32 v11, 0xff, v10
	v_add_nc_u16 v9, v9, 1
	v_lshlrev_b16 v12, 8, v12
	v_add_nc_u16 v10, v10, 1
	v_or_b32_e32 v13, v0, v1
	v_or_b32_e32 v0, 0xffffff00, v0
	v_and_b32_e32 v9, 0xff, v9
	v_or_b32_e32 v11, v11, v12
	v_cmp_lt_i32_e64 s3, v5, v4
	v_and_b32_e32 v13, 0xffff, v13
	v_and_b32_e32 v0, 0xffff, v0
	v_or_b32_e32 v1, v1, v9
	v_lshlrev_b32_e32 v11, 16, v11
	v_and_b32_e32 v10, 0xff, v10
	v_and_b32_e32 v9, 0xffff, v9
	s_mov_b32 s4, exec_lo
	v_add_nc_u16 v1, v1, 0x100
	v_or_b32_e32 v13, v13, v11
	v_or_b32_e32 v0, v0, v11
	v_lshlrev_b32_e32 v5, 16, v10
	s_delay_alu instid0(VALU_DEP_4) | instskip(NEXT) | instid1(VALU_DEP_3)
	v_and_b32_e32 v1, 0xffff, v1
	v_cndmask_b32_e64 v0, v0, v13, s3
	v_cmp_lt_i32_e64 s3, v7, v4
	s_delay_alu instid0(VALU_DEP_3) | instskip(NEXT) | instid1(VALU_DEP_3)
	v_cndmask_b32_e64 v1, v9, v1, s0
	v_lshrrev_b32_e32 v9, 16, v0
	s_delay_alu instid0(VALU_DEP_2) | instskip(NEXT) | instid1(VALU_DEP_2)
	v_or_b32_e32 v5, v1, v5
	v_or_b32_e32 v9, 0xff, v9
	s_delay_alu instid0(VALU_DEP_2) | instskip(NEXT) | instid1(VALU_DEP_2)
	v_cndmask_b32_e64 v1, v1, v5, s1
	v_lshlrev_b32_e32 v5, 16, v9
	s_delay_alu instid0(VALU_DEP_2) | instskip(NEXT) | instid1(VALU_DEP_2)
	v_lshrrev_b32_e32 v9, 16, v1
	v_and_or_b32 v0, 0xffff, v0, v5
	s_delay_alu instid0(VALU_DEP_2) | instskip(NEXT) | instid1(VALU_DEP_2)
	v_and_b32_e32 v5, 0xff, v9
	v_cndmask_b32_e64 v0, v0, v13, s3
	v_cmp_lt_i32_e64 s3, v8, v4
	s_delay_alu instid0(VALU_DEP_3) | instskip(NEXT) | instid1(VALU_DEP_3)
	v_or_b32_e32 v5, v12, v5
	v_lshrrev_b32_e32 v7, 16, v0
	s_delay_alu instid0(VALU_DEP_2) | instskip(NEXT) | instid1(VALU_DEP_2)
	v_add_nc_u16 v5, v5, 0x100
	v_or_b32_e32 v7, 0xffffff00, v7
	s_delay_alu instid0(VALU_DEP_2) | instskip(NEXT) | instid1(VALU_DEP_2)
	v_lshlrev_b32_e32 v5, 16, v5
	v_lshlrev_b32_e32 v7, 16, v7
	s_delay_alu instid0(VALU_DEP_2) | instskip(NEXT) | instid1(VALU_DEP_2)
	v_and_or_b32 v5, 0xffff, v1, v5
	v_and_or_b32 v0, 0xffff, v0, v7
	s_delay_alu instid0(VALU_DEP_2) | instskip(NEXT) | instid1(VALU_DEP_2)
	v_cndmask_b32_e64 v5, v1, v5, s2
	v_cndmask_b32_e64 v11, v0, v13, s3
	v_cmpx_lt_i32_e64 v3, v4
	s_cbranch_execz .LBB127_10
; %bb.9:
	s_delay_alu instid0(VALU_DEP_2) | instskip(SKIP_3) | instid1(VALU_DEP_4)
	v_lshrrev_b32_e32 v0, 8, v11
	v_and_b32_e32 v1, 0xff, v11
	v_perm_b32 v8, v11, v11, 0x7060405
	v_perm_b32 v7, v5, v5, 0x7060405
	v_and_b32_e32 v0, 0xff, v0
	s_delay_alu instid0(VALU_DEP_1) | instskip(NEXT) | instid1(VALU_DEP_1)
	v_cmp_lt_u16_e64 s3, v0, v1
	v_cndmask_b32_e64 v1, v11, v8, s3
	s_delay_alu instid0(VALU_DEP_4) | instskip(NEXT) | instid1(VALU_DEP_2)
	v_cndmask_b32_e64 v0, v5, v7, s3
	v_lshrrev_b32_e32 v7, 16, v1
	s_delay_alu instid0(VALU_DEP_2) | instskip(SKIP_1) | instid1(VALU_DEP_3)
	v_lshrrev_b32_e32 v5, 16, v0
	v_lshrrev_b32_e32 v9, 24, v1
	v_perm_b32 v8, 0, v7, 0xc0c0001
	s_delay_alu instid0(VALU_DEP_3) | instskip(SKIP_1) | instid1(VALU_DEP_3)
	v_perm_b32 v5, 0, v5, 0xc0c0001
	v_and_b32_e32 v7, 0xff, v7
	v_lshlrev_b32_e32 v8, 16, v8
	s_delay_alu instid0(VALU_DEP_3) | instskip(NEXT) | instid1(VALU_DEP_3)
	v_lshlrev_b32_e32 v5, 16, v5
	v_cmp_lt_u16_e64 s3, v9, v7
	s_delay_alu instid0(VALU_DEP_3) | instskip(NEXT) | instid1(VALU_DEP_3)
	v_and_or_b32 v8, 0xffff, v1, v8
	v_and_or_b32 v5, 0xffff, v0, v5
	s_delay_alu instid0(VALU_DEP_2) | instskip(NEXT) | instid1(VALU_DEP_2)
	v_cndmask_b32_e64 v1, v1, v8, s3
	v_cndmask_b32_e64 v0, v0, v5, s3
	v_min_u16 v5, v9, v7
	s_delay_alu instid0(VALU_DEP_3) | instskip(SKIP_1) | instid1(VALU_DEP_3)
	v_lshrrev_b32_e32 v7, 16, v1
	v_lshrrev_b16 v9, 8, v1
	v_lshlrev_b16 v8, 8, v5
	v_and_b32_e32 v10, 0xff, v1
	s_delay_alu instid0(VALU_DEP_4) | instskip(NEXT) | instid1(VALU_DEP_2)
	v_and_b32_e32 v7, 0xffffff00, v7
	v_or_b32_e32 v8, v10, v8
	v_perm_b32 v10, v0, v0, 0x7050604
	s_delay_alu instid0(VALU_DEP_3) | instskip(SKIP_1) | instid1(VALU_DEP_4)
	v_or_b32_e32 v7, v9, v7
	v_lshrrev_b32_e32 v9, 8, v1
	v_and_b32_e32 v8, 0xffff, v8
	s_delay_alu instid0(VALU_DEP_3) | instskip(NEXT) | instid1(VALU_DEP_3)
	v_lshlrev_b32_e32 v7, 16, v7
	v_and_b32_e32 v9, 0xff, v9
	s_delay_alu instid0(VALU_DEP_2) | instskip(NEXT) | instid1(VALU_DEP_2)
	v_or_b32_e32 v7, v8, v7
	v_cmp_lt_u16_e64 s3, v5, v9
	v_min_u16 v5, v5, v9
	s_delay_alu instid0(VALU_DEP_2) | instskip(SKIP_1) | instid1(VALU_DEP_2)
	v_cndmask_b32_e64 v1, v1, v7, s3
	v_cndmask_b32_e64 v0, v0, v10, s3
	v_lshlrev_b16 v7, 8, v1
	v_and_b32_e32 v9, 0xff, v1
	s_delay_alu instid0(VALU_DEP_3) | instskip(NEXT) | instid1(VALU_DEP_3)
	v_perm_b32 v8, 0, v0, 0xc0c0001
	v_or_b32_e32 v7, v5, v7
	s_delay_alu instid0(VALU_DEP_3) | instskip(NEXT) | instid1(VALU_DEP_3)
	v_cmp_lt_u16_e64 s3, v5, v9
	v_and_or_b32 v8, 0xffff0000, v0, v8
	s_delay_alu instid0(VALU_DEP_3) | instskip(NEXT) | instid1(VALU_DEP_2)
	v_and_b32_e32 v7, 0xffff, v7
	v_cndmask_b32_e64 v0, v0, v8, s3
	s_delay_alu instid0(VALU_DEP_2) | instskip(NEXT) | instid1(VALU_DEP_2)
	v_and_or_b32 v7, 0xffff0000, v1, v7
	v_lshrrev_b32_e32 v5, 16, v0
	s_delay_alu instid0(VALU_DEP_2) | instskip(NEXT) | instid1(VALU_DEP_2)
	v_cndmask_b32_e64 v1, v1, v7, s3
	v_perm_b32 v5, 0, v5, 0xc0c0001
	s_delay_alu instid0(VALU_DEP_2) | instskip(SKIP_1) | instid1(VALU_DEP_3)
	v_lshrrev_b32_e32 v7, 16, v1
	v_lshrrev_b32_e32 v9, 24, v1
	v_lshlrev_b32_e32 v5, 16, v5
	s_delay_alu instid0(VALU_DEP_3) | instskip(SKIP_1) | instid1(VALU_DEP_3)
	v_perm_b32 v8, 0, v7, 0xc0c0001
	v_and_b32_e32 v7, 0xff, v7
	v_and_or_b32 v5, 0xffff, v0, v5
	s_delay_alu instid0(VALU_DEP_3) | instskip(NEXT) | instid1(VALU_DEP_3)
	v_lshlrev_b32_e32 v8, 16, v8
	v_cmp_lt_u16_e64 s3, v9, v7
	s_delay_alu instid0(VALU_DEP_2) | instskip(NEXT) | instid1(VALU_DEP_2)
	v_and_or_b32 v8, 0xffff, v1, v8
	v_cndmask_b32_e64 v0, v0, v5, s3
	v_min_u16 v5, v9, v7
	s_delay_alu instid0(VALU_DEP_3) | instskip(NEXT) | instid1(VALU_DEP_2)
	v_cndmask_b32_e64 v1, v1, v8, s3
	v_lshlrev_b16 v8, 8, v5
	s_delay_alu instid0(VALU_DEP_2) | instskip(SKIP_2) | instid1(VALU_DEP_3)
	v_lshrrev_b32_e32 v7, 16, v1
	v_lshrrev_b16 v9, 8, v1
	v_and_b32_e32 v10, 0xff, v1
	v_and_b32_e32 v7, 0xffffff00, v7
	s_delay_alu instid0(VALU_DEP_2) | instskip(SKIP_1) | instid1(VALU_DEP_3)
	v_or_b32_e32 v8, v10, v8
	v_perm_b32 v10, v0, v0, 0x7050604
	v_or_b32_e32 v7, v9, v7
	v_lshrrev_b32_e32 v9, 8, v1
	s_delay_alu instid0(VALU_DEP_4) | instskip(NEXT) | instid1(VALU_DEP_3)
	v_and_b32_e32 v8, 0xffff, v8
	v_lshlrev_b32_e32 v7, 16, v7
	s_delay_alu instid0(VALU_DEP_3) | instskip(NEXT) | instid1(VALU_DEP_2)
	v_and_b32_e32 v9, 0xff, v9
	v_or_b32_e32 v7, v8, v7
	s_delay_alu instid0(VALU_DEP_2) | instskip(NEXT) | instid1(VALU_DEP_1)
	v_cmp_lt_u16_e64 s3, v5, v9
	v_cndmask_b32_e64 v5, v0, v10, s3
	s_delay_alu instid0(VALU_DEP_3)
	v_cndmask_b32_e64 v11, v1, v7, s3
.LBB127_10:
	s_or_b32 exec_lo, exec_lo, s4
	v_and_b32_e32 v0, 0x78, v3
	v_and_b32_e32 v9, 4, v3
	v_mad_u32_u24 v13, 0x81, v6, v3
	s_mov_b32 s5, 0
	s_mov_b32 s4, exec_lo
	v_min_i32_e32 v8, v4, v0
	v_min_i32_e32 v9, v4, v9
	; wave barrier
	ds_store_b32 v13, v11
	v_add_nc_u32_e32 v0, 4, v8
	; wave barrier
	s_delay_alu instid0(VALU_DEP_1) | instskip(NEXT) | instid1(VALU_DEP_1)
	v_min_i32_e32 v1, v4, v0
	v_add_nc_u32_e32 v0, 4, v1
	v_sub_nc_u32_e32 v12, v1, v8
	s_delay_alu instid0(VALU_DEP_2) | instskip(NEXT) | instid1(VALU_DEP_2)
	v_min_i32_e32 v7, v4, v0
	v_min_i32_e32 v12, v9, v12
	s_delay_alu instid0(VALU_DEP_2) | instskip(NEXT) | instid1(VALU_DEP_1)
	v_sub_nc_u32_e32 v0, v7, v1
	v_sub_nc_u32_e32 v10, v9, v0
	v_cmp_ge_i32_e64 s3, v9, v0
	v_mul_u32_u24_e32 v0, 0x81, v6
	s_delay_alu instid0(VALU_DEP_2) | instskip(NEXT) | instid1(VALU_DEP_1)
	v_cndmask_b32_e64 v10, 0, v10, s3
	v_cmpx_lt_i32_e64 v10, v12
	s_cbranch_execz .LBB127_14
; %bb.11:
	s_delay_alu instid0(VALU_DEP_3)
	v_add_nc_u32_e32 v6, v0, v8
	v_add3_u32 v11, v0, v1, v9
	.p2align	6
.LBB127_12:                             ; =>This Inner Loop Header: Depth=1
	v_sub_nc_u32_e32 v13, v12, v10
	s_delay_alu instid0(VALU_DEP_1) | instskip(NEXT) | instid1(VALU_DEP_1)
	v_lshrrev_b32_e32 v14, 31, v13
	v_add_nc_u32_e32 v13, v13, v14
	s_delay_alu instid0(VALU_DEP_1) | instskip(NEXT) | instid1(VALU_DEP_1)
	v_ashrrev_i32_e32 v13, 1, v13
	v_add_nc_u32_e32 v13, v13, v10
	s_delay_alu instid0(VALU_DEP_1)
	v_add_nc_u32_e32 v14, v6, v13
	v_xad_u32 v15, v13, -1, v11
	v_add_nc_u32_e32 v16, 1, v13
	ds_load_u8 v14, v14
	ds_load_u8 v15, v15
	s_waitcnt lgkmcnt(0)
	v_cmp_lt_u16_e64 s3, v15, v14
	s_delay_alu instid0(VALU_DEP_1) | instskip(SKIP_1) | instid1(VALU_DEP_1)
	v_cndmask_b32_e64 v12, v12, v13, s3
	v_cndmask_b32_e64 v10, v16, v10, s3
	v_cmp_ge_i32_e64 s3, v10, v12
	s_delay_alu instid0(VALU_DEP_1) | instskip(NEXT) | instid1(SALU_CYCLE_1)
	s_or_b32 s5, s3, s5
	s_and_not1_b32 exec_lo, exec_lo, s5
	s_cbranch_execnz .LBB127_12
; %bb.13:
	s_or_b32 exec_lo, exec_lo, s5
.LBB127_14:
	s_delay_alu instid0(SALU_CYCLE_1) | instskip(SKIP_2) | instid1(VALU_DEP_2)
	s_or_b32 exec_lo, exec_lo, s4
	v_add_nc_u32_e32 v9, v1, v9
	v_add_nc_u32_e32 v6, v10, v8
	v_sub_nc_u32_e32 v8, v9, v10
	s_delay_alu instid0(VALU_DEP_2) | instskip(SKIP_1) | instid1(VALU_DEP_3)
	v_add_nc_u32_e32 v10, v0, v6
	v_cmp_le_i32_e64 s3, v1, v6
	v_add_nc_u32_e32 v9, v0, v8
	v_cmp_gt_i32_e64 s5, v7, v8
	ds_load_u8 v11, v10
	ds_load_u8 v12, v9
	s_waitcnt lgkmcnt(1)
	v_and_b32_e32 v13, 0xff, v11
	s_waitcnt lgkmcnt(0)
	v_and_b32_e32 v14, 0xff, v12
	s_delay_alu instid0(VALU_DEP_1) | instskip(NEXT) | instid1(VALU_DEP_1)
	v_cmp_lt_u16_e64 s4, v14, v13
                                        ; implicit-def: $vgpr13
                                        ; implicit-def: $vgpr14
	s_or_b32 s3, s3, s4
	s_delay_alu instid0(SALU_CYCLE_1) | instskip(NEXT) | instid1(SALU_CYCLE_1)
	s_and_b32 s3, s5, s3
	s_xor_b32 s4, s3, -1
	s_delay_alu instid0(SALU_CYCLE_1) | instskip(NEXT) | instid1(SALU_CYCLE_1)
	s_and_saveexec_b32 s5, s4
	s_xor_b32 s4, exec_lo, s5
	s_cbranch_execz .LBB127_16
; %bb.15:
	ds_load_u8 v14, v10 offset:1
	v_mov_b32_e32 v13, v12
                                        ; implicit-def: $vgpr9
.LBB127_16:
	s_and_not1_saveexec_b32 s4, s4
	s_cbranch_execz .LBB127_18
; %bb.17:
	ds_load_u8 v13, v9 offset:1
	s_waitcnt lgkmcnt(1)
	v_mov_b32_e32 v14, v11
.LBB127_18:
	s_or_b32 exec_lo, exec_lo, s4
	v_add_nc_u32_e32 v9, 1, v6
	v_add_nc_u32_e32 v10, 1, v8
	s_waitcnt lgkmcnt(0)
	v_and_b32_e32 v15, 0xff, v14
	v_and_b32_e32 v16, 0xff, v13
	v_cndmask_b32_e64 v9, v9, v6, s3
	v_cndmask_b32_e64 v10, v8, v10, s3
	s_delay_alu instid0(VALU_DEP_3) | instskip(NEXT) | instid1(VALU_DEP_3)
	v_cmp_lt_u16_e64 s5, v16, v15
                                        ; implicit-def: $vgpr15
	v_cmp_ge_i32_e64 s4, v9, v1
	s_delay_alu instid0(VALU_DEP_3) | instskip(NEXT) | instid1(VALU_DEP_2)
	v_cmp_lt_i32_e64 s6, v10, v7
	s_or_b32 s4, s4, s5
	s_delay_alu instid0(VALU_DEP_1) | instid1(SALU_CYCLE_1)
	s_and_b32 s4, s6, s4
	s_delay_alu instid0(SALU_CYCLE_1) | instskip(NEXT) | instid1(SALU_CYCLE_1)
	s_xor_b32 s5, s4, -1
	s_and_saveexec_b32 s6, s5
	s_delay_alu instid0(SALU_CYCLE_1)
	s_xor_b32 s5, exec_lo, s6
	s_cbranch_execz .LBB127_20
; %bb.19:
	v_add_nc_u32_e32 v15, v0, v9
	ds_load_u8 v15, v15 offset:1
.LBB127_20:
	s_or_saveexec_b32 s5, s5
	v_mov_b32_e32 v16, v13
	s_xor_b32 exec_lo, exec_lo, s5
	s_cbranch_execz .LBB127_22
; %bb.21:
	s_waitcnt lgkmcnt(0)
	v_add_nc_u32_e32 v15, v0, v10
	ds_load_u8 v16, v15 offset:1
	v_mov_b32_e32 v15, v14
.LBB127_22:
	s_or_b32 exec_lo, exec_lo, s5
	v_add_nc_u32_e32 v17, 1, v9
	v_add_nc_u32_e32 v19, 1, v10
	s_waitcnt lgkmcnt(0)
	v_and_b32_e32 v20, 0xff, v15
	s_delay_alu instid0(VALU_DEP_3) | instskip(SKIP_2) | instid1(VALU_DEP_3)
	v_cndmask_b32_e64 v18, v17, v9, s4
	v_and_b32_e32 v17, 0xff, v16
	v_cndmask_b32_e64 v19, v10, v19, s4
	v_cmp_ge_i32_e64 s5, v18, v1
	s_delay_alu instid0(VALU_DEP_3) | instskip(NEXT) | instid1(VALU_DEP_3)
	v_cmp_lt_u16_e64 s6, v17, v20
	v_cmp_lt_i32_e64 s7, v19, v7
                                        ; implicit-def: $vgpr20
	s_delay_alu instid0(VALU_DEP_2)
	s_or_b32 s5, s5, s6
	s_delay_alu instid0(VALU_DEP_1) | instid1(SALU_CYCLE_1)
	s_and_b32 s5, s7, s5
	s_delay_alu instid0(SALU_CYCLE_1) | instskip(NEXT) | instid1(SALU_CYCLE_1)
	s_xor_b32 s6, s5, -1
	s_and_saveexec_b32 s7, s6
	s_delay_alu instid0(SALU_CYCLE_1)
	s_xor_b32 s6, exec_lo, s7
	s_cbranch_execz .LBB127_24
; %bb.23:
	v_add_nc_u32_e32 v17, v0, v18
	ds_load_u8 v20, v17 offset:1
.LBB127_24:
	s_or_saveexec_b32 s6, s6
	v_mov_b32_e32 v21, v16
	s_xor_b32 exec_lo, exec_lo, s6
	s_cbranch_execz .LBB127_26
; %bb.25:
	s_waitcnt lgkmcnt(0)
	v_dual_mov_b32 v20, v15 :: v_dual_add_nc_u32 v17, v0, v19
	ds_load_u8 v21, v17 offset:1
.LBB127_26:
	s_or_b32 exec_lo, exec_lo, s6
	v_add_nc_u32_e32 v17, 1, v18
	v_add_nc_u32_e32 v22, 1, v19
	v_and_b32_e32 v25, 0x70, v3
	s_waitcnt lgkmcnt(0)
	v_and_b32_e32 v23, 0xff, v20
	v_and_b32_e32 v24, 0xff, v21
	v_cndmask_b32_e64 v26, v17, v18, s5
	v_cndmask_b32_e64 v22, v19, v22, s5
	v_min_i32_e32 v17, v4, v25
	v_cndmask_b32_e64 v8, v6, v8, s3
	v_cmp_lt_u16_e64 s6, v24, v23
	v_cmp_ge_i32_e64 s7, v26, v1
	v_cmp_lt_i32_e64 s8, v22, v7
	v_cndmask_b32_e64 v7, v9, v10, s4
	v_add_nc_u32_e32 v9, 8, v17
	v_cndmask_b32_e64 v18, v18, v19, s5
	s_or_b32 s6, s7, s6
	v_add_nc_u32_e32 v1, v0, v3
	s_and_b32 s6, s8, s6
	v_min_i32_e32 v6, v4, v9
	v_cndmask_b32_e64 v9, v26, v22, s6
	v_add_nc_u32_e32 v8, v0, v8
	v_and_b32_e32 v10, 12, v3
	v_cndmask_b32_e64 v19, v20, v21, s6
	v_add_nc_u32_e32 v20, v0, v7
	; wave barrier
	ds_store_b32 v1, v5
	v_add_nc_u32_e32 v5, 8, v6
	v_add_nc_u32_e32 v21, v0, v18
	;; [unrolled: 1-line block ×3, first 2 shown]
	; wave barrier
	v_min_i32_e32 v18, v4, v10
	ds_load_u8 v7, v8
	ds_load_u8 v8, v20
	;; [unrolled: 1-line block ×4, first 2 shown]
	v_min_i32_e32 v5, v4, v5
	v_sub_nc_u32_e32 v21, v6, v17
	v_cndmask_b32_e64 v22, v15, v16, s5
	v_cndmask_b32_e64 v11, v11, v12, s3
	v_cndmask_b32_e64 v12, v14, v13, s4
	v_sub_nc_u32_e32 v23, v5, v6
	v_min_i32_e32 v15, v18, v21
	s_mov_b32 s4, exec_lo
	; wave barrier
	s_delay_alu instid0(VALU_DEP_2)
	v_sub_nc_u32_e32 v20, v18, v23
	v_cmp_ge_i32_e64 s5, v18, v23
	ds_store_b8 v1, v11
	ds_store_b8 v1, v12 offset:1
	ds_store_b8 v1, v22 offset:2
	;; [unrolled: 1-line block ×3, first 2 shown]
	; wave barrier
	v_cndmask_b32_e64 v16, 0, v20, s5
	s_mov_b32 s5, 0
	s_delay_alu instid0(VALU_DEP_1)
	v_cmpx_lt_i32_e64 v16, v15
	s_cbranch_execz .LBB127_30
; %bb.27:
	v_add_nc_u32_e32 v11, v0, v17
	v_add3_u32 v12, v0, v6, v18
	.p2align	6
.LBB127_28:                             ; =>This Inner Loop Header: Depth=1
	v_sub_nc_u32_e32 v13, v15, v16
	s_delay_alu instid0(VALU_DEP_1) | instskip(NEXT) | instid1(VALU_DEP_1)
	v_lshrrev_b32_e32 v14, 31, v13
	v_add_nc_u32_e32 v13, v13, v14
	s_delay_alu instid0(VALU_DEP_1) | instskip(NEXT) | instid1(VALU_DEP_1)
	v_ashrrev_i32_e32 v13, 1, v13
	v_add_nc_u32_e32 v13, v13, v16
	s_delay_alu instid0(VALU_DEP_1)
	v_add_nc_u32_e32 v14, v11, v13
	v_xad_u32 v19, v13, -1, v12
	v_add_nc_u32_e32 v20, 1, v13
	ds_load_u8 v14, v14
	ds_load_u8 v19, v19
	s_waitcnt lgkmcnt(0)
	v_cmp_lt_u16_e64 s3, v19, v14
	s_delay_alu instid0(VALU_DEP_1) | instskip(SKIP_1) | instid1(VALU_DEP_1)
	v_cndmask_b32_e64 v15, v15, v13, s3
	v_cndmask_b32_e64 v16, v20, v16, s3
	v_cmp_ge_i32_e64 s3, v16, v15
	s_delay_alu instid0(VALU_DEP_1) | instskip(NEXT) | instid1(SALU_CYCLE_1)
	s_or_b32 s5, s3, s5
	s_and_not1_b32 exec_lo, exec_lo, s5
	s_cbranch_execnz .LBB127_28
; %bb.29:
	s_or_b32 exec_lo, exec_lo, s5
.LBB127_30:
	s_delay_alu instid0(SALU_CYCLE_1) | instskip(SKIP_2) | instid1(VALU_DEP_2)
	s_or_b32 exec_lo, exec_lo, s4
	v_add_nc_u32_e32 v11, v6, v18
	v_add_nc_u32_e32 v15, v16, v17
	v_sub_nc_u32_e32 v16, v11, v16
	s_delay_alu instid0(VALU_DEP_2) | instskip(SKIP_1) | instid1(VALU_DEP_3)
	v_add_nc_u32_e32 v18, v0, v15
	v_cmp_le_i32_e64 s3, v6, v15
	v_add_nc_u32_e32 v17, v0, v16
	v_cmp_gt_i32_e64 s5, v5, v16
	ds_load_u8 v11, v18
	ds_load_u8 v12, v17
	s_waitcnt lgkmcnt(1)
	v_and_b32_e32 v13, 0xff, v11
	s_waitcnt lgkmcnt(0)
	v_and_b32_e32 v14, 0xff, v12
	s_delay_alu instid0(VALU_DEP_1) | instskip(NEXT) | instid1(VALU_DEP_1)
	v_cmp_lt_u16_e64 s4, v14, v13
                                        ; implicit-def: $vgpr13
                                        ; implicit-def: $vgpr14
	s_or_b32 s3, s3, s4
	s_delay_alu instid0(SALU_CYCLE_1) | instskip(NEXT) | instid1(SALU_CYCLE_1)
	s_and_b32 s3, s5, s3
	s_xor_b32 s4, s3, -1
	s_delay_alu instid0(SALU_CYCLE_1) | instskip(NEXT) | instid1(SALU_CYCLE_1)
	s_and_saveexec_b32 s5, s4
	s_xor_b32 s4, exec_lo, s5
	s_cbranch_execz .LBB127_32
; %bb.31:
	ds_load_u8 v14, v18 offset:1
	v_mov_b32_e32 v13, v12
                                        ; implicit-def: $vgpr17
.LBB127_32:
	s_and_not1_saveexec_b32 s4, s4
	s_cbranch_execz .LBB127_34
; %bb.33:
	ds_load_u8 v13, v17 offset:1
	s_waitcnt lgkmcnt(1)
	v_mov_b32_e32 v14, v11
.LBB127_34:
	s_or_b32 exec_lo, exec_lo, s4
	v_add_nc_u32_e32 v17, 1, v15
	v_add_nc_u32_e32 v18, 1, v16
	s_waitcnt lgkmcnt(0)
	v_and_b32_e32 v21, 0xff, v14
	s_delay_alu instid0(VALU_DEP_3) | instskip(SKIP_2) | instid1(VALU_DEP_3)
	v_cndmask_b32_e64 v19, v17, v15, s3
	v_and_b32_e32 v17, 0xff, v13
	v_cndmask_b32_e64 v20, v16, v18, s3
	v_cmp_ge_i32_e64 s4, v19, v6
	s_delay_alu instid0(VALU_DEP_3) | instskip(NEXT) | instid1(VALU_DEP_3)
	v_cmp_lt_u16_e64 s5, v17, v21
	v_cmp_lt_i32_e64 s6, v20, v5
                                        ; implicit-def: $vgpr17
	s_delay_alu instid0(VALU_DEP_2)
	s_or_b32 s4, s4, s5
	s_delay_alu instid0(VALU_DEP_1) | instid1(SALU_CYCLE_1)
	s_and_b32 s4, s6, s4
	s_delay_alu instid0(SALU_CYCLE_1) | instskip(NEXT) | instid1(SALU_CYCLE_1)
	s_xor_b32 s5, s4, -1
	s_and_saveexec_b32 s6, s5
	s_delay_alu instid0(SALU_CYCLE_1)
	s_xor_b32 s5, exec_lo, s6
	s_cbranch_execz .LBB127_36
; %bb.35:
	v_add_nc_u32_e32 v17, v0, v19
	ds_load_u8 v17, v17 offset:1
.LBB127_36:
	s_or_saveexec_b32 s5, s5
	v_mov_b32_e32 v18, v13
	s_xor_b32 exec_lo, exec_lo, s5
	s_cbranch_execz .LBB127_38
; %bb.37:
	s_waitcnt lgkmcnt(0)
	v_add_nc_u32_e32 v17, v0, v20
	ds_load_u8 v18, v17 offset:1
	v_mov_b32_e32 v17, v14
.LBB127_38:
	s_or_b32 exec_lo, exec_lo, s5
	v_add_nc_u32_e32 v21, 1, v19
	v_add_nc_u32_e32 v22, 1, v20
	s_waitcnt lgkmcnt(0)
	v_and_b32_e32 v23, 0xff, v17
	s_delay_alu instid0(VALU_DEP_3) | instskip(SKIP_2) | instid1(VALU_DEP_3)
	v_cndmask_b32_e64 v24, v21, v19, s4
	v_and_b32_e32 v21, 0xff, v18
	v_cndmask_b32_e64 v22, v20, v22, s4
	v_cmp_ge_i32_e64 s5, v24, v6
	s_delay_alu instid0(VALU_DEP_3) | instskip(NEXT) | instid1(VALU_DEP_3)
	v_cmp_lt_u16_e64 s6, v21, v23
	v_cmp_lt_i32_e64 s7, v22, v5
                                        ; implicit-def: $vgpr21
	s_delay_alu instid0(VALU_DEP_2)
	s_or_b32 s5, s5, s6
	s_delay_alu instid0(VALU_DEP_1) | instid1(SALU_CYCLE_1)
	s_and_b32 s5, s7, s5
	s_delay_alu instid0(SALU_CYCLE_1) | instskip(NEXT) | instid1(SALU_CYCLE_1)
	s_xor_b32 s6, s5, -1
	s_and_saveexec_b32 s7, s6
	s_delay_alu instid0(SALU_CYCLE_1)
	s_xor_b32 s6, exec_lo, s7
	s_cbranch_execz .LBB127_40
; %bb.39:
	v_add_nc_u32_e32 v21, v0, v24
	ds_load_u8 v21, v21 offset:1
.LBB127_40:
	s_or_saveexec_b32 s6, s6
	v_mov_b32_e32 v23, v18
	s_xor_b32 exec_lo, exec_lo, s6
	s_cbranch_execz .LBB127_42
; %bb.41:
	s_waitcnt lgkmcnt(0)
	v_add_nc_u32_e32 v21, v0, v22
	ds_load_u8 v23, v21 offset:1
	v_mov_b32_e32 v21, v17
.LBB127_42:
	s_or_b32 exec_lo, exec_lo, s6
	v_add_nc_u32_e32 v25, 1, v24
	v_add_nc_u32_e32 v26, 1, v22
	v_cndmask_b32_e64 v27, v24, v22, s5
	v_cndmask_b32_e64 v20, v19, v20, s4
	s_waitcnt lgkmcnt(0)
	v_and_b32_e32 v28, 0xff, v21
	v_cndmask_b32_e64 v24, v25, v24, s5
	v_and_b32_e32 v25, 0x60, v3
	v_cndmask_b32_e64 v22, v22, v26, s5
	v_and_b32_e32 v29, 0xff, v23
	s_delay_alu instid0(VALU_DEP_4) | instskip(NEXT) | instid1(VALU_DEP_4)
	v_cmp_ge_i32_e64 s7, v24, v6
	v_min_i32_e32 v19, v4, v25
	s_delay_alu instid0(VALU_DEP_4) | instskip(NEXT) | instid1(VALU_DEP_4)
	v_cmp_lt_i32_e64 s8, v22, v5
	v_cmp_lt_u16_e64 s6, v29, v28
	v_cndmask_b32_e64 v6, v15, v16, s3
	; wave barrier
	s_delay_alu instid0(VALU_DEP_4)
	v_add_nc_u32_e32 v5, 16, v19
	ds_store_b8 v1, v7
	ds_store_b8 v1, v8 offset:1
	ds_store_b8 v1, v9 offset:2
	ds_store_b8 v1, v10 offset:3
	s_or_b32 s6, s7, s6
	v_add_nc_u32_e32 v6, v0, v6
	s_and_b32 s6, s8, s6
	v_min_i32_e32 v5, v4, v5
	v_cndmask_b32_e64 v15, v24, v22, s6
	v_and_b32_e32 v8, 28, v3
	v_add_nc_u32_e32 v9, v0, v27
	s_delay_alu instid0(VALU_DEP_4) | instskip(NEXT) | instid1(VALU_DEP_4)
	v_add_nc_u32_e32 v7, 16, v5
	v_add_nc_u32_e32 v16, v0, v15
	; wave barrier
	s_delay_alu instid0(VALU_DEP_4) | instskip(SKIP_1) | instid1(VALU_DEP_4)
	v_min_i32_e32 v15, v4, v8
	v_sub_nc_u32_e32 v22, v5, v19
	v_min_i32_e32 v10, v4, v7
	v_add_nc_u32_e32 v7, v0, v20
	v_cndmask_b32_e64 v18, v17, v18, s5
	ds_load_u8 v6, v6
	ds_load_u8 v7, v7
	;; [unrolled: 1-line block ×4, first 2 shown]
	v_sub_nc_u32_e32 v20, v10, v5
	v_min_i32_e32 v17, v15, v22
	v_cndmask_b32_e64 v11, v11, v12, s3
	v_cndmask_b32_e64 v12, v14, v13, s4
	;; [unrolled: 1-line block ×3, first 2 shown]
	v_sub_nc_u32_e32 v16, v15, v20
	v_cmp_ge_i32_e64 s5, v15, v20
	s_mov_b32 s4, exec_lo
	; wave barrier
	ds_store_b8 v1, v11
	ds_store_b8 v1, v12 offset:1
	ds_store_b8 v1, v18 offset:2
	;; [unrolled: 1-line block ×3, first 2 shown]
	v_cndmask_b32_e64 v16, 0, v16, s5
	s_mov_b32 s5, 0
	; wave barrier
	s_delay_alu instid0(VALU_DEP_1)
	v_cmpx_lt_i32_e64 v16, v17
	s_cbranch_execz .LBB127_46
; %bb.43:
	v_add_nc_u32_e32 v11, v0, v19
	v_add3_u32 v12, v0, v5, v15
	.p2align	6
.LBB127_44:                             ; =>This Inner Loop Header: Depth=1
	v_sub_nc_u32_e32 v13, v17, v16
	s_delay_alu instid0(VALU_DEP_1) | instskip(NEXT) | instid1(VALU_DEP_1)
	v_lshrrev_b32_e32 v14, 31, v13
	v_add_nc_u32_e32 v13, v13, v14
	s_delay_alu instid0(VALU_DEP_1) | instskip(NEXT) | instid1(VALU_DEP_1)
	v_ashrrev_i32_e32 v13, 1, v13
	v_add_nc_u32_e32 v13, v13, v16
	s_delay_alu instid0(VALU_DEP_1)
	v_add_nc_u32_e32 v14, v11, v13
	v_xad_u32 v18, v13, -1, v12
	v_add_nc_u32_e32 v20, 1, v13
	ds_load_u8 v14, v14
	ds_load_u8 v18, v18
	s_waitcnt lgkmcnt(0)
	v_cmp_lt_u16_e64 s3, v18, v14
	s_delay_alu instid0(VALU_DEP_1) | instskip(SKIP_1) | instid1(VALU_DEP_1)
	v_cndmask_b32_e64 v17, v17, v13, s3
	v_cndmask_b32_e64 v16, v20, v16, s3
	v_cmp_ge_i32_e64 s3, v16, v17
	s_delay_alu instid0(VALU_DEP_1) | instskip(NEXT) | instid1(SALU_CYCLE_1)
	s_or_b32 s5, s3, s5
	s_and_not1_b32 exec_lo, exec_lo, s5
	s_cbranch_execnz .LBB127_44
; %bb.45:
	s_or_b32 exec_lo, exec_lo, s5
.LBB127_46:
	s_delay_alu instid0(SALU_CYCLE_1) | instskip(SKIP_2) | instid1(VALU_DEP_2)
	s_or_b32 exec_lo, exec_lo, s4
	v_add_nc_u32_e32 v11, v5, v15
	v_add_nc_u32_e32 v15, v16, v19
	v_sub_nc_u32_e32 v16, v11, v16
	s_delay_alu instid0(VALU_DEP_2) | instskip(SKIP_1) | instid1(VALU_DEP_3)
	v_add_nc_u32_e32 v18, v0, v15
	v_cmp_le_i32_e64 s3, v5, v15
	v_add_nc_u32_e32 v17, v0, v16
	v_cmp_gt_i32_e64 s5, v10, v16
	ds_load_u8 v11, v18
	ds_load_u8 v12, v17
	s_waitcnt lgkmcnt(1)
	v_and_b32_e32 v13, 0xff, v11
	s_waitcnt lgkmcnt(0)
	v_and_b32_e32 v14, 0xff, v12
	s_delay_alu instid0(VALU_DEP_1) | instskip(NEXT) | instid1(VALU_DEP_1)
	v_cmp_lt_u16_e64 s4, v14, v13
                                        ; implicit-def: $vgpr13
                                        ; implicit-def: $vgpr14
	s_or_b32 s3, s3, s4
	s_delay_alu instid0(SALU_CYCLE_1) | instskip(NEXT) | instid1(SALU_CYCLE_1)
	s_and_b32 s3, s5, s3
	s_xor_b32 s4, s3, -1
	s_delay_alu instid0(SALU_CYCLE_1) | instskip(NEXT) | instid1(SALU_CYCLE_1)
	s_and_saveexec_b32 s5, s4
	s_xor_b32 s4, exec_lo, s5
	s_cbranch_execz .LBB127_48
; %bb.47:
	ds_load_u8 v14, v18 offset:1
	v_mov_b32_e32 v13, v12
                                        ; implicit-def: $vgpr17
.LBB127_48:
	s_and_not1_saveexec_b32 s4, s4
	s_cbranch_execz .LBB127_50
; %bb.49:
	ds_load_u8 v13, v17 offset:1
	s_waitcnt lgkmcnt(1)
	v_mov_b32_e32 v14, v11
.LBB127_50:
	s_or_b32 exec_lo, exec_lo, s4
	v_add_nc_u32_e32 v17, 1, v15
	v_add_nc_u32_e32 v18, 1, v16
	s_waitcnt lgkmcnt(0)
	v_and_b32_e32 v21, 0xff, v14
	s_delay_alu instid0(VALU_DEP_3) | instskip(SKIP_2) | instid1(VALU_DEP_3)
	v_cndmask_b32_e64 v19, v17, v15, s3
	v_and_b32_e32 v17, 0xff, v13
	v_cndmask_b32_e64 v20, v16, v18, s3
	v_cmp_ge_i32_e64 s4, v19, v5
	s_delay_alu instid0(VALU_DEP_3) | instskip(NEXT) | instid1(VALU_DEP_3)
	v_cmp_lt_u16_e64 s5, v17, v21
	v_cmp_lt_i32_e64 s6, v20, v10
                                        ; implicit-def: $vgpr17
	s_delay_alu instid0(VALU_DEP_2)
	s_or_b32 s4, s4, s5
	s_delay_alu instid0(VALU_DEP_1) | instid1(SALU_CYCLE_1)
	s_and_b32 s4, s6, s4
	s_delay_alu instid0(SALU_CYCLE_1) | instskip(NEXT) | instid1(SALU_CYCLE_1)
	s_xor_b32 s5, s4, -1
	s_and_saveexec_b32 s6, s5
	s_delay_alu instid0(SALU_CYCLE_1)
	s_xor_b32 s5, exec_lo, s6
	s_cbranch_execz .LBB127_52
; %bb.51:
	v_add_nc_u32_e32 v17, v0, v19
	ds_load_u8 v17, v17 offset:1
.LBB127_52:
	s_or_saveexec_b32 s5, s5
	v_mov_b32_e32 v18, v13
	s_xor_b32 exec_lo, exec_lo, s5
	s_cbranch_execz .LBB127_54
; %bb.53:
	s_waitcnt lgkmcnt(0)
	v_add_nc_u32_e32 v17, v0, v20
	ds_load_u8 v18, v17 offset:1
	v_mov_b32_e32 v17, v14
.LBB127_54:
	s_or_b32 exec_lo, exec_lo, s5
	v_add_nc_u32_e32 v21, 1, v19
	v_add_nc_u32_e32 v22, 1, v20
	s_waitcnt lgkmcnt(0)
	v_and_b32_e32 v23, 0xff, v17
	s_delay_alu instid0(VALU_DEP_3) | instskip(SKIP_2) | instid1(VALU_DEP_3)
	v_cndmask_b32_e64 v24, v21, v19, s4
	v_and_b32_e32 v21, 0xff, v18
	v_cndmask_b32_e64 v22, v20, v22, s4
	v_cmp_ge_i32_e64 s5, v24, v5
	s_delay_alu instid0(VALU_DEP_3) | instskip(NEXT) | instid1(VALU_DEP_3)
	v_cmp_lt_u16_e64 s6, v21, v23
	v_cmp_lt_i32_e64 s7, v22, v10
                                        ; implicit-def: $vgpr21
	s_delay_alu instid0(VALU_DEP_2)
	s_or_b32 s5, s5, s6
	s_delay_alu instid0(VALU_DEP_1) | instid1(SALU_CYCLE_1)
	s_and_b32 s5, s7, s5
	s_delay_alu instid0(SALU_CYCLE_1) | instskip(NEXT) | instid1(SALU_CYCLE_1)
	s_xor_b32 s6, s5, -1
	s_and_saveexec_b32 s7, s6
	s_delay_alu instid0(SALU_CYCLE_1)
	s_xor_b32 s6, exec_lo, s7
	s_cbranch_execz .LBB127_56
; %bb.55:
	v_add_nc_u32_e32 v21, v0, v24
	ds_load_u8 v21, v21 offset:1
.LBB127_56:
	s_or_saveexec_b32 s6, s6
	v_mov_b32_e32 v23, v18
	s_xor_b32 exec_lo, exec_lo, s6
	s_cbranch_execz .LBB127_58
; %bb.57:
	s_waitcnt lgkmcnt(0)
	v_add_nc_u32_e32 v21, v0, v22
	ds_load_u8 v23, v21 offset:1
	v_mov_b32_e32 v21, v17
.LBB127_58:
	s_or_b32 exec_lo, exec_lo, s6
	v_add_nc_u32_e32 v25, 1, v24
	v_cndmask_b32_e64 v27, v24, v22, s5
	v_add_nc_u32_e32 v26, 1, v22
	s_waitcnt lgkmcnt(0)
	v_and_b32_e32 v28, 0xff, v21
	v_and_b32_e32 v29, 0xff, v23
	v_cndmask_b32_e64 v24, v25, v24, s5
	v_and_b32_e32 v25, 64, v3
	v_cndmask_b32_e64 v20, v19, v20, s4
	v_cndmask_b32_e64 v22, v22, v26, s5
	v_cmp_lt_u16_e64 s6, v29, v28
	v_cmp_ge_i32_e64 s7, v24, v5
	v_min_i32_e32 v19, v4, v25
	s_delay_alu instid0(VALU_DEP_4) | instskip(SKIP_1) | instid1(VALU_DEP_4)
	v_cmp_lt_i32_e64 s8, v22, v10
	v_cndmask_b32_e64 v10, v15, v16, s3
	s_or_b32 s6, s7, s6
	s_delay_alu instid0(VALU_DEP_3) | instskip(NEXT) | instid1(VALU_DEP_3)
	v_add_nc_u32_e32 v5, 32, v19
	; wave barrier
	s_and_b32 s6, s8, s6
	ds_store_b8 v1, v6
	ds_store_b8 v1, v7 offset:1
	ds_store_b8 v1, v8 offset:2
	;; [unrolled: 1-line block ×3, first 2 shown]
	v_cndmask_b32_e64 v15, v24, v22, s6
	v_min_i32_e32 v5, v4, v5
	v_add_nc_u32_e32 v7, v0, v10
	v_and_b32_e32 v8, 60, v3
	v_add_nc_u32_e32 v9, v0, v20
	v_add_nc_u32_e32 v16, v0, v27
	;; [unrolled: 1-line block ×4, first 2 shown]
	; wave barrier
	v_min_i32_e32 v15, v4, v8
	s_delay_alu instid0(VALU_DEP_3)
	v_min_i32_e32 v10, v4, v6
	ds_load_u8 v6, v7
	ds_load_u8 v7, v9
	;; [unrolled: 1-line block ×4, first 2 shown]
	v_sub_nc_u32_e32 v20, v5, v19
	v_cndmask_b32_e64 v18, v17, v18, s5
	v_cndmask_b32_e64 v11, v11, v12, s3
	v_sub_nc_u32_e32 v22, v10, v5
	v_cndmask_b32_e64 v12, v14, v13, s4
	v_min_i32_e32 v17, v15, v20
	v_cndmask_b32_e64 v21, v21, v23, s6
	s_mov_b32 s4, exec_lo
	v_sub_nc_u32_e32 v16, v15, v22
	v_cmp_ge_i32_e64 s5, v15, v22
	; wave barrier
	ds_store_b8 v1, v11
	ds_store_b8 v1, v12 offset:1
	ds_store_b8 v1, v18 offset:2
	;; [unrolled: 1-line block ×3, first 2 shown]
	v_cndmask_b32_e64 v16, 0, v16, s5
	s_mov_b32 s5, 0
	; wave barrier
	s_delay_alu instid0(VALU_DEP_1)
	v_cmpx_lt_i32_e64 v16, v17
	s_cbranch_execz .LBB127_62
; %bb.59:
	v_add_nc_u32_e32 v11, v0, v19
	v_add3_u32 v12, v0, v5, v15
	.p2align	6
.LBB127_60:                             ; =>This Inner Loop Header: Depth=1
	v_sub_nc_u32_e32 v13, v17, v16
	s_delay_alu instid0(VALU_DEP_1) | instskip(NEXT) | instid1(VALU_DEP_1)
	v_lshrrev_b32_e32 v14, 31, v13
	v_add_nc_u32_e32 v13, v13, v14
	s_delay_alu instid0(VALU_DEP_1) | instskip(NEXT) | instid1(VALU_DEP_1)
	v_ashrrev_i32_e32 v13, 1, v13
	v_add_nc_u32_e32 v13, v13, v16
	s_delay_alu instid0(VALU_DEP_1)
	v_add_nc_u32_e32 v14, v11, v13
	v_xad_u32 v18, v13, -1, v12
	v_add_nc_u32_e32 v20, 1, v13
	ds_load_u8 v14, v14
	ds_load_u8 v18, v18
	s_waitcnt lgkmcnt(0)
	v_cmp_lt_u16_e64 s3, v18, v14
	s_delay_alu instid0(VALU_DEP_1) | instskip(SKIP_1) | instid1(VALU_DEP_1)
	v_cndmask_b32_e64 v17, v17, v13, s3
	v_cndmask_b32_e64 v16, v20, v16, s3
	v_cmp_ge_i32_e64 s3, v16, v17
	s_delay_alu instid0(VALU_DEP_1) | instskip(NEXT) | instid1(SALU_CYCLE_1)
	s_or_b32 s5, s3, s5
	s_and_not1_b32 exec_lo, exec_lo, s5
	s_cbranch_execnz .LBB127_60
; %bb.61:
	s_or_b32 exec_lo, exec_lo, s5
.LBB127_62:
	s_delay_alu instid0(SALU_CYCLE_1) | instskip(SKIP_2) | instid1(VALU_DEP_2)
	s_or_b32 exec_lo, exec_lo, s4
	v_add_nc_u32_e32 v11, v5, v15
	v_add_nc_u32_e32 v15, v16, v19
	v_sub_nc_u32_e32 v16, v11, v16
	s_delay_alu instid0(VALU_DEP_2) | instskip(SKIP_1) | instid1(VALU_DEP_3)
	v_add_nc_u32_e32 v18, v0, v15
	v_cmp_le_i32_e64 s3, v5, v15
	v_add_nc_u32_e32 v17, v0, v16
	v_cmp_gt_i32_e64 s5, v10, v16
	ds_load_u8 v11, v18
	ds_load_u8 v12, v17
	s_waitcnt lgkmcnt(1)
	v_and_b32_e32 v13, 0xff, v11
	s_waitcnt lgkmcnt(0)
	v_and_b32_e32 v14, 0xff, v12
	s_delay_alu instid0(VALU_DEP_1) | instskip(NEXT) | instid1(VALU_DEP_1)
	v_cmp_lt_u16_e64 s4, v14, v13
                                        ; implicit-def: $vgpr13
                                        ; implicit-def: $vgpr14
	s_or_b32 s3, s3, s4
	s_delay_alu instid0(SALU_CYCLE_1) | instskip(NEXT) | instid1(SALU_CYCLE_1)
	s_and_b32 s3, s5, s3
	s_xor_b32 s4, s3, -1
	s_delay_alu instid0(SALU_CYCLE_1) | instskip(NEXT) | instid1(SALU_CYCLE_1)
	s_and_saveexec_b32 s5, s4
	s_xor_b32 s4, exec_lo, s5
	s_cbranch_execz .LBB127_64
; %bb.63:
	ds_load_u8 v14, v18 offset:1
	v_mov_b32_e32 v13, v12
                                        ; implicit-def: $vgpr17
.LBB127_64:
	s_and_not1_saveexec_b32 s4, s4
	s_cbranch_execz .LBB127_66
; %bb.65:
	ds_load_u8 v13, v17 offset:1
	s_waitcnt lgkmcnt(1)
	v_mov_b32_e32 v14, v11
.LBB127_66:
	s_or_b32 exec_lo, exec_lo, s4
	v_add_nc_u32_e32 v17, 1, v15
	v_add_nc_u32_e32 v18, 1, v16
	s_waitcnt lgkmcnt(0)
	v_and_b32_e32 v21, 0xff, v14
	s_delay_alu instid0(VALU_DEP_3) | instskip(SKIP_2) | instid1(VALU_DEP_3)
	v_cndmask_b32_e64 v19, v17, v15, s3
	v_and_b32_e32 v17, 0xff, v13
	v_cndmask_b32_e64 v20, v16, v18, s3
	v_cmp_ge_i32_e64 s4, v19, v5
	s_delay_alu instid0(VALU_DEP_3) | instskip(NEXT) | instid1(VALU_DEP_3)
	v_cmp_lt_u16_e64 s5, v17, v21
	v_cmp_lt_i32_e64 s6, v20, v10
                                        ; implicit-def: $vgpr17
	s_delay_alu instid0(VALU_DEP_2)
	s_or_b32 s4, s4, s5
	s_delay_alu instid0(VALU_DEP_1) | instid1(SALU_CYCLE_1)
	s_and_b32 s4, s6, s4
	s_delay_alu instid0(SALU_CYCLE_1) | instskip(NEXT) | instid1(SALU_CYCLE_1)
	s_xor_b32 s5, s4, -1
	s_and_saveexec_b32 s6, s5
	s_delay_alu instid0(SALU_CYCLE_1)
	s_xor_b32 s5, exec_lo, s6
	s_cbranch_execz .LBB127_68
; %bb.67:
	v_add_nc_u32_e32 v17, v0, v19
	ds_load_u8 v17, v17 offset:1
.LBB127_68:
	s_or_saveexec_b32 s5, s5
	v_mov_b32_e32 v18, v13
	s_xor_b32 exec_lo, exec_lo, s5
	s_cbranch_execz .LBB127_70
; %bb.69:
	s_waitcnt lgkmcnt(0)
	v_add_nc_u32_e32 v17, v0, v20
	ds_load_u8 v18, v17 offset:1
	v_mov_b32_e32 v17, v14
.LBB127_70:
	s_or_b32 exec_lo, exec_lo, s5
	v_add_nc_u32_e32 v21, 1, v19
	v_add_nc_u32_e32 v22, 1, v20
	s_waitcnt lgkmcnt(0)
	v_and_b32_e32 v25, 0xff, v17
	s_delay_alu instid0(VALU_DEP_3) | instskip(SKIP_2) | instid1(VALU_DEP_3)
	v_cndmask_b32_e64 v24, v21, v19, s4
	v_and_b32_e32 v21, 0xff, v18
	v_cndmask_b32_e64 v23, v20, v22, s4
	v_cmp_ge_i32_e64 s5, v24, v5
	s_delay_alu instid0(VALU_DEP_3) | instskip(NEXT) | instid1(VALU_DEP_3)
	v_cmp_lt_u16_e64 s6, v21, v25
	v_cmp_lt_i32_e64 s7, v23, v10
                                        ; implicit-def: $vgpr21
	s_delay_alu instid0(VALU_DEP_2)
	s_or_b32 s5, s5, s6
	s_delay_alu instid0(VALU_DEP_1) | instid1(SALU_CYCLE_1)
	s_and_b32 s5, s7, s5
	s_delay_alu instid0(SALU_CYCLE_1) | instskip(NEXT) | instid1(SALU_CYCLE_1)
	s_xor_b32 s6, s5, -1
	s_and_saveexec_b32 s7, s6
	s_delay_alu instid0(SALU_CYCLE_1)
	s_xor_b32 s6, exec_lo, s7
	s_cbranch_execz .LBB127_72
; %bb.71:
	v_add_nc_u32_e32 v21, v0, v24
	ds_load_u8 v21, v21 offset:1
.LBB127_72:
	s_or_saveexec_b32 s6, s6
	v_mov_b32_e32 v22, v18
	s_xor_b32 exec_lo, exec_lo, s6
	s_cbranch_execz .LBB127_74
; %bb.73:
	s_waitcnt lgkmcnt(0)
	v_add_nc_u32_e32 v21, v0, v23
	ds_load_u8 v22, v21 offset:1
	v_mov_b32_e32 v21, v17
.LBB127_74:
	s_or_b32 exec_lo, exec_lo, s6
	v_add_nc_u32_e32 v26, 1, v23
	v_add_nc_u32_e32 v25, 1, v24
	v_cndmask_b32_e64 v27, v24, v23, s5
	v_cndmask_b32_e64 v20, v19, v20, s4
	v_min_i32_e32 v19, 0, v4
	v_cndmask_b32_e64 v23, v23, v26, s5
	s_waitcnt lgkmcnt(0)
	v_and_b32_e32 v28, 0xff, v21
	v_and_b32_e32 v29, 0xff, v22
	v_cndmask_b32_e64 v24, v25, v24, s5
	v_cmp_lt_i32_e64 s8, v23, v10
	v_add_nc_u32_e32 v10, 64, v19
	s_delay_alu instid0(VALU_DEP_4) | instskip(NEXT) | instid1(VALU_DEP_4)
	v_cmp_lt_u16_e64 s6, v29, v28
	v_cmp_ge_i32_e64 s7, v24, v5
	v_cndmask_b32_e64 v5, v15, v16, s3
	; wave barrier
	s_delay_alu instid0(VALU_DEP_4)
	v_min_i32_e32 v10, v4, v10
	ds_store_b8 v1, v6
	ds_store_b8 v1, v7 offset:1
	ds_store_b8 v1, v8 offset:2
	;; [unrolled: 1-line block ×3, first 2 shown]
	s_or_b32 s6, s7, s6
	v_add_nc_u32_e32 v7, v0, v5
	s_and_b32 s6, s8, s6
	v_add_nc_u32_e32 v6, 64, v10
	v_cndmask_b32_e64 v15, v24, v23, s6
	v_and_b32_e32 v8, 0x7c, v3
	v_add_nc_u32_e32 v16, v0, v27
	s_delay_alu instid0(VALU_DEP_4)
	v_min_i32_e32 v5, v4, v6
	v_add_nc_u32_e32 v6, v0, v20
	v_add_nc_u32_e32 v15, v0, v15
	; wave barrier
	v_min_i32_e32 v9, v4, v8
	ds_load_u8 v4, v7
	ds_load_u8 v6, v6
	ds_load_u8 v7, v16
	ds_load_u8 v8, v15
	v_sub_nc_u32_e32 v20, v5, v10
	v_sub_nc_u32_e32 v16, v10, v19
	v_cndmask_b32_e64 v17, v17, v18, s5
	v_cndmask_b32_e64 v11, v11, v12, s3
	;; [unrolled: 1-line block ×3, first 2 shown]
	v_sub_nc_u32_e32 v15, v9, v20
	v_cmp_ge_i32_e64 s5, v9, v20
	v_min_i32_e32 v16, v9, v16
	v_cndmask_b32_e64 v21, v21, v22, s6
	s_mov_b32 s4, exec_lo
	s_delay_alu instid0(VALU_DEP_3)
	v_cndmask_b32_e64 v15, 0, v15, s5
	s_mov_b32 s5, 0
	; wave barrier
	ds_store_b8 v1, v11
	ds_store_b8 v1, v12 offset:1
	ds_store_b8 v1, v17 offset:2
	;; [unrolled: 1-line block ×3, first 2 shown]
	; wave barrier
	v_cmpx_lt_i32_e64 v15, v16
	s_cbranch_execz .LBB127_78
; %bb.75:
	v_add_nc_u32_e32 v11, v0, v19
	v_add3_u32 v12, v0, v10, v9
	.p2align	6
.LBB127_76:                             ; =>This Inner Loop Header: Depth=1
	v_sub_nc_u32_e32 v13, v16, v15
	s_delay_alu instid0(VALU_DEP_1) | instskip(NEXT) | instid1(VALU_DEP_1)
	v_lshrrev_b32_e32 v14, 31, v13
	v_add_nc_u32_e32 v13, v13, v14
	s_delay_alu instid0(VALU_DEP_1) | instskip(NEXT) | instid1(VALU_DEP_1)
	v_ashrrev_i32_e32 v13, 1, v13
	v_add_nc_u32_e32 v13, v13, v15
	s_delay_alu instid0(VALU_DEP_1)
	v_add_nc_u32_e32 v14, v11, v13
	v_xad_u32 v17, v13, -1, v12
	v_add_nc_u32_e32 v18, 1, v13
	ds_load_u8 v14, v14
	ds_load_u8 v17, v17
	s_waitcnt lgkmcnt(0)
	v_cmp_lt_u16_e64 s3, v17, v14
	s_delay_alu instid0(VALU_DEP_1) | instskip(SKIP_1) | instid1(VALU_DEP_1)
	v_cndmask_b32_e64 v16, v16, v13, s3
	v_cndmask_b32_e64 v15, v18, v15, s3
	v_cmp_ge_i32_e64 s3, v15, v16
	s_delay_alu instid0(VALU_DEP_1) | instskip(NEXT) | instid1(SALU_CYCLE_1)
	s_or_b32 s5, s3, s5
	s_and_not1_b32 exec_lo, exec_lo, s5
	s_cbranch_execnz .LBB127_76
; %bb.77:
	s_or_b32 exec_lo, exec_lo, s5
.LBB127_78:
	s_delay_alu instid0(SALU_CYCLE_1) | instskip(SKIP_2) | instid1(VALU_DEP_2)
	s_or_b32 exec_lo, exec_lo, s4
	v_add_nc_u32_e32 v9, v10, v9
	v_add_nc_u32_e32 v14, v15, v19
	v_sub_nc_u32_e32 v15, v9, v15
	s_delay_alu instid0(VALU_DEP_2) | instskip(SKIP_1) | instid1(VALU_DEP_3)
	v_add_nc_u32_e32 v17, v0, v14
	v_cmp_le_i32_e64 s3, v10, v14
	v_add_nc_u32_e32 v16, v0, v15
	v_cmp_gt_i32_e64 s5, v5, v15
	ds_load_u8 v9, v17
	ds_load_u8 v11, v16
	s_waitcnt lgkmcnt(1)
	v_and_b32_e32 v12, 0xff, v9
	s_waitcnt lgkmcnt(0)
	v_and_b32_e32 v13, 0xff, v11
	s_delay_alu instid0(VALU_DEP_1) | instskip(NEXT) | instid1(VALU_DEP_1)
	v_cmp_lt_u16_e64 s4, v13, v12
                                        ; implicit-def: $vgpr12
                                        ; implicit-def: $vgpr13
	s_or_b32 s3, s3, s4
	s_delay_alu instid0(SALU_CYCLE_1) | instskip(NEXT) | instid1(SALU_CYCLE_1)
	s_and_b32 s3, s5, s3
	s_xor_b32 s4, s3, -1
	s_delay_alu instid0(SALU_CYCLE_1) | instskip(NEXT) | instid1(SALU_CYCLE_1)
	s_and_saveexec_b32 s5, s4
	s_xor_b32 s4, exec_lo, s5
	s_cbranch_execz .LBB127_80
; %bb.79:
	ds_load_u8 v13, v17 offset:1
	v_mov_b32_e32 v12, v11
                                        ; implicit-def: $vgpr16
.LBB127_80:
	s_and_not1_saveexec_b32 s4, s4
	s_cbranch_execz .LBB127_82
; %bb.81:
	ds_load_u8 v12, v16 offset:1
	s_waitcnt lgkmcnt(1)
	v_mov_b32_e32 v13, v9
.LBB127_82:
	s_or_b32 exec_lo, exec_lo, s4
	v_add_nc_u32_e32 v16, 1, v14
	v_add_nc_u32_e32 v18, 1, v15
	s_waitcnt lgkmcnt(0)
	v_and_b32_e32 v19, 0xff, v13
	s_delay_alu instid0(VALU_DEP_3) | instskip(SKIP_2) | instid1(VALU_DEP_3)
	v_cndmask_b32_e64 v17, v16, v14, s3
	v_and_b32_e32 v16, 0xff, v12
	v_cndmask_b32_e64 v18, v15, v18, s3
	v_cmp_ge_i32_e64 s4, v17, v10
	s_delay_alu instid0(VALU_DEP_3) | instskip(NEXT) | instid1(VALU_DEP_3)
	v_cmp_lt_u16_e64 s5, v16, v19
	v_cmp_lt_i32_e64 s6, v18, v5
                                        ; implicit-def: $vgpr16
	s_delay_alu instid0(VALU_DEP_2)
	s_or_b32 s4, s4, s5
	s_delay_alu instid0(VALU_DEP_1) | instid1(SALU_CYCLE_1)
	s_and_b32 s4, s6, s4
	s_delay_alu instid0(SALU_CYCLE_1) | instskip(NEXT) | instid1(SALU_CYCLE_1)
	s_xor_b32 s5, s4, -1
	s_and_saveexec_b32 s6, s5
	s_delay_alu instid0(SALU_CYCLE_1)
	s_xor_b32 s5, exec_lo, s6
	s_cbranch_execz .LBB127_84
; %bb.83:
	v_add_nc_u32_e32 v16, v0, v17
	ds_load_u8 v16, v16 offset:1
.LBB127_84:
	s_or_saveexec_b32 s5, s5
	v_mov_b32_e32 v19, v12
	s_xor_b32 exec_lo, exec_lo, s5
	s_cbranch_execz .LBB127_86
; %bb.85:
	s_waitcnt lgkmcnt(0)
	v_add_nc_u32_e32 v16, v0, v18
	ds_load_u8 v19, v16 offset:1
	v_mov_b32_e32 v16, v13
.LBB127_86:
	s_or_b32 exec_lo, exec_lo, s5
	v_add_nc_u32_e32 v20, 1, v17
	v_add_nc_u32_e32 v21, 1, v18
	s_waitcnt lgkmcnt(0)
	v_and_b32_e32 v22, 0xff, v16
	v_and_b32_e32 v23, 0xff, v19
	v_cndmask_b32_e64 v25, v20, v17, s4
	v_cndmask_b32_e64 v20, v18, v21, s4
                                        ; implicit-def: $vgpr21
	s_delay_alu instid0(VALU_DEP_3) | instskip(NEXT) | instid1(VALU_DEP_3)
	v_cmp_lt_u16_e64 s6, v23, v22
                                        ; implicit-def: $vgpr22
	v_cmp_ge_i32_e64 s5, v25, v10
	s_delay_alu instid0(VALU_DEP_3) | instskip(NEXT) | instid1(VALU_DEP_2)
	v_cmp_lt_i32_e64 s7, v20, v5
	s_or_b32 s5, s5, s6
	s_delay_alu instid0(VALU_DEP_1) | instid1(SALU_CYCLE_1)
	s_and_b32 s5, s7, s5
	s_delay_alu instid0(SALU_CYCLE_1) | instskip(NEXT) | instid1(SALU_CYCLE_1)
	s_xor_b32 s6, s5, -1
	s_and_saveexec_b32 s7, s6
	s_delay_alu instid0(SALU_CYCLE_1)
	s_xor_b32 s6, exec_lo, s7
	s_cbranch_execz .LBB127_88
; %bb.87:
	v_add_nc_u32_e32 v21, v0, v25
	ds_load_u8 v22, v21 offset:1
	v_add_nc_u32_e32 v21, 1, v25
.LBB127_88:
	s_or_saveexec_b32 s6, s6
	v_dual_mov_b32 v23, v25 :: v_dual_mov_b32 v24, v19
	s_xor_b32 exec_lo, exec_lo, s6
	s_cbranch_execz .LBB127_90
; %bb.89:
	s_waitcnt lgkmcnt(0)
	v_dual_mov_b32 v23, v20 :: v_dual_add_nc_u32 v22, 1, v20
	s_delay_alu instid0(VALU_DEP_1)
	v_dual_mov_b32 v20, v22 :: v_dual_add_nc_u32 v21, v0, v20
	v_mov_b32_e32 v22, v16
	ds_load_u8 v24, v21 offset:1
	v_mov_b32_e32 v21, v25
.LBB127_90:
	s_or_b32 exec_lo, exec_lo, s6
	v_cndmask_b32_e64 v14, v14, v15, s3
	s_delay_alu instid0(VALU_DEP_2)
	v_cmp_ge_i32_e64 s6, v21, v10
	; wave barrier
	ds_store_b8 v1, v4
	ds_store_b8 v1, v6 offset:1
	ds_store_b8 v1, v7 offset:2
	;; [unrolled: 1-line block ×3, first 2 shown]
	v_add_nc_u32_e32 v10, v0, v14
	; wave barrier
	s_waitcnt lgkmcnt(4)
	v_and_b32_e32 v25, 0xff, v22
	v_and_b32_e32 v26, 0xff, v24
	ds_load_u8 v1, v10
	v_cmp_lt_i32_e64 s8, v20, v5
	v_cndmask_b32_e64 v4, v17, v18, s4
	v_cndmask_b32_e64 v7, v9, v11, s3
	v_cmp_lt_u16_e64 s7, v26, v25
	v_add_nc_u32_e32 v8, v0, v23
	v_cndmask_b32_e64 v9, v16, v19, s5
	v_add_nc_u32_e32 v4, v0, v4
	s_delay_alu instid0(VALU_DEP_4) | instskip(NEXT) | instid1(SALU_CYCLE_1)
	s_or_b32 s6, s6, s7
	s_and_b32 s6, s8, s6
	s_delay_alu instid0(VALU_DEP_2) | instskip(SKIP_2) | instid1(VALU_DEP_2)
	v_and_b32_e32 v9, 0xff, v9
	v_cndmask_b32_e64 v6, v21, v20, s6
	v_cndmask_b32_e64 v5, v22, v24, s6
	v_add_nc_u32_e32 v0, v0, v6
	v_cndmask_b32_e64 v6, v13, v12, s4
	s_waitcnt lgkmcnt(0)
	v_add_nc_u16 v1, v1, v7
	v_and_b32_e32 v7, 0xff, v7
	v_lshlrev_b16 v5, 8, v5
	ds_load_u8 v4, v4
	ds_load_u8 v8, v8
	;; [unrolled: 1-line block ×3, first 2 shown]
	v_lshlrev_b16 v6, 8, v6
	v_and_b32_e32 v1, 0xff, v1
	v_or_b32_e32 v5, v9, v5
	s_delay_alu instid0(VALU_DEP_3) | instskip(NEXT) | instid1(VALU_DEP_3)
	v_or_b32_e32 v7, v7, v6
	v_or_b32_e32 v1, v1, v6
	s_delay_alu instid0(VALU_DEP_3) | instskip(NEXT) | instid1(VALU_DEP_3)
	v_lshlrev_b32_e32 v5, 16, v5
	v_and_b32_e32 v6, 0xffff, v7
	s_delay_alu instid0(VALU_DEP_3) | instskip(NEXT) | instid1(VALU_DEP_2)
	v_and_b32_e32 v1, 0xffff, v1
	v_or_b32_e32 v6, v6, v5
	s_delay_alu instid0(VALU_DEP_2) | instskip(NEXT) | instid1(VALU_DEP_1)
	v_or_b32_e32 v1, v1, v5
	v_cndmask_b32_e32 v1, v6, v1, vcc_lo
	s_delay_alu instid0(VALU_DEP_1) | instskip(SKIP_1) | instid1(VALU_DEP_1)
	v_lshrrev_b32_e32 v5, 8, v1
	s_waitcnt lgkmcnt(2)
	v_add_nc_u16 v4, v5, v4
	v_and_b32_e32 v5, 0xff, v1
	s_delay_alu instid0(VALU_DEP_2) | instskip(NEXT) | instid1(VALU_DEP_1)
	v_lshlrev_b16 v4, 8, v4
	v_or_b32_e32 v4, v5, v4
	s_delay_alu instid0(VALU_DEP_1) | instskip(NEXT) | instid1(VALU_DEP_1)
	v_and_b32_e32 v4, 0xffff, v4
	v_and_or_b32 v4, 0xffff0000, v1, v4
	s_delay_alu instid0(VALU_DEP_1) | instskip(NEXT) | instid1(VALU_DEP_1)
	v_cndmask_b32_e64 v1, v1, v4, s0
	v_lshrrev_b32_e32 v4, 16, v1
	s_waitcnt lgkmcnt(1)
	s_delay_alu instid0(VALU_DEP_1) | instskip(SKIP_1) | instid1(VALU_DEP_2)
	v_add_nc_u16 v5, v4, v8
	v_and_b32_e32 v4, 0xffffff00, v4
	v_and_b32_e32 v5, 0xff, v5
	s_delay_alu instid0(VALU_DEP_1) | instskip(NEXT) | instid1(VALU_DEP_1)
	v_or_b32_e32 v4, v5, v4
	v_lshlrev_b32_e32 v4, 16, v4
	s_delay_alu instid0(VALU_DEP_1) | instskip(NEXT) | instid1(VALU_DEP_1)
	v_and_or_b32 v4, 0xffff, v1, v4
	v_cndmask_b32_e64 v1, v1, v4, s1
	s_delay_alu instid0(VALU_DEP_1) | instskip(SKIP_2) | instid1(VALU_DEP_2)
	v_lshrrev_b32_e32 v4, 24, v1
	v_lshrrev_b32_e32 v5, 16, v1
	s_waitcnt lgkmcnt(0)
	v_add_nc_u16 v0, v4, v0
	s_delay_alu instid0(VALU_DEP_2) | instskip(NEXT) | instid1(VALU_DEP_2)
	v_and_b32_e32 v4, 0xff, v5
	v_lshlrev_b16 v0, 8, v0
	s_delay_alu instid0(VALU_DEP_1) | instskip(SKIP_1) | instid1(VALU_DEP_1)
	v_or_b32_e32 v0, v4, v0
	v_add_co_u32 v4, s3, s10, v2
	v_add_co_ci_u32_e64 v5, null, s11, 0, s3
	s_delay_alu instid0(VALU_DEP_3) | instskip(NEXT) | instid1(VALU_DEP_1)
	v_lshlrev_b32_e32 v0, 16, v0
	v_and_or_b32 v0, 0xffff, v1, v0
	s_delay_alu instid0(VALU_DEP_1) | instskip(SKIP_1) | instid1(VALU_DEP_1)
	v_cndmask_b32_e64 v2, v1, v0, s2
	v_add_co_u32 v0, s3, v4, v3
	v_add_co_ci_u32_e64 v1, s3, 0, v5, s3
	s_and_saveexec_b32 s3, vcc_lo
	s_cbranch_execnz .LBB127_95
; %bb.91:
	s_or_b32 exec_lo, exec_lo, s3
	s_and_saveexec_b32 s3, s0
	s_cbranch_execnz .LBB127_96
.LBB127_92:
	s_or_b32 exec_lo, exec_lo, s3
	s_and_saveexec_b32 s0, s1
	s_cbranch_execnz .LBB127_97
.LBB127_93:
	s_or_b32 exec_lo, exec_lo, s0
	s_and_saveexec_b32 s0, s2
	s_cbranch_execnz .LBB127_98
.LBB127_94:
	s_nop 0
	s_sendmsg sendmsg(MSG_DEALLOC_VGPRS)
	s_endpgm
.LBB127_95:
	global_store_b8 v[0:1], v2, off
	s_or_b32 exec_lo, exec_lo, s3
	s_and_saveexec_b32 s3, s0
	s_cbranch_execz .LBB127_92
.LBB127_96:
	v_lshrrev_b32_e32 v3, 8, v2
	global_store_b8 v[0:1], v3, off offset:1
	s_or_b32 exec_lo, exec_lo, s3
	s_and_saveexec_b32 s0, s1
	s_cbranch_execz .LBB127_93
.LBB127_97:
	global_store_d16_hi_b8 v[0:1], v2, off offset:2
	s_or_b32 exec_lo, exec_lo, s0
	s_and_saveexec_b32 s0, s2
	s_cbranch_execz .LBB127_94
.LBB127_98:
	v_lshrrev_b32_e32 v2, 24, v2
	global_store_b8 v[0:1], v2, off offset:3
	s_nop 0
	s_sendmsg sendmsg(MSG_DEALLOC_VGPRS)
	s_endpgm
	.section	.rodata,"a",@progbits
	.p2align	6, 0x0
	.amdhsa_kernel _Z20sort_pairs_segmentedILj256ELj32ELj4EhN10test_utils4lessEEvPKT2_PS2_PKjT3_
		.amdhsa_group_segment_fixed_size 1032
		.amdhsa_private_segment_fixed_size 0
		.amdhsa_kernarg_size 28
		.amdhsa_user_sgpr_count 15
		.amdhsa_user_sgpr_dispatch_ptr 0
		.amdhsa_user_sgpr_queue_ptr 0
		.amdhsa_user_sgpr_kernarg_segment_ptr 1
		.amdhsa_user_sgpr_dispatch_id 0
		.amdhsa_user_sgpr_private_segment_size 0
		.amdhsa_wavefront_size32 1
		.amdhsa_uses_dynamic_stack 0
		.amdhsa_enable_private_segment 0
		.amdhsa_system_sgpr_workgroup_id_x 1
		.amdhsa_system_sgpr_workgroup_id_y 0
		.amdhsa_system_sgpr_workgroup_id_z 0
		.amdhsa_system_sgpr_workgroup_info 0
		.amdhsa_system_vgpr_workitem_id 0
		.amdhsa_next_free_vgpr 30
		.amdhsa_next_free_sgpr 16
		.amdhsa_reserve_vcc 1
		.amdhsa_float_round_mode_32 0
		.amdhsa_float_round_mode_16_64 0
		.amdhsa_float_denorm_mode_32 3
		.amdhsa_float_denorm_mode_16_64 3
		.amdhsa_dx10_clamp 1
		.amdhsa_ieee_mode 1
		.amdhsa_fp16_overflow 0
		.amdhsa_workgroup_processor_mode 1
		.amdhsa_memory_ordered 1
		.amdhsa_forward_progress 0
		.amdhsa_shared_vgpr_count 0
		.amdhsa_exception_fp_ieee_invalid_op 0
		.amdhsa_exception_fp_denorm_src 0
		.amdhsa_exception_fp_ieee_div_zero 0
		.amdhsa_exception_fp_ieee_overflow 0
		.amdhsa_exception_fp_ieee_underflow 0
		.amdhsa_exception_fp_ieee_inexact 0
		.amdhsa_exception_int_div_zero 0
	.end_amdhsa_kernel
	.section	.text._Z20sort_pairs_segmentedILj256ELj32ELj4EhN10test_utils4lessEEvPKT2_PS2_PKjT3_,"axG",@progbits,_Z20sort_pairs_segmentedILj256ELj32ELj4EhN10test_utils4lessEEvPKT2_PS2_PKjT3_,comdat
.Lfunc_end127:
	.size	_Z20sort_pairs_segmentedILj256ELj32ELj4EhN10test_utils4lessEEvPKT2_PS2_PKjT3_, .Lfunc_end127-_Z20sort_pairs_segmentedILj256ELj32ELj4EhN10test_utils4lessEEvPKT2_PS2_PKjT3_
                                        ; -- End function
	.section	.AMDGPU.csdata,"",@progbits
; Kernel info:
; codeLenInByte = 6864
; NumSgprs: 18
; NumVgprs: 30
; ScratchSize: 0
; MemoryBound: 0
; FloatMode: 240
; IeeeMode: 1
; LDSByteSize: 1032 bytes/workgroup (compile time only)
; SGPRBlocks: 2
; VGPRBlocks: 3
; NumSGPRsForWavesPerEU: 18
; NumVGPRsForWavesPerEU: 30
; Occupancy: 16
; WaveLimiterHint : 0
; COMPUTE_PGM_RSRC2:SCRATCH_EN: 0
; COMPUTE_PGM_RSRC2:USER_SGPR: 15
; COMPUTE_PGM_RSRC2:TRAP_HANDLER: 0
; COMPUTE_PGM_RSRC2:TGID_X_EN: 1
; COMPUTE_PGM_RSRC2:TGID_Y_EN: 0
; COMPUTE_PGM_RSRC2:TGID_Z_EN: 0
; COMPUTE_PGM_RSRC2:TIDIG_COMP_CNT: 0
	.section	.text._Z9sort_keysILj256ELj32ELj8EhN10test_utils4lessEEvPKT2_PS2_T3_,"axG",@progbits,_Z9sort_keysILj256ELj32ELj8EhN10test_utils4lessEEvPKT2_PS2_T3_,comdat
	.protected	_Z9sort_keysILj256ELj32ELj8EhN10test_utils4lessEEvPKT2_PS2_T3_ ; -- Begin function _Z9sort_keysILj256ELj32ELj8EhN10test_utils4lessEEvPKT2_PS2_T3_
	.globl	_Z9sort_keysILj256ELj32ELj8EhN10test_utils4lessEEvPKT2_PS2_T3_
	.p2align	8
	.type	_Z9sort_keysILj256ELj32ELj8EhN10test_utils4lessEEvPKT2_PS2_T3_,@function
_Z9sort_keysILj256ELj32ELj8EhN10test_utils4lessEEvPKT2_PS2_T3_: ; @_Z9sort_keysILj256ELj32ELj8EhN10test_utils4lessEEvPKT2_PS2_T3_
; %bb.0:
	s_load_b128 s[8:11], s[0:1], 0x0
	s_lshl_b32 s12, s15, 11
	v_lshlrev_b32_e32 v1, 3, v0
	v_lshrrev_b32_e32 v0, 5, v0
	s_waitcnt lgkmcnt(0)
	s_add_u32 s0, s8, s12
	s_addc_u32 s1, s9, 0
	global_load_b64 v[2:3], v1, s[0:1]
	s_mov_b32 s1, exec_lo
	; wave barrier
	s_waitcnt vmcnt(0)
	v_lshrrev_b32_e32 v4, 8, v2
	v_and_b32_e32 v5, 0xff, v2
	v_perm_b32 v6, v2, v2, 0x3020405
	v_and_b32_e32 v13, 0xff, v3
	s_delay_alu instid0(VALU_DEP_4) | instskip(NEXT) | instid1(VALU_DEP_1)
	v_and_b32_e32 v4, 0xff, v4
	v_cmp_lt_u16_e32 vcc_lo, v4, v5
	s_delay_alu instid0(VALU_DEP_4) | instskip(NEXT) | instid1(VALU_DEP_1)
	v_cndmask_b32_e32 v2, v2, v6, vcc_lo
	v_lshrrev_b32_e32 v6, 16, v2
	v_lshrrev_b32_e32 v8, 24, v2
	s_delay_alu instid0(VALU_DEP_2) | instskip(SKIP_1) | instid1(VALU_DEP_2)
	v_perm_b32 v7, 0, v6, 0xc0c0001
	v_and_b32_e32 v6, 0xff, v6
	v_lshlrev_b32_e32 v7, 16, v7
	s_delay_alu instid0(VALU_DEP_2) | instskip(NEXT) | instid1(VALU_DEP_2)
	v_cmp_lt_u16_e32 vcc_lo, v8, v6
	v_and_or_b32 v7, 0xffff, v2, v7
	s_delay_alu instid0(VALU_DEP_1) | instskip(SKIP_2) | instid1(VALU_DEP_3)
	v_cndmask_b32_e32 v2, v2, v7, vcc_lo
	v_min_u16 v7, v8, v6
	v_max_u16 v10, v4, v5
	v_lshrrev_b32_e32 v9, 16, v2
	s_delay_alu instid0(VALU_DEP_3) | instskip(SKIP_1) | instid1(VALU_DEP_4)
	v_lshlrev_b16 v11, 8, v7
	v_and_b32_e32 v12, 0xff, v2
	v_cmp_lt_u16_e32 vcc_lo, v7, v10
	s_delay_alu instid0(VALU_DEP_4) | instskip(NEXT) | instid1(VALU_DEP_3)
	v_and_b32_e32 v9, 0xffffff00, v9
	v_or_b32_e32 v11, v12, v11
	v_lshrrev_b32_e32 v12, 8, v3
	s_delay_alu instid0(VALU_DEP_3) | instskip(NEXT) | instid1(VALU_DEP_3)
	v_or_b32_e32 v9, v10, v9
	v_and_b32_e32 v11, 0xffff, v11
	s_delay_alu instid0(VALU_DEP_2) | instskip(NEXT) | instid1(VALU_DEP_1)
	v_lshlrev_b32_e32 v9, 16, v9
	v_or_b32_e32 v9, v11, v9
	v_and_b32_e32 v11, 0xff, v12
	v_perm_b32 v12, v3, v3, 0x7060405
	s_delay_alu instid0(VALU_DEP_3) | instskip(NEXT) | instid1(VALU_DEP_3)
	v_cndmask_b32_e32 v2, v2, v9, vcc_lo
	v_cmp_lt_u16_e32 vcc_lo, v11, v13
	v_min_u16 v9, v11, v13
	s_delay_alu instid0(VALU_DEP_4) | instskip(SKIP_2) | instid1(VALU_DEP_4)
	v_cndmask_b32_e32 v3, v3, v12, vcc_lo
	v_max_u16 v6, v8, v6
	v_lshrrev_b32_e32 v12, 16, v2
	v_lshlrev_b16 v16, 8, v9
	s_delay_alu instid0(VALU_DEP_4) | instskip(SKIP_2) | instid1(VALU_DEP_3)
	v_lshrrev_b32_e32 v14, 16, v3
	v_lshrrev_b32_e32 v15, 24, v3
	v_perm_b32 v17, v3, v3, 0x6070504
	v_and_b32_e32 v14, 0xff, v14
	s_delay_alu instid0(VALU_DEP_1) | instskip(NEXT) | instid1(VALU_DEP_3)
	v_cmp_lt_u16_e32 vcc_lo, v15, v14
	v_cndmask_b32_e32 v3, v3, v17, vcc_lo
	v_cmp_lt_u16_e32 vcc_lo, v9, v6
	v_min_u16 v4, v4, v5
	v_min_u16 v17, v9, v6
	s_delay_alu instid0(VALU_DEP_4) | instskip(NEXT) | instid1(VALU_DEP_3)
	v_and_b32_e32 v8, 0xffffff00, v3
	v_cmp_lt_u16_e64 s0, v7, v4
	s_delay_alu instid0(VALU_DEP_2) | instskip(SKIP_1) | instid1(VALU_DEP_2)
	v_or_b32_e32 v8, v6, v8
	v_max_u16 v6, v9, v6
	v_and_b32_e32 v8, 0xffff, v8
	s_delay_alu instid0(VALU_DEP_1) | instskip(NEXT) | instid1(VALU_DEP_1)
	v_and_or_b32 v8, 0xffff0000, v3, v8
	v_cndmask_b32_e32 v3, v3, v8, vcc_lo
	v_and_b32_e32 v12, 0xff, v12
	s_delay_alu instid0(VALU_DEP_1) | instskip(SKIP_3) | instid1(VALU_DEP_4)
	v_or_b32_e32 v5, v12, v16
	v_lshlrev_b16 v12, 8, v4
	v_min_u16 v16, v7, v10
	v_max_u16 v10, v7, v10
	v_lshlrev_b32_e32 v5, 16, v5
	s_delay_alu instid0(VALU_DEP_3) | instskip(NEXT) | instid1(VALU_DEP_3)
	v_or_b32_e32 v12, v16, v12
	v_lshlrev_b16 v18, 8, v10
	s_delay_alu instid0(VALU_DEP_3) | instskip(NEXT) | instid1(VALU_DEP_3)
	v_and_or_b32 v5, 0xffff, v2, v5
	v_and_b32_e32 v12, 0xffff, v12
	s_delay_alu instid0(VALU_DEP_2)
	v_cndmask_b32_e32 v2, v2, v5, vcc_lo
	v_max_u16 v5, v11, v13
	v_or_b32_e32 v11, v17, v18
	v_cmp_lt_u16_e32 vcc_lo, v17, v10
	v_max_u16 v13, v15, v14
	v_and_or_b32 v12, 0xffff0000, v2, v12
	v_min_u16 v14, v15, v14
	v_lshlrev_b32_e32 v11, 16, v11
	v_min_u16 v15, v17, v10
	v_lshlrev_b16 v18, 8, v6
	v_cndmask_b32_e64 v2, v2, v12, s0
	v_lshrrev_b32_e32 v12, 16, v3
	v_lshlrev_b16 v7, 8, v14
	v_max_u16 v8, v14, v5
	v_lshlrev_b16 v19, 8, v15
	v_and_or_b32 v9, 0xffff, v2, v11
	v_and_b32_e32 v12, 0xffffff00, v12
	v_min_u16 v11, v14, v5
	v_max_u16 v10, v17, v10
	s_delay_alu instid0(VALU_DEP_4) | instskip(NEXT) | instid1(VALU_DEP_3)
	v_dual_cndmask_b32 v2, v2, v9 :: v_dual_and_b32 v9, 0xff, v3
	v_or_b32_e32 v18, v11, v18
	v_cmp_lt_u16_e32 vcc_lo, v14, v5
	s_delay_alu instid0(VALU_DEP_3) | instskip(NEXT) | instid1(VALU_DEP_4)
	v_lshrrev_b32_e32 v20, 16, v2
	v_or_b32_e32 v7, v9, v7
	v_or_b32_e32 v9, v5, v12
	v_cndmask_b32_e64 v12, v16, v4, s0
	v_and_b32_e32 v21, 0xff, v2
	v_and_b32_e32 v20, 0xffffff00, v20
	;; [unrolled: 1-line block ×3, first 2 shown]
	v_lshlrev_b32_e32 v9, 16, v9
	v_cndmask_b32_e64 v4, v4, v16, s0
	v_or_b32_e32 v19, v21, v19
	v_or_b32_e32 v20, v12, v20
	v_lshlrev_b16 v21, 8, v8
	v_or_b32_e32 v7, v7, v9
	v_and_b32_e32 v9, 0xffff, v18
	v_and_b32_e32 v18, 0xffff, v19
	v_lshlrev_b32_e32 v19, 16, v20
	s_delay_alu instid0(VALU_DEP_4) | instskip(SKIP_2) | instid1(VALU_DEP_4)
	v_cndmask_b32_e32 v3, v3, v7, vcc_lo
	v_cmp_lt_u16_e32 vcc_lo, v15, v12
	v_or_b32_e32 v7, v13, v21
	v_or_b32_e32 v14, v18, v19
	s_delay_alu instid0(VALU_DEP_4) | instskip(NEXT) | instid1(VALU_DEP_2)
	v_and_or_b32 v9, 0xffff0000, v3, v9
	v_dual_cndmask_b32 v2, v2, v14 :: v_dual_lshlrev_b32 v7, 16, v7
	v_cmp_lt_u16_e32 vcc_lo, v11, v6
	s_delay_alu instid0(VALU_DEP_2) | instskip(NEXT) | instid1(VALU_DEP_4)
	v_lshrrev_b32_e32 v14, 16, v2
	v_cndmask_b32_e32 v3, v3, v9, vcc_lo
	v_min_u16 v9, v11, v6
	v_cmp_gt_u16_e32 vcc_lo, v5, v13
	v_max_u16 v5, v11, v6
	v_and_b32_e32 v14, 0xff, v14
	v_and_or_b32 v7, 0xffff, v3, v7
	v_lshlrev_b16 v17, 8, v9
	v_cmp_lt_u16_e64 s0, v9, v10
	v_max_u16 v16, v9, v10
	s_delay_alu instid0(VALU_DEP_4) | instskip(NEXT) | instid1(VALU_DEP_4)
	v_cndmask_b32_e32 v3, v3, v7, vcc_lo
	v_or_b32_e32 v6, v14, v17
	v_min_u16 v7, v15, v12
	v_lshlrev_b16 v14, 8, v4
	v_max_u16 v12, v15, v12
	v_and_b32_e32 v11, 0xffffff00, v3
	v_lshlrev_b32_e32 v6, 16, v6
	v_min_u16 v15, v9, v10
	v_or_b32_e32 v14, v7, v14
	v_lshlrev_b16 v17, 8, v12
	v_or_b32_e32 v11, v10, v11
	v_and_or_b32 v6, 0xffff, v2, v6
	v_lshlrev_b16 v10, 8, v16
	v_and_b32_e32 v14, 0xffff, v14
	s_delay_alu instid0(VALU_DEP_4) | instskip(NEXT) | instid1(VALU_DEP_4)
	v_and_b32_e32 v11, 0xffff, v11
	v_cndmask_b32_e64 v2, v2, v6, s0
	v_or_b32_e32 v6, v15, v17
	s_delay_alu instid0(VALU_DEP_3) | instskip(NEXT) | instid1(VALU_DEP_3)
	v_and_or_b32 v9, 0xffff0000, v3, v11
	v_and_or_b32 v14, 0xffff0000, v2, v14
	s_delay_alu instid0(VALU_DEP_3) | instskip(SKIP_1) | instid1(VALU_DEP_4)
	v_lshlrev_b32_e32 v6, 16, v6
	v_min_u16 v11, v15, v12
	v_cndmask_b32_e64 v3, v3, v9, s0
	v_cmp_lt_u16_e64 s0, v7, v4
	v_dual_cndmask_b32 v9, v8, v13 :: v_dual_cndmask_b32 v8, v13, v8
	v_cmp_lt_u16_e32 vcc_lo, v15, v12
	s_delay_alu instid0(VALU_DEP_4) | instskip(NEXT) | instid1(VALU_DEP_4)
	v_lshrrev_b32_e32 v17, 16, v3
	v_cndmask_b32_e64 v2, v2, v14, s0
	s_delay_alu instid0(VALU_DEP_4)
	v_lshlrev_b16 v19, 8, v9
	v_and_b32_e32 v20, 0xff, v3
	v_max_u16 v14, v7, v4
	v_and_b32_e32 v17, 0xffffff00, v17
	v_and_or_b32 v6, 0xffff, v2, v6
	v_lshlrev_b16 v18, 8, v11
	v_min_u16 v4, v7, v4
	s_delay_alu instid0(VALU_DEP_4) | instskip(NEXT) | instid1(VALU_DEP_4)
	v_or_b32_e32 v13, v5, v17
	v_cndmask_b32_e32 v2, v2, v6, vcc_lo
	v_or_b32_e32 v6, v20, v19
	v_min_u16 v17, v9, v5
	v_cmp_lt_u16_e32 vcc_lo, v9, v5
	v_lshlrev_b32_e32 v13, 16, v13
	v_lshrrev_b32_e32 v20, 16, v2
	v_and_b32_e32 v6, 0xffff, v6
	v_or_b32_e32 v10, v17, v10
	v_and_b32_e32 v21, 0xff, v2
	v_max_u16 v19, v9, v5
	v_and_b32_e32 v20, 0xffffff00, v20
	v_or_b32_e32 v6, v6, v13
	v_and_b32_e32 v10, 0xffff, v10
	v_or_b32_e32 v13, v21, v18
	v_lshlrev_b16 v22, 8, v19
	v_or_b32_e32 v18, v14, v20
	v_cndmask_b32_e32 v3, v3, v6, vcc_lo
	v_cmp_lt_u16_e32 vcc_lo, v17, v16
	v_and_b32_e32 v6, 0xffff, v13
	v_or_b32_e32 v5, v8, v22
	v_lshlrev_b32_e32 v9, 16, v18
	v_and_or_b32 v10, 0xffff0000, v3, v10
	v_min_u16 v7, v17, v16
	s_delay_alu instid0(VALU_DEP_4) | instskip(NEXT) | instid1(VALU_DEP_4)
	v_lshlrev_b32_e32 v5, 16, v5
	v_or_b32_e32 v6, v6, v9
	s_delay_alu instid0(VALU_DEP_4) | instskip(SKIP_2) | instid1(VALU_DEP_3)
	v_cndmask_b32_e32 v3, v3, v10, vcc_lo
	v_cmp_lt_u16_e32 vcc_lo, v11, v14
	v_lshlrev_b16 v10, 8, v7
	v_and_or_b32 v5, 0xffff, v3, v5
	v_cndmask_b32_e32 v2, v2, v6, vcc_lo
	v_cmp_lt_u16_e32 vcc_lo, v8, v19
	v_max_u16 v6, v15, v12
	v_lshlrev_b16 v12, 8, v4
	v_max_u16 v15, v17, v16
	v_lshrrev_b32_e32 v9, 16, v2
	v_cndmask_b32_e32 v3, v3, v5, vcc_lo
	v_min_u16 v5, v11, v14
	v_max_u16 v14, v11, v14
	v_cmp_lt_u16_e32 vcc_lo, v7, v6
	v_and_b32_e32 v9, 0xff, v9
	v_and_b32_e32 v13, 0xffffff00, v3
	v_min_u16 v17, v7, v6
	v_max_u16 v16, v8, v19
	v_min_u16 v8, v8, v19
	v_or_b32_e32 v9, v9, v10
	v_or_b32_e32 v10, v5, v12
	;; [unrolled: 1-line block ×3, first 2 shown]
	v_lshlrev_b16 v13, 8, v14
	v_max_u16 v6, v7, v6
	v_lshlrev_b32_e32 v9, 16, v9
	v_and_b32_e32 v10, 0xffff, v10
	v_and_b32_e32 v12, 0xffff, v12
	v_or_b32_e32 v7, v17, v13
	v_cmp_lt_u16_e64 s0, v17, v14
	v_and_or_b32 v9, 0xffff, v2, v9
	v_lshlrev_b16 v18, 8, v6
	v_and_or_b32 v12, 0xffff0000, v3, v12
	v_lshlrev_b32_e32 v7, 16, v7
	v_min_u16 v19, v17, v14
	v_cndmask_b32_e32 v2, v2, v9, vcc_lo
	v_lshlrev_b16 v9, 8, v8
	v_cndmask_b32_e32 v3, v3, v12, vcc_lo
	v_cmp_lt_u16_e32 vcc_lo, v11, v4
	v_max_u16 v12, v8, v15
	v_and_or_b32 v10, 0xffff0000, v2, v10
	v_lshlrev_b16 v20, 8, v19
	v_lshrrev_b32_e32 v13, 16, v3
	v_dual_cndmask_b32 v4, v5, v4 :: v_dual_and_b32 v11, 0xff, v3
	s_delay_alu instid0(VALU_DEP_4) | instskip(SKIP_1) | instid1(VALU_DEP_4)
	v_cndmask_b32_e32 v2, v2, v10, vcc_lo
	v_min_u16 v10, v8, v15
	v_and_b32_e32 v13, 0xffffff00, v13
	s_delay_alu instid0(VALU_DEP_4) | instskip(SKIP_2) | instid1(VALU_DEP_4)
	v_or_b32_e32 v9, v11, v9
	v_cmp_lt_u16_e32 vcc_lo, v8, v15
	v_and_or_b32 v7, 0xffff, v2, v7
	v_or_b32_e32 v11, v15, v13
	s_delay_alu instid0(VALU_DEP_4) | instskip(SKIP_1) | instid1(VALU_DEP_4)
	v_and_b32_e32 v9, 0xffff, v9
	v_or_b32_e32 v13, v10, v18
	v_cndmask_b32_e64 v2, v2, v7, s0
	v_lshlrev_b16 v7, 8, v12
	v_lshlrev_b32_e32 v11, 16, v11
	s_delay_alu instid0(VALU_DEP_4) | instskip(NEXT) | instid1(VALU_DEP_4)
	v_and_b32_e32 v13, 0xffff, v13
	v_lshrrev_b32_e32 v18, 16, v2
	s_delay_alu instid0(VALU_DEP_4) | instskip(NEXT) | instid1(VALU_DEP_4)
	v_or_b32_e32 v7, v16, v7
	v_or_b32_e32 v5, v9, v11
	v_and_b32_e32 v9, 0xff, v2
	s_delay_alu instid0(VALU_DEP_4) | instskip(NEXT) | instid1(VALU_DEP_4)
	v_and_b32_e32 v11, 0xffffff00, v18
	v_lshlrev_b32_e32 v7, 16, v7
	s_delay_alu instid0(VALU_DEP_4) | instskip(NEXT) | instid1(VALU_DEP_4)
	v_cndmask_b32_e32 v3, v3, v5, vcc_lo
	v_or_b32_e32 v5, v9, v20
	v_cmp_lt_u16_e32 vcc_lo, v10, v6
	v_or_b32_e32 v8, v4, v11
	s_delay_alu instid0(VALU_DEP_4) | instskip(NEXT) | instid1(VALU_DEP_4)
	v_and_or_b32 v9, 0xffff0000, v3, v13
	v_and_b32_e32 v5, 0xffff, v5
	s_delay_alu instid0(VALU_DEP_2) | instskip(SKIP_2) | instid1(VALU_DEP_3)
	v_dual_cndmask_b32 v3, v3, v9 :: v_dual_lshlrev_b32 v8, 16, v8
	v_cmp_lt_u16_e32 vcc_lo, v19, v4
	v_min_u16 v4, v10, v6
	v_or_b32_e32 v5, v5, v8
	v_max_u16 v10, v10, v6
	v_and_or_b32 v7, 0xffff, v3, v7
	s_delay_alu instid0(VALU_DEP_4) | instskip(NEXT) | instid1(VALU_DEP_4)
	v_lshlrev_b16 v8, 8, v4
	v_cndmask_b32_e32 v2, v2, v5, vcc_lo
	v_cmp_gt_u16_e32 vcc_lo, v15, v16
	s_delay_alu instid0(VALU_DEP_2) | instskip(SKIP_2) | instid1(VALU_DEP_3)
	v_lshrrev_b32_e32 v5, 16, v2
	v_cndmask_b32_e32 v3, v3, v7, vcc_lo
	v_max_u16 v7, v17, v14
	v_dual_cndmask_b32 v12, v12, v16 :: v_dual_and_b32 v5, 0xff, v5
	s_delay_alu instid0(VALU_DEP_3) | instskip(NEXT) | instid1(VALU_DEP_3)
	v_and_b32_e32 v9, 0xffffff00, v3
	v_cmp_lt_u16_e64 s0, v4, v7
	v_mbcnt_lo_u32_b32 v4, -1, 0
	s_delay_alu instid0(VALU_DEP_4) | instskip(SKIP_2) | instid1(VALU_DEP_2)
	v_lshlrev_b16 v6, 8, v12
	v_or_b32_e32 v5, v5, v8
	v_or_b32_e32 v9, v7, v9
	v_lshlrev_b32_e32 v5, 16, v5
	s_delay_alu instid0(VALU_DEP_2) | instskip(NEXT) | instid1(VALU_DEP_2)
	v_and_b32_e32 v8, 0xffff, v9
	v_and_or_b32 v5, 0xffff, v2, v5
	s_delay_alu instid0(VALU_DEP_2) | instskip(NEXT) | instid1(VALU_DEP_2)
	v_and_or_b32 v8, 0xffff0000, v3, v8
	v_cndmask_b32_e64 v9, v2, v5, s0
	s_delay_alu instid0(VALU_DEP_2) | instskip(SKIP_2) | instid1(VALU_DEP_2)
	v_cndmask_b32_e64 v11, v3, v8, s0
	v_lshlrev_b32_e32 v2, 3, v4
	s_mov_b32 s0, 0
	v_lshrrev_b32_e32 v3, 16, v11
	s_delay_alu instid0(VALU_DEP_2)
	v_and_b32_e32 v5, 0xf0, v2
	v_and_b32_e32 v7, 0xff, v11
	v_mad_u32_u24 v16, 0x101, v0, v2
	v_mul_u32_u24_e32 v0, 0x101, v0
	v_and_b32_e32 v8, 0xffffff00, v3
	v_or_b32_e32 v4, 8, v5
	v_add_nc_u32_e32 v3, 16, v5
	v_or_b32_e32 v7, v7, v6
	v_and_b32_e32 v6, 8, v2
	v_or_b32_e32 v8, v10, v8
	v_sub_nc_u32_e32 v14, v4, v5
	v_sub_nc_u32_e32 v13, v3, v4
	v_and_b32_e32 v7, 0xffff, v7
	s_delay_alu instid0(VALU_DEP_4) | instskip(NEXT) | instid1(VALU_DEP_3)
	v_lshlrev_b32_e32 v8, 16, v8
	v_sub_nc_u32_e32 v15, v6, v13
	v_cmp_ge_i32_e32 vcc_lo, v6, v13
	s_delay_alu instid0(VALU_DEP_3) | instskip(SKIP_1) | instid1(VALU_DEP_4)
	v_or_b32_e32 v17, v7, v8
	v_min_i32_e32 v8, v6, v14
	v_cndmask_b32_e32 v7, 0, v15, vcc_lo
	v_cmp_lt_u16_e32 vcc_lo, v12, v10
	s_delay_alu instid0(VALU_DEP_4)
	v_cndmask_b32_e32 v10, v11, v17, vcc_lo
	ds_store_b64 v16, v[9:10]
	; wave barrier
	v_cmpx_lt_i32_e64 v7, v8
	s_cbranch_execz .LBB128_4
; %bb.1:
	v_add_nc_u32_e32 v9, v0, v5
	v_add3_u32 v10, v0, v4, v6
	.p2align	6
.LBB128_2:                              ; =>This Inner Loop Header: Depth=1
	v_sub_nc_u32_e32 v11, v8, v7
	s_delay_alu instid0(VALU_DEP_1) | instskip(NEXT) | instid1(VALU_DEP_1)
	v_lshrrev_b32_e32 v12, 31, v11
	v_add_nc_u32_e32 v11, v11, v12
	s_delay_alu instid0(VALU_DEP_1) | instskip(NEXT) | instid1(VALU_DEP_1)
	v_ashrrev_i32_e32 v11, 1, v11
	v_add_nc_u32_e32 v11, v11, v7
	s_delay_alu instid0(VALU_DEP_1)
	v_add_nc_u32_e32 v12, v9, v11
	v_xad_u32 v13, v11, -1, v10
	v_add_nc_u32_e32 v14, 1, v11
	ds_load_u8 v12, v12
	ds_load_u8 v13, v13
	s_waitcnt lgkmcnt(0)
	v_cmp_lt_u16_e32 vcc_lo, v13, v12
	v_cndmask_b32_e32 v8, v8, v11, vcc_lo
	v_cndmask_b32_e32 v7, v14, v7, vcc_lo
	s_delay_alu instid0(VALU_DEP_1) | instskip(SKIP_1) | instid1(SALU_CYCLE_1)
	v_cmp_ge_i32_e32 vcc_lo, v7, v8
	s_or_b32 s0, vcc_lo, s0
	s_and_not1_b32 exec_lo, exec_lo, s0
	s_cbranch_execnz .LBB128_2
; %bb.3:
	s_or_b32 exec_lo, exec_lo, s0
.LBB128_4:
	s_delay_alu instid0(SALU_CYCLE_1) | instskip(SKIP_2) | instid1(VALU_DEP_2)
	s_or_b32 exec_lo, exec_lo, s1
	v_add_nc_u32_e32 v6, v4, v6
	v_add_nc_u32_e32 v10, v7, v5
	v_sub_nc_u32_e32 v9, v6, v7
	s_delay_alu instid0(VALU_DEP_2) | instskip(SKIP_1) | instid1(VALU_DEP_3)
	v_add_nc_u32_e32 v12, v0, v10
	v_cmp_le_i32_e32 vcc_lo, v4, v10
	v_add_nc_u32_e32 v11, v0, v9
	v_cmp_gt_i32_e64 s1, v3, v9
	ds_load_u8 v5, v12
	ds_load_u8 v6, v11
	s_waitcnt lgkmcnt(1)
	v_and_b32_e32 v7, 0xff, v5
	s_waitcnt lgkmcnt(0)
	v_and_b32_e32 v8, 0xff, v6
	s_delay_alu instid0(VALU_DEP_1) | instskip(NEXT) | instid1(VALU_DEP_1)
	v_cmp_lt_u16_e64 s0, v8, v7
                                        ; implicit-def: $vgpr7
                                        ; implicit-def: $vgpr8
	s_or_b32 s0, vcc_lo, s0
	s_delay_alu instid0(SALU_CYCLE_1) | instskip(NEXT) | instid1(SALU_CYCLE_1)
	s_and_b32 vcc_lo, s1, s0
	s_xor_b32 s0, vcc_lo, -1
	s_delay_alu instid0(SALU_CYCLE_1) | instskip(NEXT) | instid1(SALU_CYCLE_1)
	s_and_saveexec_b32 s1, s0
	s_xor_b32 s0, exec_lo, s1
	s_cbranch_execz .LBB128_6
; %bb.5:
	ds_load_u8 v8, v12 offset:1
	v_mov_b32_e32 v7, v6
                                        ; implicit-def: $vgpr11
.LBB128_6:
	s_and_not1_saveexec_b32 s0, s0
	s_cbranch_execz .LBB128_8
; %bb.7:
	ds_load_u8 v7, v11 offset:1
	s_waitcnt lgkmcnt(1)
	v_mov_b32_e32 v8, v5
.LBB128_8:
	s_or_b32 exec_lo, exec_lo, s0
	v_add_nc_u32_e32 v11, 1, v10
	v_add_nc_u32_e32 v13, 1, v9
	s_waitcnt lgkmcnt(0)
	v_and_b32_e32 v14, 0xff, v8
	s_delay_alu instid0(VALU_DEP_2) | instskip(SKIP_1) | instid1(VALU_DEP_2)
	v_dual_cndmask_b32 v12, v11, v10 :: v_dual_cndmask_b32 v11, v9, v13
	v_and_b32_e32 v10, 0xff, v7
                                        ; implicit-def: $vgpr9
	v_cmp_ge_i32_e64 s0, v12, v4
	s_delay_alu instid0(VALU_DEP_3) | instskip(NEXT) | instid1(VALU_DEP_3)
	v_cmp_lt_i32_e64 s2, v11, v3
	v_cmp_lt_u16_e64 s1, v10, v14
	s_delay_alu instid0(VALU_DEP_1)
	s_or_b32 s0, s0, s1
	s_delay_alu instid0(VALU_DEP_2) | instid1(SALU_CYCLE_1)
	s_and_b32 s0, s2, s0
	s_delay_alu instid0(SALU_CYCLE_1) | instskip(NEXT) | instid1(SALU_CYCLE_1)
	s_xor_b32 s1, s0, -1
	s_and_saveexec_b32 s2, s1
	s_delay_alu instid0(SALU_CYCLE_1)
	s_xor_b32 s1, exec_lo, s2
	s_cbranch_execz .LBB128_10
; %bb.9:
	v_add_nc_u32_e32 v9, v0, v12
	ds_load_u8 v9, v9 offset:1
.LBB128_10:
	s_or_saveexec_b32 s1, s1
	v_mov_b32_e32 v10, v7
	s_xor_b32 exec_lo, exec_lo, s1
	s_cbranch_execz .LBB128_12
; %bb.11:
	s_waitcnt lgkmcnt(0)
	v_add_nc_u32_e32 v9, v0, v11
	ds_load_u8 v10, v9 offset:1
	v_mov_b32_e32 v9, v8
.LBB128_12:
	s_or_b32 exec_lo, exec_lo, s1
	v_add_nc_u32_e32 v13, 1, v12
	v_add_nc_u32_e32 v15, 1, v11
	s_waitcnt lgkmcnt(0)
	v_and_b32_e32 v16, 0xff, v9
	s_delay_alu instid0(VALU_DEP_3) | instskip(SKIP_2) | instid1(VALU_DEP_3)
	v_cndmask_b32_e64 v14, v13, v12, s0
	v_and_b32_e32 v12, 0xff, v10
	v_cndmask_b32_e64 v13, v11, v15, s0
                                        ; implicit-def: $vgpr11
	v_cmp_ge_i32_e64 s1, v14, v4
	s_delay_alu instid0(VALU_DEP_3) | instskip(NEXT) | instid1(VALU_DEP_3)
	v_cmp_lt_u16_e64 s2, v12, v16
	v_cmp_lt_i32_e64 s3, v13, v3
	s_delay_alu instid0(VALU_DEP_2)
	s_or_b32 s1, s1, s2
	s_delay_alu instid0(VALU_DEP_1) | instid1(SALU_CYCLE_1)
	s_and_b32 s1, s3, s1
	s_delay_alu instid0(SALU_CYCLE_1) | instskip(NEXT) | instid1(SALU_CYCLE_1)
	s_xor_b32 s2, s1, -1
	s_and_saveexec_b32 s3, s2
	s_delay_alu instid0(SALU_CYCLE_1)
	s_xor_b32 s2, exec_lo, s3
	s_cbranch_execz .LBB128_14
; %bb.13:
	v_add_nc_u32_e32 v11, v0, v14
	ds_load_u8 v11, v11 offset:1
.LBB128_14:
	s_or_saveexec_b32 s2, s2
	v_mov_b32_e32 v12, v10
	s_xor_b32 exec_lo, exec_lo, s2
	s_cbranch_execz .LBB128_16
; %bb.15:
	s_waitcnt lgkmcnt(0)
	v_add_nc_u32_e32 v11, v0, v13
	ds_load_u8 v12, v11 offset:1
	v_mov_b32_e32 v11, v9
.LBB128_16:
	s_or_b32 exec_lo, exec_lo, s2
	v_add_nc_u32_e32 v15, 1, v14
	v_add_nc_u32_e32 v17, 1, v13
	s_waitcnt lgkmcnt(0)
	v_and_b32_e32 v18, 0xff, v11
	s_delay_alu instid0(VALU_DEP_3) | instskip(SKIP_2) | instid1(VALU_DEP_3)
	v_cndmask_b32_e64 v16, v15, v14, s1
	v_and_b32_e32 v14, 0xff, v12
	v_cndmask_b32_e64 v15, v13, v17, s1
                                        ; implicit-def: $vgpr13
	v_cmp_ge_i32_e64 s2, v16, v4
	s_delay_alu instid0(VALU_DEP_3) | instskip(NEXT) | instid1(VALU_DEP_3)
	v_cmp_lt_u16_e64 s3, v14, v18
	v_cmp_lt_i32_e64 s4, v15, v3
	s_delay_alu instid0(VALU_DEP_2)
	s_or_b32 s2, s2, s3
	s_delay_alu instid0(VALU_DEP_1) | instid1(SALU_CYCLE_1)
	s_and_b32 s2, s4, s2
	s_delay_alu instid0(SALU_CYCLE_1) | instskip(NEXT) | instid1(SALU_CYCLE_1)
	s_xor_b32 s3, s2, -1
	s_and_saveexec_b32 s4, s3
	s_delay_alu instid0(SALU_CYCLE_1)
	s_xor_b32 s3, exec_lo, s4
	s_cbranch_execz .LBB128_18
; %bb.17:
	v_add_nc_u32_e32 v13, v0, v16
	ds_load_u8 v13, v13 offset:1
.LBB128_18:
	s_or_saveexec_b32 s3, s3
	v_mov_b32_e32 v14, v12
	s_xor_b32 exec_lo, exec_lo, s3
	s_cbranch_execz .LBB128_20
; %bb.19:
	s_waitcnt lgkmcnt(0)
	v_add_nc_u32_e32 v13, v0, v15
	ds_load_u8 v14, v13 offset:1
	v_mov_b32_e32 v13, v11
.LBB128_20:
	s_or_b32 exec_lo, exec_lo, s3
	v_add_nc_u32_e32 v17, 1, v16
	v_add_nc_u32_e32 v19, 1, v15
	s_waitcnt lgkmcnt(0)
	v_and_b32_e32 v20, 0xff, v13
	s_delay_alu instid0(VALU_DEP_3) | instskip(SKIP_2) | instid1(VALU_DEP_3)
	v_cndmask_b32_e64 v18, v17, v16, s2
	v_and_b32_e32 v16, 0xff, v14
	v_cndmask_b32_e64 v17, v15, v19, s2
                                        ; implicit-def: $vgpr15
	v_cmp_ge_i32_e64 s3, v18, v4
	s_delay_alu instid0(VALU_DEP_3) | instskip(NEXT) | instid1(VALU_DEP_3)
	v_cmp_lt_u16_e64 s4, v16, v20
	v_cmp_lt_i32_e64 s5, v17, v3
	s_delay_alu instid0(VALU_DEP_2)
	s_or_b32 s3, s3, s4
	s_delay_alu instid0(VALU_DEP_1) | instid1(SALU_CYCLE_1)
	s_and_b32 s3, s5, s3
	s_delay_alu instid0(SALU_CYCLE_1) | instskip(NEXT) | instid1(SALU_CYCLE_1)
	s_xor_b32 s4, s3, -1
	s_and_saveexec_b32 s5, s4
	s_delay_alu instid0(SALU_CYCLE_1)
	s_xor_b32 s4, exec_lo, s5
	s_cbranch_execz .LBB128_22
; %bb.21:
	v_add_nc_u32_e32 v15, v0, v18
	ds_load_u8 v15, v15 offset:1
.LBB128_22:
	s_or_saveexec_b32 s4, s4
	v_mov_b32_e32 v16, v14
	s_xor_b32 exec_lo, exec_lo, s4
	s_cbranch_execz .LBB128_24
; %bb.23:
	s_waitcnt lgkmcnt(0)
	v_add_nc_u32_e32 v15, v0, v17
	ds_load_u8 v16, v15 offset:1
	v_mov_b32_e32 v15, v13
.LBB128_24:
	s_or_b32 exec_lo, exec_lo, s4
	v_add_nc_u32_e32 v19, 1, v18
	v_add_nc_u32_e32 v21, 1, v17
	s_waitcnt lgkmcnt(0)
	v_and_b32_e32 v22, 0xff, v15
	s_delay_alu instid0(VALU_DEP_3) | instskip(SKIP_2) | instid1(VALU_DEP_3)
	v_cndmask_b32_e64 v20, v19, v18, s3
	v_and_b32_e32 v19, 0xff, v16
	v_cndmask_b32_e64 v18, v17, v21, s3
                                        ; implicit-def: $vgpr17
	v_cmp_ge_i32_e64 s4, v20, v4
	s_delay_alu instid0(VALU_DEP_3) | instskip(NEXT) | instid1(VALU_DEP_3)
	v_cmp_lt_u16_e64 s5, v19, v22
	v_cmp_lt_i32_e64 s6, v18, v3
	s_delay_alu instid0(VALU_DEP_2)
	s_or_b32 s4, s4, s5
	s_delay_alu instid0(VALU_DEP_1) | instid1(SALU_CYCLE_1)
	s_and_b32 s4, s6, s4
	s_delay_alu instid0(SALU_CYCLE_1) | instskip(NEXT) | instid1(SALU_CYCLE_1)
	s_xor_b32 s5, s4, -1
	s_and_saveexec_b32 s6, s5
	s_delay_alu instid0(SALU_CYCLE_1)
	s_xor_b32 s5, exec_lo, s6
	s_cbranch_execz .LBB128_26
; %bb.25:
	v_add_nc_u32_e32 v17, v0, v20
	ds_load_u8 v17, v17 offset:1
.LBB128_26:
	s_or_saveexec_b32 s5, s5
	v_mov_b32_e32 v19, v16
	s_xor_b32 exec_lo, exec_lo, s5
	s_cbranch_execz .LBB128_28
; %bb.27:
	s_waitcnt lgkmcnt(0)
	v_add_nc_u32_e32 v17, v0, v18
	ds_load_u8 v19, v17 offset:1
	v_mov_b32_e32 v17, v15
.LBB128_28:
	s_or_b32 exec_lo, exec_lo, s5
	v_add_nc_u32_e32 v21, 1, v20
	v_add_nc_u32_e32 v22, 1, v18
	s_waitcnt lgkmcnt(0)
	v_and_b32_e32 v23, 0xff, v17
	v_and_b32_e32 v24, 0xff, v19
	v_cndmask_b32_e64 v21, v21, v20, s4
	v_cndmask_b32_e64 v20, v18, v22, s4
                                        ; implicit-def: $vgpr18
	s_delay_alu instid0(VALU_DEP_3) | instskip(NEXT) | instid1(VALU_DEP_3)
	v_cmp_lt_u16_e64 s6, v24, v23
	v_cmp_ge_i32_e64 s5, v21, v4
	s_delay_alu instid0(VALU_DEP_3) | instskip(NEXT) | instid1(VALU_DEP_2)
	v_cmp_lt_i32_e64 s7, v20, v3
	s_or_b32 s5, s5, s6
	s_delay_alu instid0(VALU_DEP_1) | instid1(SALU_CYCLE_1)
	s_and_b32 s5, s7, s5
	s_delay_alu instid0(SALU_CYCLE_1) | instskip(NEXT) | instid1(SALU_CYCLE_1)
	s_xor_b32 s6, s5, -1
	s_and_saveexec_b32 s7, s6
	s_delay_alu instid0(SALU_CYCLE_1)
	s_xor_b32 s6, exec_lo, s7
	s_cbranch_execz .LBB128_30
; %bb.29:
	v_add_nc_u32_e32 v18, v0, v21
	ds_load_u8 v18, v18 offset:1
.LBB128_30:
	s_or_saveexec_b32 s6, s6
	v_mov_b32_e32 v22, v19
	s_xor_b32 exec_lo, exec_lo, s6
	s_cbranch_execz .LBB128_32
; %bb.31:
	s_waitcnt lgkmcnt(0)
	v_add_nc_u32_e32 v18, v0, v20
	ds_load_u8 v22, v18 offset:1
	v_mov_b32_e32 v18, v17
.LBB128_32:
	s_or_b32 exec_lo, exec_lo, s6
	v_add_nc_u32_e32 v23, 1, v21
	v_cndmask_b32_e64 v17, v17, v19, s5
	v_add_nc_u32_e32 v19, 1, v20
	v_cndmask_b32_e64 v15, v15, v16, s4
	s_waitcnt lgkmcnt(0)
	v_and_b32_e32 v16, 0xff, v18
	v_cndmask_b32_e64 v21, v23, v21, s5
	v_and_b32_e32 v23, 0xff, v22
	v_cndmask_b32_e64 v11, v11, v12, s2
	v_cndmask_b32_e64 v12, v20, v19, s5
	v_cndmask_b32_e32 v5, v5, v6, vcc_lo
	v_cndmask_b32_e64 v6, v9, v10, s1
	v_cndmask_b32_e64 v13, v13, v14, s3
	v_cmp_ge_i32_e64 s2, v21, v4
	v_cmp_lt_u16_e64 s3, v23, v16
	v_cmp_lt_i32_e32 vcc_lo, v12, v3
	v_and_b32_e32 v12, 0xff, v17
	v_cndmask_b32_e64 v4, v8, v7, s0
	v_lshlrev_b16 v7, 8, v11
	v_and_b32_e32 v8, 0xff, v6
	s_or_b32 s0, s2, s3
	v_and_b32_e32 v5, 0xff, v5
	s_and_b32 vcc_lo, vcc_lo, s0
	v_lshlrev_b16 v4, 8, v4
	v_and_b32_e32 v6, 0xe0, v2
	v_or_b32_e32 v8, v8, v7
	v_cndmask_b32_e32 v9, v18, v22, vcc_lo
	v_lshlrev_b16 v7, 8, v15
	v_or_b32_e32 v10, v5, v4
	v_and_b32_e32 v11, 0xff, v13
	v_lshlrev_b32_e32 v8, 16, v8
	v_or_b32_e32 v5, 16, v6
	v_add_nc_u32_e32 v4, 32, v6
	v_lshlrev_b16 v9, 8, v9
	v_or_b32_e32 v11, v11, v7
	v_and_b32_e32 v7, 24, v2
	v_and_b32_e32 v10, 0xffff, v10
	v_sub_nc_u32_e32 v13, v4, v5
	v_or_b32_e32 v9, v12, v9
	v_and_b32_e32 v11, 0xffff, v11
	v_sub_nc_u32_e32 v14, v5, v6
	v_add_nc_u32_e32 v3, v0, v2
	v_sub_nc_u32_e32 v12, v7, v13
	v_lshlrev_b32_e32 v15, 16, v9
	v_cmp_ge_i32_e32 vcc_lo, v7, v13
	v_or_b32_e32 v10, v10, v8
	v_min_i32_e32 v9, v7, v14
	s_mov_b32 s1, 0
	v_or_b32_e32 v11, v11, v15
	v_cndmask_b32_e32 v8, 0, v12, vcc_lo
	s_mov_b32 s0, exec_lo
	; wave barrier
	ds_store_b64 v3, v[10:11]
	; wave barrier
	v_cmpx_lt_i32_e64 v8, v9
	s_cbranch_execz .LBB128_36
; %bb.33:
	v_add_nc_u32_e32 v10, v0, v6
	v_add3_u32 v11, v0, v5, v7
	.p2align	6
.LBB128_34:                             ; =>This Inner Loop Header: Depth=1
	v_sub_nc_u32_e32 v12, v9, v8
	s_delay_alu instid0(VALU_DEP_1) | instskip(NEXT) | instid1(VALU_DEP_1)
	v_lshrrev_b32_e32 v13, 31, v12
	v_add_nc_u32_e32 v12, v12, v13
	s_delay_alu instid0(VALU_DEP_1) | instskip(NEXT) | instid1(VALU_DEP_1)
	v_ashrrev_i32_e32 v12, 1, v12
	v_add_nc_u32_e32 v12, v12, v8
	s_delay_alu instid0(VALU_DEP_1)
	v_add_nc_u32_e32 v13, v10, v12
	v_xad_u32 v14, v12, -1, v11
	v_add_nc_u32_e32 v15, 1, v12
	ds_load_u8 v13, v13
	ds_load_u8 v14, v14
	s_waitcnt lgkmcnt(0)
	v_cmp_lt_u16_e32 vcc_lo, v14, v13
	v_cndmask_b32_e32 v9, v9, v12, vcc_lo
	v_cndmask_b32_e32 v8, v15, v8, vcc_lo
	s_delay_alu instid0(VALU_DEP_1) | instskip(SKIP_1) | instid1(SALU_CYCLE_1)
	v_cmp_ge_i32_e32 vcc_lo, v8, v9
	s_or_b32 s1, vcc_lo, s1
	s_and_not1_b32 exec_lo, exec_lo, s1
	s_cbranch_execnz .LBB128_34
; %bb.35:
	s_or_b32 exec_lo, exec_lo, s1
.LBB128_36:
	s_delay_alu instid0(SALU_CYCLE_1) | instskip(SKIP_2) | instid1(VALU_DEP_2)
	s_or_b32 exec_lo, exec_lo, s0
	v_add_nc_u32_e32 v7, v5, v7
	v_add_nc_u32_e32 v11, v8, v6
	v_sub_nc_u32_e32 v10, v7, v8
	s_delay_alu instid0(VALU_DEP_2) | instskip(SKIP_1) | instid1(VALU_DEP_3)
	v_add_nc_u32_e32 v13, v0, v11
	v_cmp_le_i32_e32 vcc_lo, v5, v11
	v_add_nc_u32_e32 v12, v0, v10
	v_cmp_gt_i32_e64 s1, v4, v10
	ds_load_u8 v6, v13
	ds_load_u8 v7, v12
	s_waitcnt lgkmcnt(1)
	v_and_b32_e32 v8, 0xff, v6
	s_waitcnt lgkmcnt(0)
	v_and_b32_e32 v9, 0xff, v7
	s_delay_alu instid0(VALU_DEP_1) | instskip(NEXT) | instid1(VALU_DEP_1)
	v_cmp_lt_u16_e64 s0, v9, v8
                                        ; implicit-def: $vgpr8
                                        ; implicit-def: $vgpr9
	s_or_b32 s0, vcc_lo, s0
	s_delay_alu instid0(SALU_CYCLE_1) | instskip(NEXT) | instid1(SALU_CYCLE_1)
	s_and_b32 vcc_lo, s1, s0
	s_xor_b32 s0, vcc_lo, -1
	s_delay_alu instid0(SALU_CYCLE_1) | instskip(NEXT) | instid1(SALU_CYCLE_1)
	s_and_saveexec_b32 s1, s0
	s_xor_b32 s0, exec_lo, s1
	s_cbranch_execz .LBB128_38
; %bb.37:
	ds_load_u8 v9, v13 offset:1
	v_mov_b32_e32 v8, v7
                                        ; implicit-def: $vgpr12
.LBB128_38:
	s_and_not1_saveexec_b32 s0, s0
	s_cbranch_execz .LBB128_40
; %bb.39:
	ds_load_u8 v8, v12 offset:1
	s_waitcnt lgkmcnt(1)
	v_mov_b32_e32 v9, v6
.LBB128_40:
	s_or_b32 exec_lo, exec_lo, s0
	v_add_nc_u32_e32 v12, 1, v11
	v_add_nc_u32_e32 v14, 1, v10
	s_waitcnt lgkmcnt(0)
	v_and_b32_e32 v15, 0xff, v9
	s_delay_alu instid0(VALU_DEP_2) | instskip(SKIP_1) | instid1(VALU_DEP_2)
	v_dual_cndmask_b32 v13, v12, v11 :: v_dual_cndmask_b32 v12, v10, v14
	v_and_b32_e32 v11, 0xff, v8
                                        ; implicit-def: $vgpr10
	v_cmp_ge_i32_e64 s0, v13, v5
	s_delay_alu instid0(VALU_DEP_3) | instskip(NEXT) | instid1(VALU_DEP_3)
	v_cmp_lt_i32_e64 s2, v12, v4
	v_cmp_lt_u16_e64 s1, v11, v15
	s_delay_alu instid0(VALU_DEP_1)
	s_or_b32 s0, s0, s1
	s_delay_alu instid0(VALU_DEP_2) | instid1(SALU_CYCLE_1)
	s_and_b32 s0, s2, s0
	s_delay_alu instid0(SALU_CYCLE_1) | instskip(NEXT) | instid1(SALU_CYCLE_1)
	s_xor_b32 s1, s0, -1
	s_and_saveexec_b32 s2, s1
	s_delay_alu instid0(SALU_CYCLE_1)
	s_xor_b32 s1, exec_lo, s2
	s_cbranch_execz .LBB128_42
; %bb.41:
	v_add_nc_u32_e32 v10, v0, v13
	ds_load_u8 v10, v10 offset:1
.LBB128_42:
	s_or_saveexec_b32 s1, s1
	v_mov_b32_e32 v11, v8
	s_xor_b32 exec_lo, exec_lo, s1
	s_cbranch_execz .LBB128_44
; %bb.43:
	s_waitcnt lgkmcnt(0)
	v_add_nc_u32_e32 v10, v0, v12
	ds_load_u8 v11, v10 offset:1
	v_mov_b32_e32 v10, v9
.LBB128_44:
	s_or_b32 exec_lo, exec_lo, s1
	v_add_nc_u32_e32 v14, 1, v13
	v_add_nc_u32_e32 v16, 1, v12
	s_waitcnt lgkmcnt(0)
	v_and_b32_e32 v17, 0xff, v10
	s_delay_alu instid0(VALU_DEP_3) | instskip(SKIP_2) | instid1(VALU_DEP_3)
	v_cndmask_b32_e64 v15, v14, v13, s0
	v_and_b32_e32 v13, 0xff, v11
	v_cndmask_b32_e64 v14, v12, v16, s0
                                        ; implicit-def: $vgpr12
	v_cmp_ge_i32_e64 s1, v15, v5
	s_delay_alu instid0(VALU_DEP_3) | instskip(NEXT) | instid1(VALU_DEP_3)
	v_cmp_lt_u16_e64 s2, v13, v17
	v_cmp_lt_i32_e64 s3, v14, v4
	s_delay_alu instid0(VALU_DEP_2)
	s_or_b32 s1, s1, s2
	s_delay_alu instid0(VALU_DEP_1) | instid1(SALU_CYCLE_1)
	s_and_b32 s1, s3, s1
	s_delay_alu instid0(SALU_CYCLE_1) | instskip(NEXT) | instid1(SALU_CYCLE_1)
	s_xor_b32 s2, s1, -1
	s_and_saveexec_b32 s3, s2
	s_delay_alu instid0(SALU_CYCLE_1)
	s_xor_b32 s2, exec_lo, s3
	s_cbranch_execz .LBB128_46
; %bb.45:
	v_add_nc_u32_e32 v12, v0, v15
	ds_load_u8 v12, v12 offset:1
.LBB128_46:
	s_or_saveexec_b32 s2, s2
	v_mov_b32_e32 v13, v11
	s_xor_b32 exec_lo, exec_lo, s2
	s_cbranch_execz .LBB128_48
; %bb.47:
	s_waitcnt lgkmcnt(0)
	v_add_nc_u32_e32 v12, v0, v14
	ds_load_u8 v13, v12 offset:1
	v_mov_b32_e32 v12, v10
.LBB128_48:
	s_or_b32 exec_lo, exec_lo, s2
	v_add_nc_u32_e32 v16, 1, v15
	v_add_nc_u32_e32 v18, 1, v14
	s_waitcnt lgkmcnt(0)
	v_and_b32_e32 v19, 0xff, v12
	s_delay_alu instid0(VALU_DEP_3) | instskip(SKIP_2) | instid1(VALU_DEP_3)
	v_cndmask_b32_e64 v17, v16, v15, s1
	v_and_b32_e32 v15, 0xff, v13
	v_cndmask_b32_e64 v16, v14, v18, s1
                                        ; implicit-def: $vgpr14
	v_cmp_ge_i32_e64 s2, v17, v5
	s_delay_alu instid0(VALU_DEP_3) | instskip(NEXT) | instid1(VALU_DEP_3)
	v_cmp_lt_u16_e64 s3, v15, v19
	v_cmp_lt_i32_e64 s4, v16, v4
	s_delay_alu instid0(VALU_DEP_2)
	s_or_b32 s2, s2, s3
	s_delay_alu instid0(VALU_DEP_1) | instid1(SALU_CYCLE_1)
	s_and_b32 s2, s4, s2
	s_delay_alu instid0(SALU_CYCLE_1) | instskip(NEXT) | instid1(SALU_CYCLE_1)
	s_xor_b32 s3, s2, -1
	s_and_saveexec_b32 s4, s3
	s_delay_alu instid0(SALU_CYCLE_1)
	s_xor_b32 s3, exec_lo, s4
	s_cbranch_execz .LBB128_50
; %bb.49:
	v_add_nc_u32_e32 v14, v0, v17
	ds_load_u8 v14, v14 offset:1
.LBB128_50:
	s_or_saveexec_b32 s3, s3
	v_mov_b32_e32 v15, v13
	s_xor_b32 exec_lo, exec_lo, s3
	s_cbranch_execz .LBB128_52
; %bb.51:
	s_waitcnt lgkmcnt(0)
	v_add_nc_u32_e32 v14, v0, v16
	ds_load_u8 v15, v14 offset:1
	v_mov_b32_e32 v14, v12
.LBB128_52:
	s_or_b32 exec_lo, exec_lo, s3
	v_add_nc_u32_e32 v18, 1, v17
	v_add_nc_u32_e32 v20, 1, v16
	s_waitcnt lgkmcnt(0)
	v_and_b32_e32 v21, 0xff, v14
	s_delay_alu instid0(VALU_DEP_3) | instskip(SKIP_2) | instid1(VALU_DEP_3)
	v_cndmask_b32_e64 v19, v18, v17, s2
	v_and_b32_e32 v17, 0xff, v15
	v_cndmask_b32_e64 v18, v16, v20, s2
                                        ; implicit-def: $vgpr16
	v_cmp_ge_i32_e64 s3, v19, v5
	s_delay_alu instid0(VALU_DEP_3) | instskip(NEXT) | instid1(VALU_DEP_3)
	v_cmp_lt_u16_e64 s4, v17, v21
	v_cmp_lt_i32_e64 s5, v18, v4
	s_delay_alu instid0(VALU_DEP_2)
	s_or_b32 s3, s3, s4
	s_delay_alu instid0(VALU_DEP_1) | instid1(SALU_CYCLE_1)
	s_and_b32 s3, s5, s3
	s_delay_alu instid0(SALU_CYCLE_1) | instskip(NEXT) | instid1(SALU_CYCLE_1)
	s_xor_b32 s4, s3, -1
	s_and_saveexec_b32 s5, s4
	s_delay_alu instid0(SALU_CYCLE_1)
	s_xor_b32 s4, exec_lo, s5
	s_cbranch_execz .LBB128_54
; %bb.53:
	v_add_nc_u32_e32 v16, v0, v19
	ds_load_u8 v16, v16 offset:1
.LBB128_54:
	s_or_saveexec_b32 s4, s4
	v_mov_b32_e32 v17, v15
	s_xor_b32 exec_lo, exec_lo, s4
	s_cbranch_execz .LBB128_56
; %bb.55:
	s_waitcnt lgkmcnt(0)
	v_add_nc_u32_e32 v16, v0, v18
	ds_load_u8 v17, v16 offset:1
	v_mov_b32_e32 v16, v14
.LBB128_56:
	s_or_b32 exec_lo, exec_lo, s4
	v_add_nc_u32_e32 v20, 1, v19
	v_add_nc_u32_e32 v22, 1, v18
	s_waitcnt lgkmcnt(0)
	v_and_b32_e32 v23, 0xff, v16
	s_delay_alu instid0(VALU_DEP_3) | instskip(SKIP_2) | instid1(VALU_DEP_3)
	v_cndmask_b32_e64 v21, v20, v19, s3
	v_and_b32_e32 v20, 0xff, v17
	v_cndmask_b32_e64 v19, v18, v22, s3
                                        ; implicit-def: $vgpr18
	v_cmp_ge_i32_e64 s4, v21, v5
	s_delay_alu instid0(VALU_DEP_3) | instskip(NEXT) | instid1(VALU_DEP_3)
	v_cmp_lt_u16_e64 s5, v20, v23
	v_cmp_lt_i32_e64 s6, v19, v4
	s_delay_alu instid0(VALU_DEP_2)
	s_or_b32 s4, s4, s5
	s_delay_alu instid0(VALU_DEP_1) | instid1(SALU_CYCLE_1)
	s_and_b32 s4, s6, s4
	s_delay_alu instid0(SALU_CYCLE_1) | instskip(NEXT) | instid1(SALU_CYCLE_1)
	s_xor_b32 s5, s4, -1
	s_and_saveexec_b32 s6, s5
	s_delay_alu instid0(SALU_CYCLE_1)
	s_xor_b32 s5, exec_lo, s6
	s_cbranch_execz .LBB128_58
; %bb.57:
	v_add_nc_u32_e32 v18, v0, v21
	ds_load_u8 v18, v18 offset:1
.LBB128_58:
	s_or_saveexec_b32 s5, s5
	v_mov_b32_e32 v20, v17
	s_xor_b32 exec_lo, exec_lo, s5
	s_cbranch_execz .LBB128_60
; %bb.59:
	s_waitcnt lgkmcnt(0)
	v_add_nc_u32_e32 v18, v0, v19
	ds_load_u8 v20, v18 offset:1
	v_mov_b32_e32 v18, v16
.LBB128_60:
	s_or_b32 exec_lo, exec_lo, s5
	v_add_nc_u32_e32 v22, 1, v21
	v_add_nc_u32_e32 v23, 1, v19
	s_waitcnt lgkmcnt(0)
	v_and_b32_e32 v24, 0xff, v18
	v_and_b32_e32 v25, 0xff, v20
	v_cndmask_b32_e64 v22, v22, v21, s4
	v_cndmask_b32_e64 v21, v19, v23, s4
                                        ; implicit-def: $vgpr19
	s_delay_alu instid0(VALU_DEP_3) | instskip(NEXT) | instid1(VALU_DEP_3)
	v_cmp_lt_u16_e64 s6, v25, v24
	v_cmp_ge_i32_e64 s5, v22, v5
	s_delay_alu instid0(VALU_DEP_3) | instskip(NEXT) | instid1(VALU_DEP_2)
	v_cmp_lt_i32_e64 s7, v21, v4
	s_or_b32 s5, s5, s6
	s_delay_alu instid0(VALU_DEP_1) | instid1(SALU_CYCLE_1)
	s_and_b32 s5, s7, s5
	s_delay_alu instid0(SALU_CYCLE_1) | instskip(NEXT) | instid1(SALU_CYCLE_1)
	s_xor_b32 s6, s5, -1
	s_and_saveexec_b32 s7, s6
	s_delay_alu instid0(SALU_CYCLE_1)
	s_xor_b32 s6, exec_lo, s7
	s_cbranch_execz .LBB128_62
; %bb.61:
	v_add_nc_u32_e32 v19, v0, v22
	ds_load_u8 v19, v19 offset:1
.LBB128_62:
	s_or_saveexec_b32 s6, s6
	v_mov_b32_e32 v23, v20
	s_xor_b32 exec_lo, exec_lo, s6
	s_cbranch_execz .LBB128_64
; %bb.63:
	s_waitcnt lgkmcnt(0)
	v_add_nc_u32_e32 v19, v0, v21
	ds_load_u8 v23, v19 offset:1
	v_mov_b32_e32 v19, v18
.LBB128_64:
	s_or_b32 exec_lo, exec_lo, s6
	v_add_nc_u32_e32 v24, 1, v22
	v_cndmask_b32_e64 v18, v18, v20, s5
	v_add_nc_u32_e32 v20, 1, v21
	v_cndmask_b32_e64 v16, v16, v17, s4
	s_waitcnt lgkmcnt(0)
	v_and_b32_e32 v17, 0xff, v19
	v_cndmask_b32_e64 v22, v24, v22, s5
	v_and_b32_e32 v24, 0xff, v23
	v_cndmask_b32_e64 v12, v12, v13, s2
	v_cndmask_b32_e64 v13, v21, v20, s5
	;; [unrolled: 1-line block ×3, first 2 shown]
	v_cmp_ge_i32_e64 s2, v22, v5
	v_cmp_lt_u16_e64 s3, v24, v17
	v_cndmask_b32_e32 v6, v6, v7, vcc_lo
	v_cmp_lt_i32_e32 vcc_lo, v13, v4
	v_cndmask_b32_e64 v5, v9, v8, s0
	v_cndmask_b32_e64 v7, v10, v11, s1
	v_and_b32_e32 v11, 0xff, v14
	s_or_b32 s0, s2, s3
	v_lshlrev_b16 v8, 8, v12
	s_and_b32 vcc_lo, vcc_lo, s0
	v_lshlrev_b16 v4, 8, v5
	v_and_b32_e32 v5, 0xff, v6
	v_and_b32_e32 v7, 0xff, v7
	v_dual_cndmask_b32 v9, v19, v23 :: v_dual_and_b32 v6, 0xc0, v2
	v_and_b32_e32 v12, 0xff, v18
	s_delay_alu instid0(VALU_DEP_4) | instskip(NEXT) | instid1(VALU_DEP_4)
	v_or_b32_e32 v10, v5, v4
	v_or_b32_e32 v8, v7, v8
	v_lshlrev_b16 v7, 8, v16
	v_or_b32_e32 v5, 32, v6
	v_add_nc_u32_e32 v4, 64, v6
	v_lshlrev_b16 v9, 8, v9
	v_and_b32_e32 v10, 0xffff, v10
	v_or_b32_e32 v11, v11, v7
	v_and_b32_e32 v7, 56, v2
	v_sub_nc_u32_e32 v13, v4, v5
	v_or_b32_e32 v9, v12, v9
	v_lshlrev_b32_e32 v8, 16, v8
	v_and_b32_e32 v11, 0xffff, v11
	v_sub_nc_u32_e32 v14, v5, v6
	v_sub_nc_u32_e32 v12, v7, v13
	v_lshlrev_b32_e32 v15, 16, v9
	v_cmp_ge_i32_e32 vcc_lo, v7, v13
	v_or_b32_e32 v10, v10, v8
	v_min_i32_e32 v9, v7, v14
	s_mov_b32 s1, 0
	v_or_b32_e32 v11, v11, v15
	v_cndmask_b32_e32 v8, 0, v12, vcc_lo
	s_mov_b32 s0, exec_lo
	; wave barrier
	ds_store_b64 v3, v[10:11]
	; wave barrier
	v_cmpx_lt_i32_e64 v8, v9
	s_cbranch_execz .LBB128_68
; %bb.65:
	v_add_nc_u32_e32 v10, v0, v6
	v_add3_u32 v11, v0, v5, v7
	.p2align	6
.LBB128_66:                             ; =>This Inner Loop Header: Depth=1
	v_sub_nc_u32_e32 v12, v9, v8
	s_delay_alu instid0(VALU_DEP_1) | instskip(NEXT) | instid1(VALU_DEP_1)
	v_lshrrev_b32_e32 v13, 31, v12
	v_add_nc_u32_e32 v12, v12, v13
	s_delay_alu instid0(VALU_DEP_1) | instskip(NEXT) | instid1(VALU_DEP_1)
	v_ashrrev_i32_e32 v12, 1, v12
	v_add_nc_u32_e32 v12, v12, v8
	s_delay_alu instid0(VALU_DEP_1)
	v_add_nc_u32_e32 v13, v10, v12
	v_xad_u32 v14, v12, -1, v11
	v_add_nc_u32_e32 v15, 1, v12
	ds_load_u8 v13, v13
	ds_load_u8 v14, v14
	s_waitcnt lgkmcnt(0)
	v_cmp_lt_u16_e32 vcc_lo, v14, v13
	v_cndmask_b32_e32 v9, v9, v12, vcc_lo
	v_cndmask_b32_e32 v8, v15, v8, vcc_lo
	s_delay_alu instid0(VALU_DEP_1) | instskip(SKIP_1) | instid1(SALU_CYCLE_1)
	v_cmp_ge_i32_e32 vcc_lo, v8, v9
	s_or_b32 s1, vcc_lo, s1
	s_and_not1_b32 exec_lo, exec_lo, s1
	s_cbranch_execnz .LBB128_66
; %bb.67:
	s_or_b32 exec_lo, exec_lo, s1
.LBB128_68:
	s_delay_alu instid0(SALU_CYCLE_1) | instskip(SKIP_2) | instid1(VALU_DEP_2)
	s_or_b32 exec_lo, exec_lo, s0
	v_add_nc_u32_e32 v7, v5, v7
	v_add_nc_u32_e32 v11, v8, v6
	v_sub_nc_u32_e32 v10, v7, v8
	s_delay_alu instid0(VALU_DEP_2) | instskip(SKIP_1) | instid1(VALU_DEP_3)
	v_add_nc_u32_e32 v13, v0, v11
	v_cmp_le_i32_e32 vcc_lo, v5, v11
	v_add_nc_u32_e32 v12, v0, v10
	v_cmp_gt_i32_e64 s1, v4, v10
	ds_load_u8 v6, v13
	ds_load_u8 v7, v12
	s_waitcnt lgkmcnt(1)
	v_and_b32_e32 v8, 0xff, v6
	s_waitcnt lgkmcnt(0)
	v_and_b32_e32 v9, 0xff, v7
	s_delay_alu instid0(VALU_DEP_1) | instskip(NEXT) | instid1(VALU_DEP_1)
	v_cmp_lt_u16_e64 s0, v9, v8
                                        ; implicit-def: $vgpr8
                                        ; implicit-def: $vgpr9
	s_or_b32 s0, vcc_lo, s0
	s_delay_alu instid0(SALU_CYCLE_1) | instskip(NEXT) | instid1(SALU_CYCLE_1)
	s_and_b32 vcc_lo, s1, s0
	s_xor_b32 s0, vcc_lo, -1
	s_delay_alu instid0(SALU_CYCLE_1) | instskip(NEXT) | instid1(SALU_CYCLE_1)
	s_and_saveexec_b32 s1, s0
	s_xor_b32 s0, exec_lo, s1
	s_cbranch_execz .LBB128_70
; %bb.69:
	ds_load_u8 v9, v13 offset:1
	v_mov_b32_e32 v8, v7
                                        ; implicit-def: $vgpr12
.LBB128_70:
	s_and_not1_saveexec_b32 s0, s0
	s_cbranch_execz .LBB128_72
; %bb.71:
	ds_load_u8 v8, v12 offset:1
	s_waitcnt lgkmcnt(1)
	v_mov_b32_e32 v9, v6
.LBB128_72:
	s_or_b32 exec_lo, exec_lo, s0
	v_add_nc_u32_e32 v12, 1, v11
	v_add_nc_u32_e32 v14, 1, v10
	s_waitcnt lgkmcnt(0)
	v_and_b32_e32 v15, 0xff, v9
	s_delay_alu instid0(VALU_DEP_2) | instskip(SKIP_1) | instid1(VALU_DEP_2)
	v_dual_cndmask_b32 v13, v12, v11 :: v_dual_cndmask_b32 v12, v10, v14
	v_and_b32_e32 v11, 0xff, v8
                                        ; implicit-def: $vgpr10
	v_cmp_ge_i32_e64 s0, v13, v5
	s_delay_alu instid0(VALU_DEP_3) | instskip(NEXT) | instid1(VALU_DEP_3)
	v_cmp_lt_i32_e64 s2, v12, v4
	v_cmp_lt_u16_e64 s1, v11, v15
	s_delay_alu instid0(VALU_DEP_1)
	s_or_b32 s0, s0, s1
	s_delay_alu instid0(VALU_DEP_2) | instid1(SALU_CYCLE_1)
	s_and_b32 s0, s2, s0
	s_delay_alu instid0(SALU_CYCLE_1) | instskip(NEXT) | instid1(SALU_CYCLE_1)
	s_xor_b32 s1, s0, -1
	s_and_saveexec_b32 s2, s1
	s_delay_alu instid0(SALU_CYCLE_1)
	s_xor_b32 s1, exec_lo, s2
	s_cbranch_execz .LBB128_74
; %bb.73:
	v_add_nc_u32_e32 v10, v0, v13
	ds_load_u8 v10, v10 offset:1
.LBB128_74:
	s_or_saveexec_b32 s1, s1
	v_mov_b32_e32 v11, v8
	s_xor_b32 exec_lo, exec_lo, s1
	s_cbranch_execz .LBB128_76
; %bb.75:
	s_waitcnt lgkmcnt(0)
	v_add_nc_u32_e32 v10, v0, v12
	ds_load_u8 v11, v10 offset:1
	v_mov_b32_e32 v10, v9
.LBB128_76:
	s_or_b32 exec_lo, exec_lo, s1
	v_add_nc_u32_e32 v14, 1, v13
	v_add_nc_u32_e32 v16, 1, v12
	s_waitcnt lgkmcnt(0)
	v_and_b32_e32 v17, 0xff, v10
	s_delay_alu instid0(VALU_DEP_3) | instskip(SKIP_2) | instid1(VALU_DEP_3)
	v_cndmask_b32_e64 v15, v14, v13, s0
	v_and_b32_e32 v13, 0xff, v11
	v_cndmask_b32_e64 v14, v12, v16, s0
                                        ; implicit-def: $vgpr12
	v_cmp_ge_i32_e64 s1, v15, v5
	s_delay_alu instid0(VALU_DEP_3) | instskip(NEXT) | instid1(VALU_DEP_3)
	v_cmp_lt_u16_e64 s2, v13, v17
	v_cmp_lt_i32_e64 s3, v14, v4
	s_delay_alu instid0(VALU_DEP_2)
	s_or_b32 s1, s1, s2
	s_delay_alu instid0(VALU_DEP_1) | instid1(SALU_CYCLE_1)
	s_and_b32 s1, s3, s1
	s_delay_alu instid0(SALU_CYCLE_1) | instskip(NEXT) | instid1(SALU_CYCLE_1)
	s_xor_b32 s2, s1, -1
	s_and_saveexec_b32 s3, s2
	s_delay_alu instid0(SALU_CYCLE_1)
	s_xor_b32 s2, exec_lo, s3
	s_cbranch_execz .LBB128_78
; %bb.77:
	v_add_nc_u32_e32 v12, v0, v15
	ds_load_u8 v12, v12 offset:1
.LBB128_78:
	s_or_saveexec_b32 s2, s2
	v_mov_b32_e32 v13, v11
	s_xor_b32 exec_lo, exec_lo, s2
	s_cbranch_execz .LBB128_80
; %bb.79:
	s_waitcnt lgkmcnt(0)
	v_add_nc_u32_e32 v12, v0, v14
	ds_load_u8 v13, v12 offset:1
	v_mov_b32_e32 v12, v10
.LBB128_80:
	s_or_b32 exec_lo, exec_lo, s2
	v_add_nc_u32_e32 v16, 1, v15
	v_add_nc_u32_e32 v18, 1, v14
	s_waitcnt lgkmcnt(0)
	v_and_b32_e32 v19, 0xff, v12
	s_delay_alu instid0(VALU_DEP_3) | instskip(SKIP_2) | instid1(VALU_DEP_3)
	v_cndmask_b32_e64 v17, v16, v15, s1
	v_and_b32_e32 v15, 0xff, v13
	v_cndmask_b32_e64 v16, v14, v18, s1
                                        ; implicit-def: $vgpr14
	v_cmp_ge_i32_e64 s2, v17, v5
	s_delay_alu instid0(VALU_DEP_3) | instskip(NEXT) | instid1(VALU_DEP_3)
	v_cmp_lt_u16_e64 s3, v15, v19
	v_cmp_lt_i32_e64 s4, v16, v4
	s_delay_alu instid0(VALU_DEP_2)
	s_or_b32 s2, s2, s3
	s_delay_alu instid0(VALU_DEP_1) | instid1(SALU_CYCLE_1)
	s_and_b32 s2, s4, s2
	s_delay_alu instid0(SALU_CYCLE_1) | instskip(NEXT) | instid1(SALU_CYCLE_1)
	s_xor_b32 s3, s2, -1
	s_and_saveexec_b32 s4, s3
	s_delay_alu instid0(SALU_CYCLE_1)
	s_xor_b32 s3, exec_lo, s4
	s_cbranch_execz .LBB128_82
; %bb.81:
	v_add_nc_u32_e32 v14, v0, v17
	ds_load_u8 v14, v14 offset:1
.LBB128_82:
	s_or_saveexec_b32 s3, s3
	v_mov_b32_e32 v15, v13
	s_xor_b32 exec_lo, exec_lo, s3
	s_cbranch_execz .LBB128_84
; %bb.83:
	s_waitcnt lgkmcnt(0)
	v_add_nc_u32_e32 v14, v0, v16
	ds_load_u8 v15, v14 offset:1
	v_mov_b32_e32 v14, v12
.LBB128_84:
	s_or_b32 exec_lo, exec_lo, s3
	v_add_nc_u32_e32 v18, 1, v17
	v_add_nc_u32_e32 v20, 1, v16
	s_waitcnt lgkmcnt(0)
	v_and_b32_e32 v21, 0xff, v14
	s_delay_alu instid0(VALU_DEP_3) | instskip(SKIP_2) | instid1(VALU_DEP_3)
	v_cndmask_b32_e64 v19, v18, v17, s2
	v_and_b32_e32 v17, 0xff, v15
	v_cndmask_b32_e64 v18, v16, v20, s2
                                        ; implicit-def: $vgpr16
	v_cmp_ge_i32_e64 s3, v19, v5
	s_delay_alu instid0(VALU_DEP_3) | instskip(NEXT) | instid1(VALU_DEP_3)
	v_cmp_lt_u16_e64 s4, v17, v21
	v_cmp_lt_i32_e64 s5, v18, v4
	s_delay_alu instid0(VALU_DEP_2)
	s_or_b32 s3, s3, s4
	s_delay_alu instid0(VALU_DEP_1) | instid1(SALU_CYCLE_1)
	s_and_b32 s3, s5, s3
	s_delay_alu instid0(SALU_CYCLE_1) | instskip(NEXT) | instid1(SALU_CYCLE_1)
	s_xor_b32 s4, s3, -1
	s_and_saveexec_b32 s5, s4
	s_delay_alu instid0(SALU_CYCLE_1)
	s_xor_b32 s4, exec_lo, s5
	s_cbranch_execz .LBB128_86
; %bb.85:
	v_add_nc_u32_e32 v16, v0, v19
	ds_load_u8 v16, v16 offset:1
.LBB128_86:
	s_or_saveexec_b32 s4, s4
	v_mov_b32_e32 v17, v15
	s_xor_b32 exec_lo, exec_lo, s4
	s_cbranch_execz .LBB128_88
; %bb.87:
	s_waitcnt lgkmcnt(0)
	v_add_nc_u32_e32 v16, v0, v18
	ds_load_u8 v17, v16 offset:1
	v_mov_b32_e32 v16, v14
.LBB128_88:
	s_or_b32 exec_lo, exec_lo, s4
	v_add_nc_u32_e32 v20, 1, v19
	v_add_nc_u32_e32 v22, 1, v18
	s_waitcnt lgkmcnt(0)
	v_and_b32_e32 v23, 0xff, v16
	s_delay_alu instid0(VALU_DEP_3) | instskip(SKIP_2) | instid1(VALU_DEP_3)
	v_cndmask_b32_e64 v21, v20, v19, s3
	v_and_b32_e32 v20, 0xff, v17
	v_cndmask_b32_e64 v19, v18, v22, s3
                                        ; implicit-def: $vgpr18
	v_cmp_ge_i32_e64 s4, v21, v5
	s_delay_alu instid0(VALU_DEP_3) | instskip(NEXT) | instid1(VALU_DEP_3)
	v_cmp_lt_u16_e64 s5, v20, v23
	v_cmp_lt_i32_e64 s6, v19, v4
	s_delay_alu instid0(VALU_DEP_2)
	s_or_b32 s4, s4, s5
	s_delay_alu instid0(VALU_DEP_1) | instid1(SALU_CYCLE_1)
	s_and_b32 s4, s6, s4
	s_delay_alu instid0(SALU_CYCLE_1) | instskip(NEXT) | instid1(SALU_CYCLE_1)
	s_xor_b32 s5, s4, -1
	s_and_saveexec_b32 s6, s5
	s_delay_alu instid0(SALU_CYCLE_1)
	s_xor_b32 s5, exec_lo, s6
	s_cbranch_execz .LBB128_90
; %bb.89:
	v_add_nc_u32_e32 v18, v0, v21
	ds_load_u8 v18, v18 offset:1
.LBB128_90:
	s_or_saveexec_b32 s5, s5
	v_mov_b32_e32 v20, v17
	s_xor_b32 exec_lo, exec_lo, s5
	s_cbranch_execz .LBB128_92
; %bb.91:
	s_waitcnt lgkmcnt(0)
	v_add_nc_u32_e32 v18, v0, v19
	ds_load_u8 v20, v18 offset:1
	v_mov_b32_e32 v18, v16
.LBB128_92:
	s_or_b32 exec_lo, exec_lo, s5
	v_add_nc_u32_e32 v22, 1, v21
	v_add_nc_u32_e32 v23, 1, v19
	s_waitcnt lgkmcnt(0)
	v_and_b32_e32 v24, 0xff, v18
	v_and_b32_e32 v25, 0xff, v20
	v_cndmask_b32_e64 v22, v22, v21, s4
	v_cndmask_b32_e64 v21, v19, v23, s4
                                        ; implicit-def: $vgpr19
	s_delay_alu instid0(VALU_DEP_3) | instskip(NEXT) | instid1(VALU_DEP_3)
	v_cmp_lt_u16_e64 s6, v25, v24
	v_cmp_ge_i32_e64 s5, v22, v5
	s_delay_alu instid0(VALU_DEP_3) | instskip(NEXT) | instid1(VALU_DEP_2)
	v_cmp_lt_i32_e64 s7, v21, v4
	s_or_b32 s5, s5, s6
	s_delay_alu instid0(VALU_DEP_1) | instid1(SALU_CYCLE_1)
	s_and_b32 s5, s7, s5
	s_delay_alu instid0(SALU_CYCLE_1) | instskip(NEXT) | instid1(SALU_CYCLE_1)
	s_xor_b32 s6, s5, -1
	s_and_saveexec_b32 s7, s6
	s_delay_alu instid0(SALU_CYCLE_1)
	s_xor_b32 s6, exec_lo, s7
	s_cbranch_execz .LBB128_94
; %bb.93:
	v_add_nc_u32_e32 v19, v0, v22
	ds_load_u8 v19, v19 offset:1
.LBB128_94:
	s_or_saveexec_b32 s6, s6
	v_mov_b32_e32 v23, v20
	s_xor_b32 exec_lo, exec_lo, s6
	s_cbranch_execz .LBB128_96
; %bb.95:
	s_waitcnt lgkmcnt(0)
	v_add_nc_u32_e32 v19, v0, v21
	ds_load_u8 v23, v19 offset:1
	v_mov_b32_e32 v19, v18
.LBB128_96:
	s_or_b32 exec_lo, exec_lo, s6
	v_add_nc_u32_e32 v24, 1, v22
	v_cndmask_b32_e64 v18, v18, v20, s5
	v_add_nc_u32_e32 v20, 1, v21
	v_cndmask_b32_e64 v16, v16, v17, s4
	s_waitcnt lgkmcnt(0)
	v_and_b32_e32 v17, 0xff, v19
	v_cndmask_b32_e64 v22, v24, v22, s5
	v_and_b32_e32 v24, 0xff, v23
	v_cndmask_b32_e64 v12, v12, v13, s2
	v_cndmask_b32_e64 v13, v21, v20, s5
	;; [unrolled: 1-line block ×3, first 2 shown]
	v_cmp_ge_i32_e64 s2, v22, v5
	v_cmp_lt_u16_e64 s3, v24, v17
	v_cndmask_b32_e32 v6, v6, v7, vcc_lo
	v_cmp_lt_i32_e32 vcc_lo, v13, v4
	v_cndmask_b32_e64 v5, v9, v8, s0
	v_cndmask_b32_e64 v7, v10, v11, s1
	v_and_b32_e32 v11, 0xff, v14
	s_or_b32 s0, s2, s3
	v_lshlrev_b16 v8, 8, v12
	s_and_b32 vcc_lo, vcc_lo, s0
	v_lshlrev_b16 v4, 8, v5
	v_and_b32_e32 v5, 0xff, v6
	v_and_b32_e32 v7, 0xff, v7
	v_dual_cndmask_b32 v9, v19, v23 :: v_dual_and_b32 v6, 0x80, v2
	v_and_b32_e32 v12, 0xff, v18
	s_delay_alu instid0(VALU_DEP_4) | instskip(NEXT) | instid1(VALU_DEP_4)
	v_or_b32_e32 v10, v5, v4
	v_or_b32_e32 v8, v7, v8
	v_lshlrev_b16 v7, 8, v16
	v_or_b32_e32 v5, 64, v6
	v_add_nc_u32_e32 v4, 0x80, v6
	v_lshlrev_b16 v9, 8, v9
	v_and_b32_e32 v10, 0xffff, v10
	v_or_b32_e32 v11, v11, v7
	v_and_b32_e32 v7, 0x78, v2
	v_sub_nc_u32_e32 v13, v4, v5
	v_or_b32_e32 v9, v12, v9
	v_lshlrev_b32_e32 v8, 16, v8
	v_and_b32_e32 v11, 0xffff, v11
	v_sub_nc_u32_e32 v14, v5, v6
	v_sub_nc_u32_e32 v12, v7, v13
	v_lshlrev_b32_e32 v15, 16, v9
	v_cmp_ge_i32_e32 vcc_lo, v7, v13
	v_or_b32_e32 v10, v10, v8
	v_min_i32_e32 v9, v7, v14
	s_mov_b32 s1, 0
	v_or_b32_e32 v11, v11, v15
	v_cndmask_b32_e32 v8, 0, v12, vcc_lo
	s_mov_b32 s0, exec_lo
	; wave barrier
	ds_store_b64 v3, v[10:11]
	; wave barrier
	v_cmpx_lt_i32_e64 v8, v9
	s_cbranch_execz .LBB128_100
; %bb.97:
	v_add_nc_u32_e32 v10, v0, v6
	v_add3_u32 v11, v0, v5, v7
	.p2align	6
.LBB128_98:                             ; =>This Inner Loop Header: Depth=1
	v_sub_nc_u32_e32 v12, v9, v8
	s_delay_alu instid0(VALU_DEP_1) | instskip(NEXT) | instid1(VALU_DEP_1)
	v_lshrrev_b32_e32 v13, 31, v12
	v_add_nc_u32_e32 v12, v12, v13
	s_delay_alu instid0(VALU_DEP_1) | instskip(NEXT) | instid1(VALU_DEP_1)
	v_ashrrev_i32_e32 v12, 1, v12
	v_add_nc_u32_e32 v12, v12, v8
	s_delay_alu instid0(VALU_DEP_1)
	v_add_nc_u32_e32 v13, v10, v12
	v_xad_u32 v14, v12, -1, v11
	v_add_nc_u32_e32 v15, 1, v12
	ds_load_u8 v13, v13
	ds_load_u8 v14, v14
	s_waitcnt lgkmcnt(0)
	v_cmp_lt_u16_e32 vcc_lo, v14, v13
	v_cndmask_b32_e32 v9, v9, v12, vcc_lo
	v_cndmask_b32_e32 v8, v15, v8, vcc_lo
	s_delay_alu instid0(VALU_DEP_1) | instskip(SKIP_1) | instid1(SALU_CYCLE_1)
	v_cmp_ge_i32_e32 vcc_lo, v8, v9
	s_or_b32 s1, vcc_lo, s1
	s_and_not1_b32 exec_lo, exec_lo, s1
	s_cbranch_execnz .LBB128_98
; %bb.99:
	s_or_b32 exec_lo, exec_lo, s1
.LBB128_100:
	s_delay_alu instid0(SALU_CYCLE_1) | instskip(SKIP_2) | instid1(VALU_DEP_2)
	s_or_b32 exec_lo, exec_lo, s0
	v_add_nc_u32_e32 v7, v5, v7
	v_add_nc_u32_e32 v11, v8, v6
	v_sub_nc_u32_e32 v10, v7, v8
	s_delay_alu instid0(VALU_DEP_2) | instskip(SKIP_1) | instid1(VALU_DEP_3)
	v_add_nc_u32_e32 v13, v0, v11
	v_cmp_le_i32_e32 vcc_lo, v5, v11
	v_add_nc_u32_e32 v12, v0, v10
	v_cmp_gt_i32_e64 s1, v4, v10
	ds_load_u8 v6, v13
	ds_load_u8 v7, v12
	s_waitcnt lgkmcnt(1)
	v_and_b32_e32 v8, 0xff, v6
	s_waitcnt lgkmcnt(0)
	v_and_b32_e32 v9, 0xff, v7
	s_delay_alu instid0(VALU_DEP_1) | instskip(NEXT) | instid1(VALU_DEP_1)
	v_cmp_lt_u16_e64 s0, v9, v8
                                        ; implicit-def: $vgpr8
                                        ; implicit-def: $vgpr9
	s_or_b32 s0, vcc_lo, s0
	s_delay_alu instid0(SALU_CYCLE_1) | instskip(NEXT) | instid1(SALU_CYCLE_1)
	s_and_b32 vcc_lo, s1, s0
	s_xor_b32 s0, vcc_lo, -1
	s_delay_alu instid0(SALU_CYCLE_1) | instskip(NEXT) | instid1(SALU_CYCLE_1)
	s_and_saveexec_b32 s1, s0
	s_xor_b32 s0, exec_lo, s1
	s_cbranch_execz .LBB128_102
; %bb.101:
	ds_load_u8 v9, v13 offset:1
	v_mov_b32_e32 v8, v7
                                        ; implicit-def: $vgpr12
.LBB128_102:
	s_and_not1_saveexec_b32 s0, s0
	s_cbranch_execz .LBB128_104
; %bb.103:
	ds_load_u8 v8, v12 offset:1
	s_waitcnt lgkmcnt(1)
	v_mov_b32_e32 v9, v6
.LBB128_104:
	s_or_b32 exec_lo, exec_lo, s0
	v_add_nc_u32_e32 v12, 1, v11
	v_add_nc_u32_e32 v14, 1, v10
	s_waitcnt lgkmcnt(0)
	v_and_b32_e32 v15, 0xff, v9
	s_delay_alu instid0(VALU_DEP_2) | instskip(SKIP_1) | instid1(VALU_DEP_2)
	v_dual_cndmask_b32 v13, v12, v11 :: v_dual_cndmask_b32 v12, v10, v14
	v_and_b32_e32 v11, 0xff, v8
                                        ; implicit-def: $vgpr10
	v_cmp_ge_i32_e64 s0, v13, v5
	s_delay_alu instid0(VALU_DEP_3) | instskip(NEXT) | instid1(VALU_DEP_3)
	v_cmp_lt_i32_e64 s2, v12, v4
	v_cmp_lt_u16_e64 s1, v11, v15
	s_delay_alu instid0(VALU_DEP_1)
	s_or_b32 s0, s0, s1
	s_delay_alu instid0(VALU_DEP_2) | instid1(SALU_CYCLE_1)
	s_and_b32 s0, s2, s0
	s_delay_alu instid0(SALU_CYCLE_1) | instskip(NEXT) | instid1(SALU_CYCLE_1)
	s_xor_b32 s1, s0, -1
	s_and_saveexec_b32 s2, s1
	s_delay_alu instid0(SALU_CYCLE_1)
	s_xor_b32 s1, exec_lo, s2
	s_cbranch_execz .LBB128_106
; %bb.105:
	v_add_nc_u32_e32 v10, v0, v13
	ds_load_u8 v10, v10 offset:1
.LBB128_106:
	s_or_saveexec_b32 s1, s1
	v_mov_b32_e32 v11, v8
	s_xor_b32 exec_lo, exec_lo, s1
	s_cbranch_execz .LBB128_108
; %bb.107:
	s_waitcnt lgkmcnt(0)
	v_add_nc_u32_e32 v10, v0, v12
	ds_load_u8 v11, v10 offset:1
	v_mov_b32_e32 v10, v9
.LBB128_108:
	s_or_b32 exec_lo, exec_lo, s1
	v_add_nc_u32_e32 v14, 1, v13
	v_add_nc_u32_e32 v16, 1, v12
	s_waitcnt lgkmcnt(0)
	v_and_b32_e32 v17, 0xff, v10
	s_delay_alu instid0(VALU_DEP_3) | instskip(SKIP_2) | instid1(VALU_DEP_3)
	v_cndmask_b32_e64 v15, v14, v13, s0
	v_and_b32_e32 v13, 0xff, v11
	v_cndmask_b32_e64 v14, v12, v16, s0
                                        ; implicit-def: $vgpr12
	v_cmp_ge_i32_e64 s1, v15, v5
	s_delay_alu instid0(VALU_DEP_3) | instskip(NEXT) | instid1(VALU_DEP_3)
	v_cmp_lt_u16_e64 s2, v13, v17
	v_cmp_lt_i32_e64 s3, v14, v4
	s_delay_alu instid0(VALU_DEP_2)
	s_or_b32 s1, s1, s2
	s_delay_alu instid0(VALU_DEP_1) | instid1(SALU_CYCLE_1)
	s_and_b32 s1, s3, s1
	s_delay_alu instid0(SALU_CYCLE_1) | instskip(NEXT) | instid1(SALU_CYCLE_1)
	s_xor_b32 s2, s1, -1
	s_and_saveexec_b32 s3, s2
	s_delay_alu instid0(SALU_CYCLE_1)
	s_xor_b32 s2, exec_lo, s3
	s_cbranch_execz .LBB128_110
; %bb.109:
	v_add_nc_u32_e32 v12, v0, v15
	ds_load_u8 v12, v12 offset:1
.LBB128_110:
	s_or_saveexec_b32 s2, s2
	v_mov_b32_e32 v13, v11
	s_xor_b32 exec_lo, exec_lo, s2
	s_cbranch_execz .LBB128_112
; %bb.111:
	s_waitcnt lgkmcnt(0)
	v_add_nc_u32_e32 v12, v0, v14
	ds_load_u8 v13, v12 offset:1
	v_mov_b32_e32 v12, v10
.LBB128_112:
	s_or_b32 exec_lo, exec_lo, s2
	v_add_nc_u32_e32 v16, 1, v15
	v_add_nc_u32_e32 v18, 1, v14
	s_waitcnt lgkmcnt(0)
	v_and_b32_e32 v19, 0xff, v12
	s_delay_alu instid0(VALU_DEP_3) | instskip(SKIP_2) | instid1(VALU_DEP_3)
	v_cndmask_b32_e64 v17, v16, v15, s1
	v_and_b32_e32 v15, 0xff, v13
	v_cndmask_b32_e64 v16, v14, v18, s1
                                        ; implicit-def: $vgpr14
	v_cmp_ge_i32_e64 s2, v17, v5
	s_delay_alu instid0(VALU_DEP_3) | instskip(NEXT) | instid1(VALU_DEP_3)
	v_cmp_lt_u16_e64 s3, v15, v19
	v_cmp_lt_i32_e64 s4, v16, v4
	s_delay_alu instid0(VALU_DEP_2)
	s_or_b32 s2, s2, s3
	s_delay_alu instid0(VALU_DEP_1) | instid1(SALU_CYCLE_1)
	s_and_b32 s2, s4, s2
	s_delay_alu instid0(SALU_CYCLE_1) | instskip(NEXT) | instid1(SALU_CYCLE_1)
	s_xor_b32 s3, s2, -1
	s_and_saveexec_b32 s4, s3
	s_delay_alu instid0(SALU_CYCLE_1)
	s_xor_b32 s3, exec_lo, s4
	s_cbranch_execz .LBB128_114
; %bb.113:
	v_add_nc_u32_e32 v14, v0, v17
	ds_load_u8 v14, v14 offset:1
.LBB128_114:
	s_or_saveexec_b32 s3, s3
	v_mov_b32_e32 v15, v13
	s_xor_b32 exec_lo, exec_lo, s3
	s_cbranch_execz .LBB128_116
; %bb.115:
	s_waitcnt lgkmcnt(0)
	v_add_nc_u32_e32 v14, v0, v16
	ds_load_u8 v15, v14 offset:1
	v_mov_b32_e32 v14, v12
.LBB128_116:
	s_or_b32 exec_lo, exec_lo, s3
	v_add_nc_u32_e32 v18, 1, v17
	v_add_nc_u32_e32 v20, 1, v16
	s_waitcnt lgkmcnt(0)
	v_and_b32_e32 v21, 0xff, v14
	s_delay_alu instid0(VALU_DEP_3) | instskip(SKIP_2) | instid1(VALU_DEP_3)
	v_cndmask_b32_e64 v19, v18, v17, s2
	v_and_b32_e32 v17, 0xff, v15
	v_cndmask_b32_e64 v18, v16, v20, s2
                                        ; implicit-def: $vgpr16
	v_cmp_ge_i32_e64 s3, v19, v5
	s_delay_alu instid0(VALU_DEP_3) | instskip(NEXT) | instid1(VALU_DEP_3)
	v_cmp_lt_u16_e64 s4, v17, v21
	v_cmp_lt_i32_e64 s5, v18, v4
	s_delay_alu instid0(VALU_DEP_2)
	s_or_b32 s3, s3, s4
	s_delay_alu instid0(VALU_DEP_1) | instid1(SALU_CYCLE_1)
	s_and_b32 s3, s5, s3
	s_delay_alu instid0(SALU_CYCLE_1) | instskip(NEXT) | instid1(SALU_CYCLE_1)
	s_xor_b32 s4, s3, -1
	s_and_saveexec_b32 s5, s4
	s_delay_alu instid0(SALU_CYCLE_1)
	s_xor_b32 s4, exec_lo, s5
	s_cbranch_execz .LBB128_118
; %bb.117:
	v_add_nc_u32_e32 v16, v0, v19
	ds_load_u8 v16, v16 offset:1
.LBB128_118:
	s_or_saveexec_b32 s4, s4
	v_mov_b32_e32 v17, v15
	s_xor_b32 exec_lo, exec_lo, s4
	s_cbranch_execz .LBB128_120
; %bb.119:
	s_waitcnt lgkmcnt(0)
	v_add_nc_u32_e32 v16, v0, v18
	ds_load_u8 v17, v16 offset:1
	v_mov_b32_e32 v16, v14
.LBB128_120:
	s_or_b32 exec_lo, exec_lo, s4
	v_add_nc_u32_e32 v20, 1, v19
	v_add_nc_u32_e32 v22, 1, v18
	s_waitcnt lgkmcnt(0)
	v_and_b32_e32 v23, 0xff, v16
	s_delay_alu instid0(VALU_DEP_3) | instskip(SKIP_2) | instid1(VALU_DEP_3)
	v_cndmask_b32_e64 v21, v20, v19, s3
	v_and_b32_e32 v19, 0xff, v17
	v_cndmask_b32_e64 v20, v18, v22, s3
                                        ; implicit-def: $vgpr18
	v_cmp_ge_i32_e64 s4, v21, v5
	s_delay_alu instid0(VALU_DEP_3) | instskip(NEXT) | instid1(VALU_DEP_3)
	v_cmp_lt_u16_e64 s5, v19, v23
	v_cmp_lt_i32_e64 s6, v20, v4
	s_delay_alu instid0(VALU_DEP_2)
	s_or_b32 s4, s4, s5
	s_delay_alu instid0(VALU_DEP_1) | instid1(SALU_CYCLE_1)
	s_and_b32 s4, s6, s4
	s_delay_alu instid0(SALU_CYCLE_1) | instskip(NEXT) | instid1(SALU_CYCLE_1)
	s_xor_b32 s5, s4, -1
	s_and_saveexec_b32 s6, s5
	s_delay_alu instid0(SALU_CYCLE_1)
	s_xor_b32 s5, exec_lo, s6
	s_cbranch_execz .LBB128_122
; %bb.121:
	v_add_nc_u32_e32 v18, v0, v21
	ds_load_u8 v18, v18 offset:1
.LBB128_122:
	s_or_saveexec_b32 s5, s5
	v_mov_b32_e32 v19, v17
	s_xor_b32 exec_lo, exec_lo, s5
	s_cbranch_execz .LBB128_124
; %bb.123:
	s_waitcnt lgkmcnt(0)
	v_add_nc_u32_e32 v18, v0, v20
	ds_load_u8 v19, v18 offset:1
	v_mov_b32_e32 v18, v16
.LBB128_124:
	s_or_b32 exec_lo, exec_lo, s5
	v_add_nc_u32_e32 v22, 1, v21
	v_add_nc_u32_e32 v23, 1, v20
	s_waitcnt lgkmcnt(0)
	v_and_b32_e32 v24, 0xff, v18
	s_delay_alu instid0(VALU_DEP_3) | instskip(SKIP_2) | instid1(VALU_DEP_3)
	v_cndmask_b32_e64 v21, v22, v21, s4
	v_and_b32_e32 v22, 0xff, v19
	v_cndmask_b32_e64 v20, v20, v23, s4
	v_cmp_ge_i32_e64 s5, v21, v5
	s_delay_alu instid0(VALU_DEP_3) | instskip(NEXT) | instid1(VALU_DEP_3)
	v_cmp_lt_u16_e64 s6, v22, v24
	v_cmp_lt_i32_e64 s7, v20, v4
                                        ; implicit-def: $vgpr22
	s_delay_alu instid0(VALU_DEP_2)
	s_or_b32 s5, s5, s6
	s_delay_alu instid0(VALU_DEP_1) | instid1(SALU_CYCLE_1)
	s_and_b32 s5, s7, s5
	s_delay_alu instid0(SALU_CYCLE_1) | instskip(NEXT) | instid1(SALU_CYCLE_1)
	s_xor_b32 s6, s5, -1
	s_and_saveexec_b32 s7, s6
	s_delay_alu instid0(SALU_CYCLE_1)
	s_xor_b32 s6, exec_lo, s7
	s_cbranch_execz .LBB128_126
; %bb.125:
	v_add_nc_u32_e32 v22, v0, v21
	ds_load_u8 v22, v22 offset:1
.LBB128_126:
	s_or_saveexec_b32 s6, s6
	v_mov_b32_e32 v23, v19
	s_xor_b32 exec_lo, exec_lo, s6
	s_cbranch_execz .LBB128_128
; %bb.127:
	s_waitcnt lgkmcnt(0)
	v_add_nc_u32_e32 v22, v0, v20
	ds_load_u8 v23, v22 offset:1
	v_mov_b32_e32 v22, v18
.LBB128_128:
	s_or_b32 exec_lo, exec_lo, s6
	v_add_nc_u32_e32 v24, 1, v21
	v_cndmask_b32_e64 v18, v18, v19, s5
	v_dual_cndmask_b32 v6, v6, v7 :: v_dual_add_nc_u32 v19, 1, v20
	s_waitcnt lgkmcnt(0)
	v_and_b32_e32 v25, 0xff, v22
	v_and_b32_e32 v26, 0xff, v23
	v_cndmask_b32_e64 v21, v24, v21, s5
	v_cndmask_b32_e64 v16, v16, v17, s4
	v_cndmask_b32_e64 v17, v20, v19, s5
	v_cndmask_b32_e64 v14, v14, v15, s3
	v_cmp_lt_u16_e64 s3, v26, v25
	v_cmp_ge_i32_e64 s4, v21, v5
	v_cndmask_b32_e64 v5, v12, v13, s2
	v_cmp_lt_i32_e64 s2, v17, v4
	v_cndmask_b32_e64 v4, v9, v8, s0
	v_cndmask_b32_e64 v7, v10, v11, s1
	s_or_b32 s0, s4, s3
	v_and_b32_e32 v2, 0xf8, v2
	s_and_b32 vcc_lo, s2, s0
	v_lshlrev_b16 v4, 8, v4
	v_cndmask_b32_e32 v8, v22, v23, vcc_lo
	v_and_b32_e32 v6, 0xff, v6
	v_lshlrev_b16 v5, 8, v5
	v_lshlrev_b16 v9, 8, v16
	v_and_b32_e32 v10, 0xff, v14
	v_and_b32_e32 v11, 0xff, v18
	v_lshlrev_b16 v8, 8, v8
	v_cmp_lt_i32_e32 vcc_lo, 0x7f, v2
	v_and_b32_e32 v7, 0xff, v7
	v_or_b32_e32 v4, v6, v4
	v_or_b32_e32 v6, v10, v9
	s_mov_b32 s0, exec_lo
	s_delay_alu instid0(VALU_DEP_3)
	v_or_b32_e32 v5, v7, v5
	v_or_b32_e32 v7, v11, v8
	v_and_b32_e32 v8, 0xffff, v4
	v_add_nc_u32_e32 v4, 0xffffff80, v2
	v_and_b32_e32 v9, 0xffff, v6
	v_lshlrev_b32_e32 v5, 16, v5
	v_lshlrev_b32_e32 v10, 16, v7
	; wave barrier
	s_delay_alu instid0(VALU_DEP_4) | instskip(SKIP_1) | instid1(VALU_DEP_4)
	v_cndmask_b32_e32 v6, 0, v4, vcc_lo
	v_min_i32_e32 v4, 0x80, v2
	v_or_b32_e32 v7, v8, v5
	s_delay_alu instid0(VALU_DEP_4)
	v_or_b32_e32 v8, v9, v10
	ds_store_b64 v3, v[7:8]
	; wave barrier
	v_cmpx_lt_i32_e64 v6, v4
	s_cbranch_execz .LBB128_132
; %bb.129:
	v_add3_u32 v3, 0x80, v0, v2
	s_mov_b32 s1, 0
	.p2align	6
.LBB128_130:                            ; =>This Inner Loop Header: Depth=1
	v_sub_nc_u32_e32 v5, v4, v6
	s_delay_alu instid0(VALU_DEP_1) | instskip(NEXT) | instid1(VALU_DEP_1)
	v_lshrrev_b32_e32 v7, 31, v5
	v_add_nc_u32_e32 v5, v5, v7
	s_delay_alu instid0(VALU_DEP_1) | instskip(NEXT) | instid1(VALU_DEP_1)
	v_ashrrev_i32_e32 v5, 1, v5
	v_add_nc_u32_e32 v5, v5, v6
	s_delay_alu instid0(VALU_DEP_1)
	v_add_nc_u32_e32 v9, 1, v5
	v_add_nc_u32_e32 v7, v0, v5
	v_xad_u32 v8, v5, -1, v3
	ds_load_u8 v7, v7
	ds_load_u8 v8, v8
	s_waitcnt lgkmcnt(0)
	v_cmp_lt_u16_e32 vcc_lo, v8, v7
	v_cndmask_b32_e32 v6, v9, v6, vcc_lo
	v_cndmask_b32_e32 v4, v4, v5, vcc_lo
	s_delay_alu instid0(VALU_DEP_1) | instskip(SKIP_1) | instid1(SALU_CYCLE_1)
	v_cmp_ge_i32_e32 vcc_lo, v6, v4
	s_or_b32 s1, vcc_lo, s1
	s_and_not1_b32 exec_lo, exec_lo, s1
	s_cbranch_execnz .LBB128_130
; %bb.131:
	s_or_b32 exec_lo, exec_lo, s1
.LBB128_132:
	s_delay_alu instid0(SALU_CYCLE_1) | instskip(SKIP_3) | instid1(VALU_DEP_3)
	s_or_b32 exec_lo, exec_lo, s0
	v_add_nc_u32_e32 v2, 0x80, v2
	v_add_nc_u32_e32 v9, v0, v6
	v_cmp_le_i32_e32 vcc_lo, 0x80, v6
	v_sub_nc_u32_e32 v7, v2, v6
	s_delay_alu instid0(VALU_DEP_1)
	v_add_nc_u32_e32 v8, v0, v7
	v_cmp_gt_i32_e64 s1, 0x100, v7
	ds_load_u8 v2, v9
	ds_load_u8 v3, v8
	s_waitcnt lgkmcnt(1)
	v_and_b32_e32 v4, 0xff, v2
	s_waitcnt lgkmcnt(0)
	v_and_b32_e32 v5, 0xff, v3
	s_delay_alu instid0(VALU_DEP_1) | instskip(NEXT) | instid1(VALU_DEP_1)
	v_cmp_lt_u16_e64 s0, v5, v4
                                        ; implicit-def: $vgpr4
                                        ; implicit-def: $vgpr5
	s_or_b32 s0, vcc_lo, s0
	s_delay_alu instid0(SALU_CYCLE_1) | instskip(NEXT) | instid1(SALU_CYCLE_1)
	s_and_b32 vcc_lo, s1, s0
	s_xor_b32 s0, vcc_lo, -1
	s_delay_alu instid0(SALU_CYCLE_1) | instskip(NEXT) | instid1(SALU_CYCLE_1)
	s_and_saveexec_b32 s1, s0
	s_xor_b32 s0, exec_lo, s1
	s_cbranch_execz .LBB128_134
; %bb.133:
	ds_load_u8 v5, v9 offset:1
	v_mov_b32_e32 v4, v3
                                        ; implicit-def: $vgpr8
.LBB128_134:
	s_and_not1_saveexec_b32 s0, s0
	s_cbranch_execz .LBB128_136
; %bb.135:
	ds_load_u8 v4, v8 offset:1
	s_waitcnt lgkmcnt(1)
	v_mov_b32_e32 v5, v2
.LBB128_136:
	s_or_b32 exec_lo, exec_lo, s0
	v_add_nc_u32_e32 v8, 1, v6
	v_add_nc_u32_e32 v10, 1, v7
	s_waitcnt lgkmcnt(0)
	v_and_b32_e32 v11, 0xff, v5
	s_delay_alu instid0(VALU_DEP_3) | instskip(NEXT) | instid1(VALU_DEP_3)
	v_cndmask_b32_e32 v9, v8, v6, vcc_lo
	v_cndmask_b32_e32 v8, v7, v10, vcc_lo
	v_and_b32_e32 v6, 0xff, v4
	s_delay_alu instid0(VALU_DEP_3) | instskip(NEXT) | instid1(VALU_DEP_3)
	v_cmp_le_i32_e64 s0, 0x80, v9
	v_cmp_gt_i32_e64 s2, 0x100, v8
	s_delay_alu instid0(VALU_DEP_3) | instskip(NEXT) | instid1(VALU_DEP_1)
	v_cmp_lt_u16_e64 s1, v6, v11
                                        ; implicit-def: $vgpr6
	s_or_b32 s0, s0, s1
	s_delay_alu instid0(VALU_DEP_2) | instid1(SALU_CYCLE_1)
	s_and_b32 s0, s2, s0
	s_delay_alu instid0(SALU_CYCLE_1) | instskip(NEXT) | instid1(SALU_CYCLE_1)
	s_xor_b32 s1, s0, -1
	s_and_saveexec_b32 s2, s1
	s_delay_alu instid0(SALU_CYCLE_1)
	s_xor_b32 s1, exec_lo, s2
	s_cbranch_execz .LBB128_138
; %bb.137:
	v_add_nc_u32_e32 v6, v0, v9
	ds_load_u8 v6, v6 offset:1
.LBB128_138:
	s_or_saveexec_b32 s1, s1
	v_mov_b32_e32 v7, v4
	s_xor_b32 exec_lo, exec_lo, s1
	s_cbranch_execz .LBB128_140
; %bb.139:
	s_waitcnt lgkmcnt(0)
	v_add_nc_u32_e32 v6, v0, v8
	ds_load_u8 v7, v6 offset:1
	v_mov_b32_e32 v6, v5
.LBB128_140:
	s_or_b32 exec_lo, exec_lo, s1
	v_add_nc_u32_e32 v10, 1, v9
	v_add_nc_u32_e32 v12, 1, v8
	s_waitcnt lgkmcnt(0)
	v_and_b32_e32 v13, 0xff, v6
	s_delay_alu instid0(VALU_DEP_3) | instskip(SKIP_2) | instid1(VALU_DEP_3)
	v_cndmask_b32_e64 v11, v10, v9, s0
	v_and_b32_e32 v9, 0xff, v7
	v_cndmask_b32_e64 v10, v8, v12, s0
                                        ; implicit-def: $vgpr8
	v_cmp_le_i32_e64 s1, 0x80, v11
	s_delay_alu instid0(VALU_DEP_3) | instskip(NEXT) | instid1(VALU_DEP_3)
	v_cmp_lt_u16_e64 s2, v9, v13
	v_cmp_gt_i32_e64 s3, 0x100, v10
	s_delay_alu instid0(VALU_DEP_2)
	s_or_b32 s1, s1, s2
	s_delay_alu instid0(VALU_DEP_1) | instid1(SALU_CYCLE_1)
	s_and_b32 s1, s3, s1
	s_delay_alu instid0(SALU_CYCLE_1) | instskip(NEXT) | instid1(SALU_CYCLE_1)
	s_xor_b32 s2, s1, -1
	s_and_saveexec_b32 s3, s2
	s_delay_alu instid0(SALU_CYCLE_1)
	s_xor_b32 s2, exec_lo, s3
	s_cbranch_execz .LBB128_142
; %bb.141:
	v_add_nc_u32_e32 v8, v0, v11
	ds_load_u8 v8, v8 offset:1
.LBB128_142:
	s_or_saveexec_b32 s2, s2
	v_mov_b32_e32 v9, v7
	s_xor_b32 exec_lo, exec_lo, s2
	s_cbranch_execz .LBB128_144
; %bb.143:
	s_waitcnt lgkmcnt(0)
	v_add_nc_u32_e32 v8, v0, v10
	ds_load_u8 v9, v8 offset:1
	v_mov_b32_e32 v8, v6
.LBB128_144:
	s_or_b32 exec_lo, exec_lo, s2
	v_add_nc_u32_e32 v12, 1, v11
	v_add_nc_u32_e32 v14, 1, v10
	s_waitcnt lgkmcnt(0)
	v_and_b32_e32 v15, 0xff, v8
	s_delay_alu instid0(VALU_DEP_3) | instskip(SKIP_2) | instid1(VALU_DEP_3)
	v_cndmask_b32_e64 v13, v12, v11, s1
	v_and_b32_e32 v11, 0xff, v9
	v_cndmask_b32_e64 v12, v10, v14, s1
                                        ; implicit-def: $vgpr10
	v_cmp_le_i32_e64 s2, 0x80, v13
	s_delay_alu instid0(VALU_DEP_3) | instskip(NEXT) | instid1(VALU_DEP_3)
	v_cmp_lt_u16_e64 s3, v11, v15
	v_cmp_gt_i32_e64 s4, 0x100, v12
	s_delay_alu instid0(VALU_DEP_2)
	s_or_b32 s2, s2, s3
	s_delay_alu instid0(VALU_DEP_1) | instid1(SALU_CYCLE_1)
	s_and_b32 s2, s4, s2
	s_delay_alu instid0(SALU_CYCLE_1) | instskip(NEXT) | instid1(SALU_CYCLE_1)
	s_xor_b32 s3, s2, -1
	s_and_saveexec_b32 s4, s3
	s_delay_alu instid0(SALU_CYCLE_1)
	s_xor_b32 s3, exec_lo, s4
	s_cbranch_execz .LBB128_146
; %bb.145:
	v_add_nc_u32_e32 v10, v0, v13
	ds_load_u8 v10, v10 offset:1
.LBB128_146:
	s_or_saveexec_b32 s3, s3
	v_mov_b32_e32 v11, v9
	s_xor_b32 exec_lo, exec_lo, s3
	s_cbranch_execz .LBB128_148
; %bb.147:
	s_waitcnt lgkmcnt(0)
	v_add_nc_u32_e32 v10, v0, v12
	ds_load_u8 v11, v10 offset:1
	v_mov_b32_e32 v10, v8
.LBB128_148:
	s_or_b32 exec_lo, exec_lo, s3
	v_add_nc_u32_e32 v14, 1, v13
	v_add_nc_u32_e32 v16, 1, v12
	s_waitcnt lgkmcnt(0)
	v_and_b32_e32 v17, 0xff, v10
	s_delay_alu instid0(VALU_DEP_3) | instskip(SKIP_2) | instid1(VALU_DEP_3)
	v_cndmask_b32_e64 v15, v14, v13, s2
	v_and_b32_e32 v13, 0xff, v11
	v_cndmask_b32_e64 v14, v12, v16, s2
                                        ; implicit-def: $vgpr12
	v_cmp_le_i32_e64 s3, 0x80, v15
	s_delay_alu instid0(VALU_DEP_3) | instskip(NEXT) | instid1(VALU_DEP_3)
	v_cmp_lt_u16_e64 s4, v13, v17
	v_cmp_gt_i32_e64 s5, 0x100, v14
	s_delay_alu instid0(VALU_DEP_2)
	s_or_b32 s3, s3, s4
	s_delay_alu instid0(VALU_DEP_1) | instid1(SALU_CYCLE_1)
	s_and_b32 s3, s5, s3
	s_delay_alu instid0(SALU_CYCLE_1) | instskip(NEXT) | instid1(SALU_CYCLE_1)
	s_xor_b32 s4, s3, -1
	s_and_saveexec_b32 s5, s4
	s_delay_alu instid0(SALU_CYCLE_1)
	s_xor_b32 s4, exec_lo, s5
	s_cbranch_execz .LBB128_150
; %bb.149:
	v_add_nc_u32_e32 v12, v0, v15
	ds_load_u8 v12, v12 offset:1
.LBB128_150:
	s_or_saveexec_b32 s4, s4
	v_mov_b32_e32 v13, v11
	s_xor_b32 exec_lo, exec_lo, s4
	s_cbranch_execz .LBB128_152
; %bb.151:
	s_waitcnt lgkmcnt(0)
	v_add_nc_u32_e32 v12, v0, v14
	ds_load_u8 v13, v12 offset:1
	v_mov_b32_e32 v12, v10
.LBB128_152:
	s_or_b32 exec_lo, exec_lo, s4
	v_add_nc_u32_e32 v16, 1, v15
	v_add_nc_u32_e32 v18, 1, v14
	s_waitcnt lgkmcnt(0)
	v_and_b32_e32 v19, 0xff, v12
	s_delay_alu instid0(VALU_DEP_3) | instskip(SKIP_2) | instid1(VALU_DEP_3)
	v_cndmask_b32_e64 v17, v16, v15, s3
	v_and_b32_e32 v15, 0xff, v13
	v_cndmask_b32_e64 v16, v14, v18, s3
	v_cmp_le_i32_e64 s4, 0x80, v17
	s_delay_alu instid0(VALU_DEP_3) | instskip(NEXT) | instid1(VALU_DEP_3)
	v_cmp_lt_u16_e64 s5, v15, v19
	v_cmp_gt_i32_e64 s6, 0x100, v16
                                        ; implicit-def: $vgpr15
	s_delay_alu instid0(VALU_DEP_2)
	s_or_b32 s4, s4, s5
	s_delay_alu instid0(VALU_DEP_1) | instid1(SALU_CYCLE_1)
	s_and_b32 s4, s6, s4
	s_delay_alu instid0(SALU_CYCLE_1) | instskip(NEXT) | instid1(SALU_CYCLE_1)
	s_xor_b32 s5, s4, -1
	s_and_saveexec_b32 s6, s5
	s_delay_alu instid0(SALU_CYCLE_1)
	s_xor_b32 s5, exec_lo, s6
	s_cbranch_execz .LBB128_154
; %bb.153:
	v_add_nc_u32_e32 v14, v0, v17
	ds_load_u8 v15, v14 offset:1
.LBB128_154:
	s_or_saveexec_b32 s5, s5
	v_mov_b32_e32 v14, v13
	s_xor_b32 exec_lo, exec_lo, s5
	s_cbranch_execz .LBB128_156
; %bb.155:
	v_add_nc_u32_e32 v14, v0, v16
	s_waitcnt lgkmcnt(0)
	v_mov_b32_e32 v15, v12
	ds_load_u8 v14, v14 offset:1
.LBB128_156:
	s_or_b32 exec_lo, exec_lo, s5
	v_add_nc_u32_e32 v18, 1, v17
	v_add_nc_u32_e32 v19, 1, v16
	s_waitcnt lgkmcnt(0)
	v_and_b32_e32 v21, 0xff, v15
	s_delay_alu instid0(VALU_DEP_3) | instskip(SKIP_2) | instid1(VALU_DEP_3)
	v_cndmask_b32_e64 v20, v18, v17, s4
	v_and_b32_e32 v17, 0xff, v14
	v_cndmask_b32_e64 v16, v16, v19, s4
                                        ; implicit-def: $vgpr19
	v_cmp_gt_i32_e64 s5, 0x80, v20
	s_delay_alu instid0(VALU_DEP_3) | instskip(NEXT) | instid1(VALU_DEP_3)
	v_cmp_ge_u16_e64 s6, v17, v21
	v_cmp_le_i32_e64 s7, 0x100, v16
                                        ; implicit-def: $vgpr17
	s_delay_alu instid0(VALU_DEP_2)
	s_and_b32 s5, s5, s6
	s_delay_alu instid0(VALU_DEP_1) | instid1(SALU_CYCLE_1)
	s_or_b32 s5, s7, s5
	s_delay_alu instid0(SALU_CYCLE_1) | instskip(NEXT) | instid1(SALU_CYCLE_1)
	s_and_saveexec_b32 s6, s5
	s_xor_b32 s5, exec_lo, s6
	s_cbranch_execz .LBB128_158
; %bb.157:
	v_add_nc_u32_e32 v0, v0, v20
	v_add_nc_u32_e32 v19, 1, v20
                                        ; implicit-def: $vgpr20
	ds_load_u8 v17, v0 offset:1
                                        ; implicit-def: $vgpr0
.LBB128_158:
	s_or_saveexec_b32 s5, s5
	v_mov_b32_e32 v18, v15
	s_xor_b32 exec_lo, exec_lo, s5
	s_cbranch_execz .LBB128_160
; %bb.159:
	s_waitcnt lgkmcnt(0)
	v_dual_mov_b32 v17, v15 :: v_dual_add_nc_u32 v0, v0, v16
	v_dual_mov_b32 v19, v20 :: v_dual_add_nc_u32 v16, 1, v16
	v_mov_b32_e32 v18, v14
	ds_load_u8 v0, v0 offset:1
	s_waitcnt lgkmcnt(0)
	v_mov_b32_e32 v14, v0
.LBB128_160:
	s_or_b32 exec_lo, exec_lo, s5
	s_waitcnt lgkmcnt(0)
	v_and_b32_e32 v0, 0xff, v17
	s_delay_alu instid0(VALU_DEP_2) | instskip(SKIP_3) | instid1(VALU_DEP_4)
	v_dual_cndmask_b32 v2, v2, v3 :: v_dual_and_b32 v15, 0xff, v14
	v_cndmask_b32_e64 v12, v12, v13, s4
	v_cndmask_b32_e64 v10, v10, v11, s3
	v_cmp_le_i32_e64 s3, 0x80, v19
	v_cmp_lt_u16_e64 s4, v15, v0
	v_cndmask_b32_e64 v0, v8, v9, s2
	v_cmp_gt_i32_e64 s2, 0x100, v16
	v_cndmask_b32_e64 v4, v5, v4, s0
	v_cndmask_b32_e64 v3, v6, v7, s1
	s_or_b32 s0, s3, s4
	v_and_b32_e32 v2, 0xff, v2
	s_and_b32 vcc_lo, s2, s0
	v_lshlrev_b16 v4, 8, v4
	v_cndmask_b32_e32 v5, v17, v14, vcc_lo
	v_lshlrev_b16 v0, 8, v0
	v_and_b32_e32 v3, 0xff, v3
	v_lshlrev_b16 v6, 8, v12
	v_and_b32_e32 v7, 0xff, v10
	;; [unrolled: 2-line block ×3, first 2 shown]
	v_or_b32_e32 v2, v2, v4
	v_or_b32_e32 v0, v3, v0
	;; [unrolled: 1-line block ×3, first 2 shown]
	s_add_u32 s0, s10, s12
	v_or_b32_e32 v4, v8, v5
	v_and_b32_e32 v2, 0xffff, v2
	v_lshlrev_b32_e32 v5, 16, v0
	v_and_b32_e32 v3, 0xffff, v3
	s_addc_u32 s1, s11, 0
	v_lshlrev_b32_e32 v4, 16, v4
	v_add_co_u32 v0, s0, s0, v1
	s_delay_alu instid0(VALU_DEP_1) | instskip(SKIP_1) | instid1(VALU_DEP_4)
	v_add_co_ci_u32_e64 v1, null, s1, 0, s0
	v_or_b32_e32 v2, v2, v5
	v_or_b32_e32 v3, v3, v4
	global_store_b64 v[0:1], v[2:3], off
	s_nop 0
	s_sendmsg sendmsg(MSG_DEALLOC_VGPRS)
	s_endpgm
	.section	.rodata,"a",@progbits
	.p2align	6, 0x0
	.amdhsa_kernel _Z9sort_keysILj256ELj32ELj8EhN10test_utils4lessEEvPKT2_PS2_T3_
		.amdhsa_group_segment_fixed_size 2056
		.amdhsa_private_segment_fixed_size 0
		.amdhsa_kernarg_size 20
		.amdhsa_user_sgpr_count 15
		.amdhsa_user_sgpr_dispatch_ptr 0
		.amdhsa_user_sgpr_queue_ptr 0
		.amdhsa_user_sgpr_kernarg_segment_ptr 1
		.amdhsa_user_sgpr_dispatch_id 0
		.amdhsa_user_sgpr_private_segment_size 0
		.amdhsa_wavefront_size32 1
		.amdhsa_uses_dynamic_stack 0
		.amdhsa_enable_private_segment 0
		.amdhsa_system_sgpr_workgroup_id_x 1
		.amdhsa_system_sgpr_workgroup_id_y 0
		.amdhsa_system_sgpr_workgroup_id_z 0
		.amdhsa_system_sgpr_workgroup_info 0
		.amdhsa_system_vgpr_workitem_id 0
		.amdhsa_next_free_vgpr 27
		.amdhsa_next_free_sgpr 16
		.amdhsa_reserve_vcc 1
		.amdhsa_float_round_mode_32 0
		.amdhsa_float_round_mode_16_64 0
		.amdhsa_float_denorm_mode_32 3
		.amdhsa_float_denorm_mode_16_64 3
		.amdhsa_dx10_clamp 1
		.amdhsa_ieee_mode 1
		.amdhsa_fp16_overflow 0
		.amdhsa_workgroup_processor_mode 1
		.amdhsa_memory_ordered 1
		.amdhsa_forward_progress 0
		.amdhsa_shared_vgpr_count 0
		.amdhsa_exception_fp_ieee_invalid_op 0
		.amdhsa_exception_fp_denorm_src 0
		.amdhsa_exception_fp_ieee_div_zero 0
		.amdhsa_exception_fp_ieee_overflow 0
		.amdhsa_exception_fp_ieee_underflow 0
		.amdhsa_exception_fp_ieee_inexact 0
		.amdhsa_exception_int_div_zero 0
	.end_amdhsa_kernel
	.section	.text._Z9sort_keysILj256ELj32ELj8EhN10test_utils4lessEEvPKT2_PS2_T3_,"axG",@progbits,_Z9sort_keysILj256ELj32ELj8EhN10test_utils4lessEEvPKT2_PS2_T3_,comdat
.Lfunc_end128:
	.size	_Z9sort_keysILj256ELj32ELj8EhN10test_utils4lessEEvPKT2_PS2_T3_, .Lfunc_end128-_Z9sort_keysILj256ELj32ELj8EhN10test_utils4lessEEvPKT2_PS2_T3_
                                        ; -- End function
	.section	.AMDGPU.csdata,"",@progbits
; Kernel info:
; codeLenInByte = 10248
; NumSgprs: 18
; NumVgprs: 27
; ScratchSize: 0
; MemoryBound: 0
; FloatMode: 240
; IeeeMode: 1
; LDSByteSize: 2056 bytes/workgroup (compile time only)
; SGPRBlocks: 2
; VGPRBlocks: 3
; NumSGPRsForWavesPerEU: 18
; NumVGPRsForWavesPerEU: 27
; Occupancy: 16
; WaveLimiterHint : 0
; COMPUTE_PGM_RSRC2:SCRATCH_EN: 0
; COMPUTE_PGM_RSRC2:USER_SGPR: 15
; COMPUTE_PGM_RSRC2:TRAP_HANDLER: 0
; COMPUTE_PGM_RSRC2:TGID_X_EN: 1
; COMPUTE_PGM_RSRC2:TGID_Y_EN: 0
; COMPUTE_PGM_RSRC2:TGID_Z_EN: 0
; COMPUTE_PGM_RSRC2:TIDIG_COMP_CNT: 0
	.section	.text._Z10sort_pairsILj256ELj32ELj8EhN10test_utils4lessEEvPKT2_PS2_T3_,"axG",@progbits,_Z10sort_pairsILj256ELj32ELj8EhN10test_utils4lessEEvPKT2_PS2_T3_,comdat
	.protected	_Z10sort_pairsILj256ELj32ELj8EhN10test_utils4lessEEvPKT2_PS2_T3_ ; -- Begin function _Z10sort_pairsILj256ELj32ELj8EhN10test_utils4lessEEvPKT2_PS2_T3_
	.globl	_Z10sort_pairsILj256ELj32ELj8EhN10test_utils4lessEEvPKT2_PS2_T3_
	.p2align	8
	.type	_Z10sort_pairsILj256ELj32ELj8EhN10test_utils4lessEEvPKT2_PS2_T3_,@function
_Z10sort_pairsILj256ELj32ELj8EhN10test_utils4lessEEvPKT2_PS2_T3_: ; @_Z10sort_pairsILj256ELj32ELj8EhN10test_utils4lessEEvPKT2_PS2_T3_
; %bb.0:
	s_load_b128 s[36:39], s[0:1], 0x0
	s_lshl_b32 s40, s15, 11
	v_lshlrev_b32_e32 v3, 3, v0
	v_lshrrev_b32_e32 v0, 5, v0
	s_mov_b32 s28, 0
	s_mov_b32 s29, exec_lo
	s_waitcnt lgkmcnt(0)
	s_add_u32 s0, s36, s40
	s_addc_u32 s1, s37, 0
	global_load_b64 v[1:2], v3, s[0:1]
	; wave barrier
	s_waitcnt vmcnt(0)
	v_lshrrev_b32_e32 v5, 8, v1
	v_and_b32_e32 v4, 0xff, v1
	v_perm_b32 v7, v1, v1, 0x3020405
	v_and_b32_e32 v11, 0xff, v2
	v_perm_b32 v10, v2, v2, 0x7060405
	v_and_b32_e32 v6, 0xff, v5
	s_delay_alu instid0(VALU_DEP_1) | instskip(SKIP_1) | instid1(VALU_DEP_1)
	v_cmp_lt_u16_e32 vcc_lo, v6, v4
	v_cndmask_b32_e32 v4, v1, v7, vcc_lo
	v_lshrrev_b32_e32 v7, 16, v4
	v_lshrrev_b32_e32 v9, 24, v4
	s_delay_alu instid0(VALU_DEP_2) | instskip(SKIP_1) | instid1(VALU_DEP_2)
	v_perm_b32 v6, 0, v7, 0xc0c0001
	v_and_b32_e32 v7, 0xff, v7
	v_lshlrev_b32_e32 v8, 16, v6
	v_lshrrev_b32_e32 v6, 8, v2
	s_delay_alu instid0(VALU_DEP_3) | instskip(NEXT) | instid1(VALU_DEP_3)
	v_cmp_lt_u16_e64 s0, v9, v7
	v_and_or_b32 v8, 0xffff, v4, v8
	s_delay_alu instid0(VALU_DEP_3) | instskip(NEXT) | instid1(VALU_DEP_2)
	v_and_b32_e32 v12, 0xff, v6
	v_cndmask_b32_e64 v4, v4, v8, s0
	s_delay_alu instid0(VALU_DEP_2) | instskip(NEXT) | instid1(VALU_DEP_2)
	v_cmp_lt_u16_e64 s1, v12, v11
	v_lshrrev_b32_e32 v8, 16, v4
	s_delay_alu instid0(VALU_DEP_2) | instskip(SKIP_2) | instid1(VALU_DEP_4)
	v_cndmask_b32_e64 v7, v2, v10, s1
	v_lshrrev_b32_e32 v9, 8, v4
	v_perm_b32 v11, v4, v4, 0x7050604
	v_and_b32_e32 v8, 0xff, v8
	s_delay_alu instid0(VALU_DEP_4) | instskip(NEXT) | instid1(VALU_DEP_4)
	v_lshrrev_b32_e32 v10, 16, v7
	v_and_b32_e32 v9, 0xff, v9
	v_lshrrev_b32_e32 v12, 24, v7
	v_perm_b32 v13, v7, v7, 0x6070504
	s_delay_alu instid0(VALU_DEP_4) | instskip(NEXT) | instid1(VALU_DEP_4)
	v_and_b32_e32 v10, 0xff, v10
	v_cmp_lt_u16_e64 s3, v8, v9
	s_delay_alu instid0(VALU_DEP_2) | instskip(NEXT) | instid1(VALU_DEP_2)
	v_cmp_lt_u16_e64 s4, v12, v10
	v_cndmask_b32_e64 v4, v4, v11, s3
	s_delay_alu instid0(VALU_DEP_2) | instskip(NEXT) | instid1(VALU_DEP_2)
	v_cndmask_b32_e64 v7, v7, v13, s4
	v_lshrrev_b32_e32 v8, 16, v4
	v_lshrrev_b32_e32 v10, 24, v4
	s_delay_alu instid0(VALU_DEP_3) | instskip(NEXT) | instid1(VALU_DEP_3)
	v_lshlrev_b16 v9, 8, v7
	v_and_b32_e32 v8, 0xff, v8
	s_delay_alu instid0(VALU_DEP_1) | instskip(SKIP_1) | instid1(VALU_DEP_2)
	v_or_b32_e32 v8, v8, v9
	v_and_b32_e32 v9, 0xff, v7
	v_lshlrev_b32_e32 v8, 16, v8
	s_delay_alu instid0(VALU_DEP_2) | instskip(NEXT) | instid1(VALU_DEP_2)
	v_cmp_lt_u16_e64 s2, v9, v10
	v_and_or_b32 v8, 0xffff, v4, v8
	s_delay_alu instid0(VALU_DEP_1) | instskip(SKIP_1) | instid1(VALU_DEP_2)
	v_cndmask_b32_e64 v8, v4, v8, s2
	v_perm_b32 v4, v4, v7, 0x3020107
	v_lshrrev_b32_e32 v9, 8, v8
	v_perm_b32 v10, 0, v8, 0xc0c0001
	v_and_b32_e32 v11, 0xff, v8
	s_delay_alu instid0(VALU_DEP_4) | instskip(NEXT) | instid1(VALU_DEP_4)
	v_cndmask_b32_e64 v4, v7, v4, s2
	v_and_b32_e32 v9, 0xff, v9
	s_delay_alu instid0(VALU_DEP_4) | instskip(NEXT) | instid1(VALU_DEP_2)
	v_and_or_b32 v10, 0xffff0000, v8, v10
	v_cmp_lt_u16_e64 s5, v9, v11
	s_delay_alu instid0(VALU_DEP_4) | instskip(SKIP_1) | instid1(VALU_DEP_3)
	v_lshrrev_b32_e32 v9, 8, v4
	v_perm_b32 v11, v4, v4, 0x7050604
	v_cndmask_b32_e64 v7, v8, v10, s5
	v_lshrrev_b32_e32 v8, 16, v4
	s_delay_alu instid0(VALU_DEP_4) | instskip(NEXT) | instid1(VALU_DEP_3)
	v_and_b32_e32 v9, 0xff, v9
	v_lshrrev_b32_e32 v10, 16, v7
	s_delay_alu instid0(VALU_DEP_3) | instskip(NEXT) | instid1(VALU_DEP_2)
	v_and_b32_e32 v8, 0xff, v8
	v_perm_b32 v12, 0, v10, 0xc0c0001
	s_delay_alu instid0(VALU_DEP_2) | instskip(SKIP_2) | instid1(VALU_DEP_4)
	v_cmp_lt_u16_e64 s6, v8, v9
	v_lshrrev_b32_e32 v9, 24, v7
	v_and_b32_e32 v10, 0xff, v10
	v_lshlrev_b32_e32 v8, 16, v12
	s_delay_alu instid0(VALU_DEP_4) | instskip(NEXT) | instid1(VALU_DEP_3)
	v_cndmask_b32_e64 v4, v4, v11, s6
	v_cmp_lt_u16_e64 s9, v9, v10
	s_delay_alu instid0(VALU_DEP_3) | instskip(NEXT) | instid1(VALU_DEP_3)
	v_and_or_b32 v8, 0xffff, v7, v8
	v_lshrrev_b32_e32 v11, 8, v4
	v_and_b32_e32 v13, 0xff, v4
	v_perm_b32 v12, v4, v4, 0x7060405
	s_delay_alu instid0(VALU_DEP_4) | instskip(NEXT) | instid1(VALU_DEP_4)
	v_cndmask_b32_e64 v7, v7, v8, s9
	v_and_b32_e32 v11, 0xff, v11
	s_delay_alu instid0(VALU_DEP_2) | instskip(NEXT) | instid1(VALU_DEP_2)
	v_lshrrev_b32_e32 v8, 16, v7
	v_cmp_lt_u16_e64 s10, v11, v13
	v_lshrrev_b32_e32 v9, 8, v7
	v_perm_b32 v11, v7, v7, 0x7050604
	s_delay_alu instid0(VALU_DEP_4) | instskip(NEXT) | instid1(VALU_DEP_4)
	v_and_b32_e32 v8, 0xff, v8
	v_cndmask_b32_e64 v4, v4, v12, s10
	s_delay_alu instid0(VALU_DEP_4) | instskip(NEXT) | instid1(VALU_DEP_2)
	v_and_b32_e32 v9, 0xff, v9
	v_lshrrev_b32_e32 v10, 16, v4
	v_lshrrev_b32_e32 v12, 24, v4
	s_delay_alu instid0(VALU_DEP_3) | instskip(SKIP_1) | instid1(VALU_DEP_4)
	v_cmp_lt_u16_e64 s15, v8, v9
	v_perm_b32 v13, v4, v4, 0x6070504
	v_and_b32_e32 v10, 0xff, v10
	s_delay_alu instid0(VALU_DEP_3) | instskip(NEXT) | instid1(VALU_DEP_2)
	v_cndmask_b32_e64 v7, v7, v11, s15
	v_cmp_lt_u16_e64 s16, v12, v10
	s_delay_alu instid0(VALU_DEP_2) | instskip(SKIP_1) | instid1(VALU_DEP_3)
	v_lshrrev_b32_e32 v8, 16, v7
	v_lshrrev_b32_e32 v10, 24, v7
	v_cndmask_b32_e64 v4, v4, v13, s16
	s_delay_alu instid0(VALU_DEP_3) | instskip(NEXT) | instid1(VALU_DEP_2)
	v_and_b32_e32 v8, 0xff, v8
	v_lshlrev_b16 v9, 8, v4
	s_delay_alu instid0(VALU_DEP_1) | instskip(SKIP_1) | instid1(VALU_DEP_2)
	v_or_b32_e32 v8, v8, v9
	v_and_b32_e32 v9, 0xff, v4
	v_lshlrev_b32_e32 v8, 16, v8
	s_delay_alu instid0(VALU_DEP_2) | instskip(NEXT) | instid1(VALU_DEP_2)
	v_cmp_lt_u16_e64 s14, v9, v10
	v_and_or_b32 v8, 0xffff, v7, v8
	s_delay_alu instid0(VALU_DEP_1) | instskip(SKIP_1) | instid1(VALU_DEP_2)
	v_cndmask_b32_e64 v8, v7, v8, s14
	v_perm_b32 v7, v7, v4, 0x3020107
	v_lshrrev_b32_e32 v9, 8, v8
	v_perm_b32 v10, 0, v8, 0xc0c0001
	v_and_b32_e32 v11, 0xff, v8
	s_delay_alu instid0(VALU_DEP_4) | instskip(NEXT) | instid1(VALU_DEP_4)
	v_cndmask_b32_e64 v4, v4, v7, s14
	v_and_b32_e32 v9, 0xff, v9
	s_delay_alu instid0(VALU_DEP_4) | instskip(NEXT) | instid1(VALU_DEP_2)
	v_and_or_b32 v10, 0xffff0000, v8, v10
	v_cmp_lt_u16_e64 s18, v9, v11
	s_delay_alu instid0(VALU_DEP_4) | instskip(SKIP_1) | instid1(VALU_DEP_3)
	v_lshrrev_b32_e32 v9, 8, v4
	v_perm_b32 v11, v4, v4, 0x7050604
	v_cndmask_b32_e64 v7, v8, v10, s18
	v_lshrrev_b32_e32 v8, 16, v4
	s_delay_alu instid0(VALU_DEP_4) | instskip(NEXT) | instid1(VALU_DEP_3)
	v_and_b32_e32 v9, 0xff, v9
	v_lshrrev_b32_e32 v10, 16, v7
	s_delay_alu instid0(VALU_DEP_3) | instskip(NEXT) | instid1(VALU_DEP_2)
	v_and_b32_e32 v8, 0xff, v8
	v_perm_b32 v12, 0, v10, 0xc0c0001
	s_delay_alu instid0(VALU_DEP_2) | instskip(SKIP_2) | instid1(VALU_DEP_4)
	v_cmp_lt_u16_e64 s19, v8, v9
	v_lshrrev_b32_e32 v9, 24, v7
	v_and_b32_e32 v10, 0xff, v10
	v_lshlrev_b32_e32 v8, 16, v12
	s_delay_alu instid0(VALU_DEP_4) | instskip(NEXT) | instid1(VALU_DEP_3)
	v_cndmask_b32_e64 v4, v4, v11, s19
	v_cmp_lt_u16_e64 s22, v9, v10
	s_delay_alu instid0(VALU_DEP_3) | instskip(NEXT) | instid1(VALU_DEP_3)
	v_and_or_b32 v8, 0xffff, v7, v8
	v_lshrrev_b32_e32 v11, 8, v4
	v_and_b32_e32 v13, 0xff, v4
	v_perm_b32 v12, v4, v4, 0x7060405
	s_delay_alu instid0(VALU_DEP_4) | instskip(NEXT) | instid1(VALU_DEP_4)
	v_cndmask_b32_e64 v7, v7, v8, s22
	v_and_b32_e32 v11, 0xff, v11
	s_delay_alu instid0(VALU_DEP_2) | instskip(NEXT) | instid1(VALU_DEP_2)
	v_lshrrev_b32_e32 v8, 16, v7
	v_cmp_lt_u16_e64 s23, v11, v13
	v_lshrrev_b32_e32 v9, 8, v7
	v_perm_b32 v11, v7, v7, 0x7050604
	s_delay_alu instid0(VALU_DEP_4) | instskip(NEXT) | instid1(VALU_DEP_4)
	v_and_b32_e32 v8, 0xff, v8
	v_cndmask_b32_e64 v4, v4, v12, s23
	s_delay_alu instid0(VALU_DEP_4) | instskip(NEXT) | instid1(VALU_DEP_2)
	v_and_b32_e32 v9, 0xff, v9
	v_lshrrev_b32_e32 v10, 16, v4
	v_lshrrev_b32_e32 v12, 24, v4
	s_delay_alu instid0(VALU_DEP_3) | instskip(SKIP_1) | instid1(VALU_DEP_4)
	v_cmp_lt_u16_e64 s24, v8, v9
	v_perm_b32 v13, v4, v4, 0x6070504
	v_and_b32_e32 v10, 0xff, v10
	s_delay_alu instid0(VALU_DEP_3) | instskip(NEXT) | instid1(VALU_DEP_2)
	v_cndmask_b32_e64 v7, v7, v11, s24
	v_cmp_lt_u16_e64 s25, v12, v10
	s_delay_alu instid0(VALU_DEP_2) | instskip(SKIP_1) | instid1(VALU_DEP_3)
	v_lshrrev_b32_e32 v8, 16, v7
	v_lshrrev_b32_e32 v10, 24, v7
	v_cndmask_b32_e64 v4, v4, v13, s25
	s_delay_alu instid0(VALU_DEP_3) | instskip(NEXT) | instid1(VALU_DEP_2)
	v_and_b32_e32 v8, 0xff, v8
	v_lshlrev_b16 v9, 8, v4
	s_delay_alu instid0(VALU_DEP_1) | instskip(SKIP_1) | instid1(VALU_DEP_2)
	v_or_b32_e32 v8, v8, v9
	v_and_b32_e32 v9, 0xff, v4
	v_lshlrev_b32_e32 v8, 16, v8
	s_delay_alu instid0(VALU_DEP_2) | instskip(NEXT) | instid1(VALU_DEP_2)
	v_cmp_lt_u16_e64 s20, v9, v10
	v_and_or_b32 v8, 0xffff, v7, v8
	s_delay_alu instid0(VALU_DEP_1) | instskip(SKIP_1) | instid1(VALU_DEP_2)
	v_cndmask_b32_e64 v8, v7, v8, s20
	v_perm_b32 v7, v7, v4, 0x3020107
	v_lshrrev_b32_e32 v9, 8, v8
	v_perm_b32 v10, 0, v8, 0xc0c0001
	v_and_b32_e32 v11, 0xff, v8
	s_delay_alu instid0(VALU_DEP_4) | instskip(NEXT) | instid1(VALU_DEP_4)
	v_cndmask_b32_e64 v4, v4, v7, s20
	v_and_b32_e32 v9, 0xff, v9
	s_delay_alu instid0(VALU_DEP_4) | instskip(NEXT) | instid1(VALU_DEP_2)
	v_and_or_b32 v10, 0xffff0000, v8, v10
	v_cmp_lt_u16_e64 s26, v9, v11
	s_delay_alu instid0(VALU_DEP_4) | instskip(SKIP_1) | instid1(VALU_DEP_3)
	v_lshrrev_b32_e32 v9, 8, v4
	v_perm_b32 v11, v4, v4, 0x7050604
	v_cndmask_b32_e64 v7, v8, v10, s26
	v_lshrrev_b32_e32 v8, 16, v4
	s_delay_alu instid0(VALU_DEP_4) | instskip(NEXT) | instid1(VALU_DEP_3)
	v_and_b32_e32 v9, 0xff, v9
	v_lshrrev_b32_e32 v10, 16, v7
	s_delay_alu instid0(VALU_DEP_3) | instskip(NEXT) | instid1(VALU_DEP_2)
	v_and_b32_e32 v8, 0xff, v8
	v_perm_b32 v12, 0, v10, 0xc0c0001
	s_delay_alu instid0(VALU_DEP_2) | instskip(SKIP_2) | instid1(VALU_DEP_4)
	v_cmp_lt_u16_e64 s7, v8, v9
	v_lshrrev_b32_e32 v9, 24, v7
	v_and_b32_e32 v10, 0xff, v10
	v_lshlrev_b32_e32 v8, 16, v12
	s_delay_alu instid0(VALU_DEP_4) | instskip(NEXT) | instid1(VALU_DEP_3)
	v_cndmask_b32_e64 v4, v4, v11, s7
	v_cmp_lt_u16_e64 s11, v9, v10
	s_delay_alu instid0(VALU_DEP_3) | instskip(NEXT) | instid1(VALU_DEP_3)
	v_and_or_b32 v8, 0xffff, v7, v8
	v_lshrrev_b32_e32 v11, 8, v4
	v_and_b32_e32 v13, 0xff, v4
	v_perm_b32 v12, v4, v4, 0x7060405
	s_delay_alu instid0(VALU_DEP_4) | instskip(NEXT) | instid1(VALU_DEP_4)
	v_cndmask_b32_e64 v7, v7, v8, s11
	v_and_b32_e32 v11, 0xff, v11
	s_delay_alu instid0(VALU_DEP_2) | instskip(NEXT) | instid1(VALU_DEP_2)
	v_lshrrev_b32_e32 v8, 16, v7
	v_cmp_lt_u16_e64 s8, v11, v13
	v_lshrrev_b32_e32 v9, 8, v7
	v_perm_b32 v11, v7, v7, 0x7050604
	s_delay_alu instid0(VALU_DEP_4) | instskip(NEXT) | instid1(VALU_DEP_4)
	v_and_b32_e32 v8, 0xff, v8
	v_cndmask_b32_e64 v4, v4, v12, s8
	s_delay_alu instid0(VALU_DEP_4) | instskip(NEXT) | instid1(VALU_DEP_2)
	v_and_b32_e32 v9, 0xff, v9
	v_lshrrev_b32_e32 v10, 16, v4
	v_lshrrev_b32_e32 v12, 24, v4
	s_delay_alu instid0(VALU_DEP_3) | instskip(SKIP_3) | instid1(VALU_DEP_4)
	v_cmp_lt_u16_e64 s13, v8, v9
	v_perm_b32 v13, v4, v4, 0x6070504
	v_mbcnt_lo_u32_b32 v8, -1, 0
	v_and_b32_e32 v10, 0xff, v10
	v_cndmask_b32_e64 v11, v7, v11, s13
	s_delay_alu instid0(VALU_DEP_2) | instskip(NEXT) | instid1(VALU_DEP_2)
	v_cmp_lt_u16_e64 s12, v12, v10
	v_lshrrev_b32_e32 v12, 24, v11
	s_delay_alu instid0(VALU_DEP_2) | instskip(SKIP_1) | instid1(VALU_DEP_2)
	v_cndmask_b32_e64 v10, v4, v13, s12
	v_lshrrev_b32_e32 v4, 16, v11
	v_lshlrev_b16 v7, 8, v10
	s_delay_alu instid0(VALU_DEP_2) | instskip(SKIP_1) | instid1(VALU_DEP_2)
	v_and_b32_e32 v4, 0xff, v4
	v_perm_b32 v14, v11, v10, 0x3020107
	v_or_b32_e32 v7, v4, v7
	v_lshlrev_b32_e32 v4, 3, v8
	v_and_b32_e32 v8, 0xff, v10
	s_delay_alu instid0(VALU_DEP_3) | instskip(NEXT) | instid1(VALU_DEP_3)
	v_lshlrev_b32_e32 v7, 16, v7
	v_and_b32_e32 v9, 0xf0, v4
	s_delay_alu instid0(VALU_DEP_3)
	v_cmp_lt_u16_e64 s17, v8, v12
	v_mad_u32_u24 v16, 0x101, v0, v4
	v_mul_u32_u24_e32 v0, 0x101, v0
	v_and_or_b32 v13, 0xffff, v11, v7
	v_or_b32_e32 v8, 8, v9
	v_add_nc_u32_e32 v7, 16, v9
	v_cndmask_b32_e64 v14, v10, v14, s17
	v_and_b32_e32 v10, 8, v4
	v_cndmask_b32_e64 v13, v11, v13, s17
	v_sub_nc_u32_e32 v17, v8, v9
	v_sub_nc_u32_e32 v11, v7, v8
	v_lshrrev_b32_e32 v12, 16, v14
	v_lshrrev_b32_e32 v15, 8, v14
	v_perm_b32 v20, v14, v14, 0x7050604
	s_delay_alu instid0(VALU_DEP_4) | instskip(NEXT) | instid1(VALU_DEP_4)
	v_sub_nc_u32_e32 v18, v10, v11
	v_and_b32_e32 v19, 0xff, v12
	s_delay_alu instid0(VALU_DEP_4) | instskip(SKIP_2) | instid1(VALU_DEP_2)
	v_and_b32_e32 v15, 0xff, v15
	v_cmp_ge_i32_e64 s21, v10, v11
	v_min_i32_e32 v12, v10, v17
	v_cndmask_b32_e64 v11, 0, v18, s21
	s_delay_alu instid0(VALU_DEP_4) | instskip(NEXT) | instid1(VALU_DEP_1)
	v_cmp_lt_u16_e64 s21, v19, v15
	v_cndmask_b32_e64 v14, v14, v20, s21
	ds_store_b64 v16, v[13:14]
	; wave barrier
	v_cmpx_lt_i32_e64 v11, v12
	s_cbranch_execz .LBB129_4
; %bb.1:
	v_add_nc_u32_e32 v13, v0, v9
	v_add3_u32 v14, v0, v8, v10
	.p2align	6
.LBB129_2:                              ; =>This Inner Loop Header: Depth=1
	v_sub_nc_u32_e32 v15, v12, v11
	s_delay_alu instid0(VALU_DEP_1) | instskip(NEXT) | instid1(VALU_DEP_1)
	v_lshrrev_b32_e32 v16, 31, v15
	v_add_nc_u32_e32 v15, v15, v16
	s_delay_alu instid0(VALU_DEP_1) | instskip(NEXT) | instid1(VALU_DEP_1)
	v_ashrrev_i32_e32 v15, 1, v15
	v_add_nc_u32_e32 v15, v15, v11
	s_delay_alu instid0(VALU_DEP_1)
	v_add_nc_u32_e32 v16, v13, v15
	v_xad_u32 v17, v15, -1, v14
	v_add_nc_u32_e32 v18, 1, v15
	ds_load_u8 v16, v16
	ds_load_u8 v17, v17
	s_waitcnt lgkmcnt(0)
	v_cmp_lt_u16_e64 s27, v17, v16
	s_delay_alu instid0(VALU_DEP_1) | instskip(SKIP_1) | instid1(VALU_DEP_1)
	v_cndmask_b32_e64 v12, v12, v15, s27
	v_cndmask_b32_e64 v11, v18, v11, s27
	v_cmp_ge_i32_e64 s27, v11, v12
	s_delay_alu instid0(VALU_DEP_1) | instskip(NEXT) | instid1(SALU_CYCLE_1)
	s_or_b32 s28, s27, s28
	s_and_not1_b32 exec_lo, exec_lo, s28
	s_cbranch_execnz .LBB129_2
; %bb.3:
	s_or_b32 exec_lo, exec_lo, s28
.LBB129_4:
	s_delay_alu instid0(SALU_CYCLE_1)
	s_or_b32 exec_lo, exec_lo, s29
	v_add_nc_u32_e32 v10, v8, v10
	v_add_nc_u32_e32 v9, v11, v9
	v_lshrrev_b32_e32 v24, 16, v1
	v_lshrrev_b32_e32 v25, 24, v1
	;; [unrolled: 1-line block ×3, first 2 shown]
	v_sub_nc_u32_e32 v10, v10, v11
	v_add_nc_u32_e32 v16, v0, v9
	v_cmp_le_i32_e64 s27, v8, v9
	v_lshrrev_b32_e32 v23, 24, v2
	s_delay_alu instid0(VALU_DEP_4)
	v_add_nc_u32_e32 v15, v0, v10
	v_cmp_gt_i32_e64 s29, v7, v10
	ds_load_u8 v11, v16
	ds_load_u8 v12, v15
	s_waitcnt lgkmcnt(1)
	v_and_b32_e32 v13, 0xff, v11
	s_waitcnt lgkmcnt(0)
	v_and_b32_e32 v14, 0xff, v12
	s_delay_alu instid0(VALU_DEP_1) | instskip(NEXT) | instid1(VALU_DEP_1)
	v_cmp_lt_u16_e64 s28, v14, v13
                                        ; implicit-def: $vgpr13
                                        ; implicit-def: $vgpr14
	s_or_b32 s27, s27, s28
	s_delay_alu instid0(SALU_CYCLE_1) | instskip(NEXT) | instid1(SALU_CYCLE_1)
	s_and_b32 s27, s29, s27
	s_xor_b32 s28, s27, -1
	s_delay_alu instid0(SALU_CYCLE_1) | instskip(NEXT) | instid1(SALU_CYCLE_1)
	s_and_saveexec_b32 s29, s28
	s_xor_b32 s28, exec_lo, s29
	s_cbranch_execz .LBB129_6
; %bb.5:
	ds_load_u8 v14, v16 offset:1
	v_mov_b32_e32 v13, v12
                                        ; implicit-def: $vgpr15
.LBB129_6:
	s_and_not1_saveexec_b32 s28, s28
	s_cbranch_execz .LBB129_8
; %bb.7:
	ds_load_u8 v13, v15 offset:1
	s_waitcnt lgkmcnt(1)
	v_mov_b32_e32 v14, v11
.LBB129_8:
	s_or_b32 exec_lo, exec_lo, s28
	v_add_nc_u32_e32 v15, 1, v9
	v_add_nc_u32_e32 v16, 1, v10
	s_waitcnt lgkmcnt(0)
	v_and_b32_e32 v17, 0xff, v14
	v_and_b32_e32 v18, 0xff, v13
	v_cndmask_b32_e64 v15, v15, v9, s27
	v_cndmask_b32_e64 v16, v10, v16, s27
	s_delay_alu instid0(VALU_DEP_3) | instskip(NEXT) | instid1(VALU_DEP_3)
	v_cmp_lt_u16_e64 s29, v18, v17
                                        ; implicit-def: $vgpr17
	v_cmp_ge_i32_e64 s28, v15, v8
	s_delay_alu instid0(VALU_DEP_3) | instskip(NEXT) | instid1(VALU_DEP_2)
	v_cmp_lt_i32_e64 s30, v16, v7
	s_or_b32 s28, s28, s29
	s_delay_alu instid0(VALU_DEP_1) | instid1(SALU_CYCLE_1)
	s_and_b32 s28, s30, s28
	s_delay_alu instid0(SALU_CYCLE_1) | instskip(NEXT) | instid1(SALU_CYCLE_1)
	s_xor_b32 s29, s28, -1
	s_and_saveexec_b32 s30, s29
	s_delay_alu instid0(SALU_CYCLE_1)
	s_xor_b32 s29, exec_lo, s30
	s_cbranch_execz .LBB129_10
; %bb.9:
	v_add_nc_u32_e32 v17, v0, v15
	ds_load_u8 v17, v17 offset:1
.LBB129_10:
	s_or_saveexec_b32 s29, s29
	v_mov_b32_e32 v18, v13
	s_xor_b32 exec_lo, exec_lo, s29
	s_cbranch_execz .LBB129_12
; %bb.11:
	s_waitcnt lgkmcnt(0)
	v_add_nc_u32_e32 v17, v0, v16
	ds_load_u8 v18, v17 offset:1
	v_mov_b32_e32 v17, v14
.LBB129_12:
	s_or_b32 exec_lo, exec_lo, s29
	v_add_nc_u32_e32 v19, 1, v15
	v_add_nc_u32_e32 v20, 1, v16
	s_waitcnt lgkmcnt(0)
	v_and_b32_e32 v21, 0xff, v17
	v_and_b32_e32 v26, 0xff, v18
	v_cndmask_b32_e64 v19, v19, v15, s28
	v_cndmask_b32_e64 v20, v16, v20, s28
	s_delay_alu instid0(VALU_DEP_3) | instskip(NEXT) | instid1(VALU_DEP_3)
	v_cmp_lt_u16_e64 s30, v26, v21
                                        ; implicit-def: $vgpr21
	v_cmp_ge_i32_e64 s29, v19, v8
	s_delay_alu instid0(VALU_DEP_3) | instskip(NEXT) | instid1(VALU_DEP_2)
	v_cmp_lt_i32_e64 s31, v20, v7
	s_or_b32 s29, s29, s30
	s_delay_alu instid0(VALU_DEP_1) | instid1(SALU_CYCLE_1)
	s_and_b32 s29, s31, s29
	s_delay_alu instid0(SALU_CYCLE_1) | instskip(NEXT) | instid1(SALU_CYCLE_1)
	s_xor_b32 s30, s29, -1
	s_and_saveexec_b32 s31, s30
	s_delay_alu instid0(SALU_CYCLE_1)
	s_xor_b32 s30, exec_lo, s31
	s_cbranch_execz .LBB129_14
; %bb.13:
	v_add_nc_u32_e32 v21, v0, v19
	ds_load_u8 v21, v21 offset:1
.LBB129_14:
	s_or_saveexec_b32 s30, s30
	v_mov_b32_e32 v26, v18
	s_xor_b32 exec_lo, exec_lo, s30
	s_cbranch_execz .LBB129_16
; %bb.15:
	s_waitcnt lgkmcnt(0)
	v_add_nc_u32_e32 v21, v0, v20
	ds_load_u8 v26, v21 offset:1
	v_mov_b32_e32 v21, v17
.LBB129_16:
	s_or_b32 exec_lo, exec_lo, s30
	v_add_nc_u32_e32 v27, 1, v19
	v_add_nc_u32_e32 v28, 1, v20
	s_waitcnt lgkmcnt(0)
	v_and_b32_e32 v29, 0xff, v21
	v_and_b32_e32 v30, 0xff, v26
	v_cndmask_b32_e64 v27, v27, v19, s29
	v_cndmask_b32_e64 v28, v20, v28, s29
	s_delay_alu instid0(VALU_DEP_3) | instskip(NEXT) | instid1(VALU_DEP_3)
	v_cmp_lt_u16_e64 s31, v30, v29
                                        ; implicit-def: $vgpr29
	v_cmp_ge_i32_e64 s30, v27, v8
	s_delay_alu instid0(VALU_DEP_3) | instskip(NEXT) | instid1(VALU_DEP_2)
	v_cmp_lt_i32_e64 s33, v28, v7
	s_or_b32 s30, s30, s31
	s_delay_alu instid0(VALU_DEP_1) | instid1(SALU_CYCLE_1)
	s_and_b32 s30, s33, s30
	s_delay_alu instid0(SALU_CYCLE_1) | instskip(NEXT) | instid1(SALU_CYCLE_1)
	s_xor_b32 s31, s30, -1
	s_and_saveexec_b32 s33, s31
	s_delay_alu instid0(SALU_CYCLE_1)
	s_xor_b32 s31, exec_lo, s33
	s_cbranch_execz .LBB129_18
; %bb.17:
	v_add_nc_u32_e32 v29, v0, v27
	ds_load_u8 v29, v29 offset:1
.LBB129_18:
	s_or_saveexec_b32 s31, s31
	v_mov_b32_e32 v31, v26
	s_xor_b32 exec_lo, exec_lo, s31
	s_cbranch_execz .LBB129_20
; %bb.19:
	s_waitcnt lgkmcnt(0)
	v_add_nc_u32_e32 v29, v0, v28
	ds_load_u8 v31, v29 offset:1
	v_mov_b32_e32 v29, v21
.LBB129_20:
	s_or_b32 exec_lo, exec_lo, s31
	v_add_nc_u32_e32 v30, 1, v27
	v_add_nc_u32_e32 v32, 1, v28
	s_waitcnt lgkmcnt(0)
	v_and_b32_e32 v33, 0xff, v29
                                        ; implicit-def: $vgpr37
	s_delay_alu instid0(VALU_DEP_3) | instskip(SKIP_2) | instid1(VALU_DEP_3)
	v_cndmask_b32_e64 v35, v30, v27, s30
	v_and_b32_e32 v30, 0xff, v31
	v_cndmask_b32_e64 v36, v28, v32, s30
	v_cmp_ge_i32_e64 s31, v35, v8
	s_delay_alu instid0(VALU_DEP_3) | instskip(NEXT) | instid1(VALU_DEP_3)
	v_cmp_lt_u16_e64 s33, v30, v33
	v_cmp_lt_i32_e64 s34, v36, v7
	s_delay_alu instid0(VALU_DEP_2)
	s_or_b32 s31, s31, s33
	s_delay_alu instid0(VALU_DEP_1) | instid1(SALU_CYCLE_1)
	s_and_b32 s33, s34, s31
	s_delay_alu instid0(SALU_CYCLE_1) | instskip(NEXT) | instid1(SALU_CYCLE_1)
	s_xor_b32 s31, s33, -1
	s_and_saveexec_b32 s34, s31
	s_delay_alu instid0(SALU_CYCLE_1)
	s_xor_b32 s31, exec_lo, s34
	s_cbranch_execz .LBB129_22
; %bb.21:
	v_add_nc_u32_e32 v30, v0, v35
	ds_load_u8 v37, v30 offset:1
.LBB129_22:
	s_or_saveexec_b32 s31, s31
	v_mov_b32_e32 v38, v31
	s_xor_b32 exec_lo, exec_lo, s31
	s_cbranch_execz .LBB129_24
; %bb.23:
	s_waitcnt lgkmcnt(0)
	v_dual_mov_b32 v37, v29 :: v_dual_add_nc_u32 v30, v0, v36
	ds_load_u8 v38, v30 offset:1
.LBB129_24:
	s_or_b32 exec_lo, exec_lo, s31
	v_add_nc_u32_e32 v30, 1, v35
	v_add_nc_u32_e32 v32, 1, v36
	s_waitcnt lgkmcnt(0)
	v_and_b32_e32 v33, 0xff, v37
                                        ; implicit-def: $vgpr41
	s_delay_alu instid0(VALU_DEP_3) | instskip(SKIP_2) | instid1(VALU_DEP_3)
	v_cndmask_b32_e64 v39, v30, v35, s33
	v_and_b32_e32 v30, 0xff, v38
	v_cndmask_b32_e64 v40, v36, v32, s33
	v_cmp_ge_i32_e64 s31, v39, v8
	s_delay_alu instid0(VALU_DEP_3) | instskip(NEXT) | instid1(VALU_DEP_3)
	v_cmp_lt_u16_e64 s34, v30, v33
	v_cmp_lt_i32_e64 s35, v40, v7
	s_delay_alu instid0(VALU_DEP_2)
	s_or_b32 s31, s31, s34
	s_delay_alu instid0(VALU_DEP_1) | instid1(SALU_CYCLE_1)
	s_and_b32 s34, s35, s31
	s_delay_alu instid0(SALU_CYCLE_1) | instskip(NEXT) | instid1(SALU_CYCLE_1)
	s_xor_b32 s31, s34, -1
	s_and_saveexec_b32 s35, s31
	s_delay_alu instid0(SALU_CYCLE_1)
	s_xor_b32 s31, exec_lo, s35
	s_cbranch_execz .LBB129_26
; %bb.25:
	v_add_nc_u32_e32 v30, v0, v39
	ds_load_u8 v41, v30 offset:1
.LBB129_26:
	s_or_saveexec_b32 s31, s31
	v_mov_b32_e32 v42, v38
	s_xor_b32 exec_lo, exec_lo, s31
	s_cbranch_execz .LBB129_28
; %bb.27:
	s_waitcnt lgkmcnt(0)
	v_dual_mov_b32 v41, v37 :: v_dual_add_nc_u32 v30, v0, v40
	ds_load_u8 v42, v30 offset:1
.LBB129_28:
	s_or_b32 exec_lo, exec_lo, s31
	v_add_nc_u32_e32 v30, 1, v39
	v_add_nc_u32_e32 v32, 1, v40
	s_waitcnt lgkmcnt(0)
	v_and_b32_e32 v43, 0xff, v41
	s_delay_alu instid0(VALU_DEP_3) | instskip(SKIP_2) | instid1(VALU_DEP_3)
	v_cndmask_b32_e64 v33, v30, v39, s34
	v_and_b32_e32 v30, 0xff, v42
	v_cndmask_b32_e64 v34, v40, v32, s34
	v_cmp_ge_i32_e64 s31, v33, v8
	s_delay_alu instid0(VALU_DEP_3) | instskip(NEXT) | instid1(VALU_DEP_3)
	v_cmp_lt_u16_e64 s35, v30, v43
	v_cmp_lt_i32_e64 s36, v34, v7
                                        ; implicit-def: $vgpr30
	s_delay_alu instid0(VALU_DEP_2)
	s_or_b32 s31, s31, s35
	s_delay_alu instid0(VALU_DEP_1) | instid1(SALU_CYCLE_1)
	s_and_b32 s31, s36, s31
	s_delay_alu instid0(SALU_CYCLE_1) | instskip(NEXT) | instid1(SALU_CYCLE_1)
	s_xor_b32 s35, s31, -1
	s_and_saveexec_b32 s36, s35
	s_delay_alu instid0(SALU_CYCLE_1)
	s_xor_b32 s35, exec_lo, s36
	s_cbranch_execz .LBB129_30
; %bb.29:
	v_add_nc_u32_e32 v30, v0, v33
	ds_load_u8 v30, v30 offset:1
.LBB129_30:
	s_or_saveexec_b32 s35, s35
	v_mov_b32_e32 v32, v42
	s_xor_b32 exec_lo, exec_lo, s35
	s_cbranch_execz .LBB129_32
; %bb.31:
	s_waitcnt lgkmcnt(0)
	v_add_nc_u32_e32 v30, v0, v34
	ds_load_u8 v32, v30 offset:1
	v_mov_b32_e32 v30, v41
.LBB129_32:
	s_or_b32 exec_lo, exec_lo, s35
	v_add_nc_u16 v1, v1, 1
	v_add_nc_u16 v5, v5, 1
	;; [unrolled: 1-line block ×4, first 2 shown]
	v_lshlrev_b16 v6, 8, v6
	v_and_b32_e32 v44, 0xff, v1
	v_lshlrev_b16 v43, 8, v5
	v_lshlrev_b16 v1, 8, v1
	v_and_b32_e32 v5, 0xff, v5
	v_and_b32_e32 v2, 0xff, v2
	v_lshlrev_b16 v25, 8, v25
	v_or_b32_e32 v43, v44, v43
	v_add_nc_u16 v22, v22, 1
	v_or_b32_e32 v1, v5, v1
	v_or_b32_e32 v2, v6, v2
	v_lshlrev_b16 v23, 8, v23
	v_and_b32_e32 v6, 0xffff, v43
	v_and_b32_e32 v22, 0xff, v22
	;; [unrolled: 1-line block ×4, first 2 shown]
	v_add_nc_u16 v2, v2, 0x100
	v_cndmask_b32_e64 v13, v14, v13, s28
	v_or_b32_e32 v5, v23, v22
	v_cndmask_b32_e32 v1, v6, v1, vcc_lo
	v_or_b32_e32 v24, v25, v24
	v_and_b32_e32 v2, 0xffff, v2
	v_cndmask_b32_e64 v17, v17, v18, s29
	v_add_nc_u16 v5, v5, 0x100
	v_cndmask_b32_e64 v18, v19, v20, s29
	v_add_nc_u16 v22, v24, 0x100
	v_cndmask_b32_e64 v16, v15, v16, s28
	v_cndmask_b32_e64 v11, v11, v12, s27
	v_lshlrev_b32_e32 v5, 16, v5
	v_cndmask_b32_e64 v9, v9, v10, s27
	v_lshlrev_b32_e32 v23, 16, v22
	v_perm_b32 v6, 0, v22, 0xc0c0001
	s_waitcnt lgkmcnt(0)
	v_and_b32_e32 v10, 0xff, v30
	v_or_b32_e32 v2, v2, v5
	v_and_b32_e32 v12, 0xff, v32
	v_or_b32_e32 v1, v1, v23
	v_lshlrev_b32_e32 v6, 16, v6
	v_add_nc_u32_e32 v22, 1, v34
	v_add_nc_u32_e32 v24, 1, v33
	v_cmp_lt_u16_e32 vcc_lo, v12, v10
	v_cndmask_b32_e64 v29, v29, v31, s33
	v_and_or_b32 v5, 0xffff, v1, v6
	v_perm_b32 v6, v2, v2, 0x7060405
	v_cndmask_b32_e64 v21, v21, v26, s30
	v_cndmask_b32_e64 v26, v27, v28, s30
	;; [unrolled: 1-line block ×6, first 2 shown]
	v_and_b32_e32 v27, 0xff, v29
	v_cmp_lt_i32_e64 s1, v20, v7
	v_perm_b32 v5, v1, v1, 0x7050604
	v_perm_b32 v6, v2, v2, 0x6070504
	v_cmp_ge_i32_e64 s0, v22, v8
	v_lshlrev_b16 v13, 8, v13
	v_and_b32_e32 v11, 0xff, v11
	v_cndmask_b32_e64 v1, v1, v5, s3
	v_cndmask_b32_e64 v2, v2, v6, s4
	s_or_b32 s0, s0, vcc_lo
	v_cndmask_b32_e64 v31, v35, v36, s33
	s_and_b32 vcc_lo, s1, s0
	v_lshrrev_b32_e32 v5, 16, v1
	v_lshlrev_b16 v6, 8, v2
	v_cndmask_b32_e64 v25, v33, v34, s31
	v_cndmask_b32_e64 v37, v37, v38, s34
	;; [unrolled: 1-line block ×3, first 2 shown]
	v_and_b32_e32 v5, 0xff, v5
	v_add_nc_u32_e32 v9, v0, v9
	v_lshlrev_b16 v21, 8, v21
	v_and_b32_e32 v17, 0xff, v17
	v_add_nc_u32_e32 v10, v0, v16
	v_or_b32_e32 v5, v5, v6
	v_add_nc_u32_e32 v16, v0, v18
	v_add_nc_u32_e32 v18, v0, v26
	; wave barrier
	s_delay_alu instid0(VALU_DEP_3)
	v_lshlrev_b32_e32 v5, 16, v5
	v_add_nc_u32_e32 v24, v0, v38
	v_add_nc_u32_e32 v25, v0, v25
	v_or_b32_e32 v17, v17, v21
	v_lshlrev_b16 v26, 8, v37
	v_and_or_b32 v5, 0xffff, v1, v5
	s_mov_b32 s0, 0
	s_mov_b32 s1, exec_lo
	s_delay_alu instid0(VALU_DEP_1) | instskip(SKIP_1) | instid1(VALU_DEP_2)
	v_cndmask_b32_e64 v5, v1, v5, s2
	v_perm_b32 v1, v1, v2, 0x3020107
	v_perm_b32 v6, 0, v5, 0xc0c0001
	s_delay_alu instid0(VALU_DEP_2) | instskip(NEXT) | instid1(VALU_DEP_2)
	v_cndmask_b32_e64 v1, v2, v1, s2
	v_and_or_b32 v6, 0xffff0000, v5, v6
	s_delay_alu instid0(VALU_DEP_1) | instskip(NEXT) | instid1(VALU_DEP_1)
	v_cndmask_b32_e64 v5, v5, v6, s5
	v_lshrrev_b32_e32 v6, 16, v5
	s_delay_alu instid0(VALU_DEP_1) | instskip(SKIP_1) | instid1(VALU_DEP_2)
	v_perm_b32 v2, 0, v6, 0xc0c0001
	v_perm_b32 v6, v1, v1, 0x7050604
	v_lshlrev_b32_e32 v2, 16, v2
	s_delay_alu instid0(VALU_DEP_2) | instskip(NEXT) | instid1(VALU_DEP_2)
	v_cndmask_b32_e64 v1, v1, v6, s6
	v_and_or_b32 v2, 0xffff, v5, v2
	s_delay_alu instid0(VALU_DEP_2) | instskip(NEXT) | instid1(VALU_DEP_2)
	v_perm_b32 v6, v1, v1, 0x7060405
	v_cndmask_b32_e64 v2, v5, v2, s9
	s_delay_alu instid0(VALU_DEP_2) | instskip(NEXT) | instid1(VALU_DEP_2)
	v_cndmask_b32_e64 v1, v1, v6, s10
	v_perm_b32 v5, v2, v2, 0x7050604
	s_delay_alu instid0(VALU_DEP_2) | instskip(NEXT) | instid1(VALU_DEP_2)
	v_perm_b32 v6, v1, v1, 0x6070504
	v_cndmask_b32_e64 v2, v2, v5, s15
	s_delay_alu instid0(VALU_DEP_2) | instskip(NEXT) | instid1(VALU_DEP_2)
	v_cndmask_b32_e64 v1, v1, v6, s16
	v_lshrrev_b32_e32 v5, 16, v2
	s_delay_alu instid0(VALU_DEP_2) | instskip(NEXT) | instid1(VALU_DEP_2)
	v_lshlrev_b16 v6, 8, v1
	v_and_b32_e32 v5, 0xff, v5
	s_delay_alu instid0(VALU_DEP_1) | instskip(NEXT) | instid1(VALU_DEP_1)
	v_or_b32_e32 v5, v5, v6
	v_lshlrev_b32_e32 v5, 16, v5
	s_delay_alu instid0(VALU_DEP_1) | instskip(NEXT) | instid1(VALU_DEP_1)
	v_and_or_b32 v5, 0xffff, v2, v5
	v_cndmask_b32_e64 v5, v2, v5, s14
	v_perm_b32 v2, v2, v1, 0x3020107
	s_delay_alu instid0(VALU_DEP_2) | instskip(NEXT) | instid1(VALU_DEP_2)
	v_perm_b32 v6, 0, v5, 0xc0c0001
	v_cndmask_b32_e64 v1, v1, v2, s14
	s_delay_alu instid0(VALU_DEP_2) | instskip(NEXT) | instid1(VALU_DEP_1)
	v_and_or_b32 v6, 0xffff0000, v5, v6
	v_cndmask_b32_e64 v5, v5, v6, s18
	s_delay_alu instid0(VALU_DEP_1) | instskip(NEXT) | instid1(VALU_DEP_1)
	v_lshrrev_b32_e32 v6, 16, v5
	v_perm_b32 v2, 0, v6, 0xc0c0001
	v_perm_b32 v6, v1, v1, 0x7050604
	s_delay_alu instid0(VALU_DEP_2) | instskip(NEXT) | instid1(VALU_DEP_2)
	v_lshlrev_b32_e32 v2, 16, v2
	v_cndmask_b32_e64 v1, v1, v6, s19
	s_delay_alu instid0(VALU_DEP_2) | instskip(NEXT) | instid1(VALU_DEP_2)
	v_and_or_b32 v2, 0xffff, v5, v2
	v_perm_b32 v6, v1, v1, 0x7060405
	s_delay_alu instid0(VALU_DEP_2) | instskip(NEXT) | instid1(VALU_DEP_2)
	v_cndmask_b32_e64 v2, v5, v2, s22
	v_cndmask_b32_e64 v1, v1, v6, s23
	s_delay_alu instid0(VALU_DEP_2) | instskip(NEXT) | instid1(VALU_DEP_2)
	v_perm_b32 v5, v2, v2, 0x7050604
	v_perm_b32 v6, v1, v1, 0x6070504
	s_delay_alu instid0(VALU_DEP_2) | instskip(NEXT) | instid1(VALU_DEP_2)
	v_cndmask_b32_e64 v2, v2, v5, s24
	v_cndmask_b32_e64 v1, v1, v6, s25
	s_delay_alu instid0(VALU_DEP_2) | instskip(NEXT) | instid1(VALU_DEP_2)
	v_lshrrev_b32_e32 v5, 16, v2
	v_lshlrev_b16 v6, 8, v1
	s_delay_alu instid0(VALU_DEP_2) | instskip(NEXT) | instid1(VALU_DEP_1)
	v_and_b32_e32 v5, 0xff, v5
	v_or_b32_e32 v5, v5, v6
	v_cndmask_b32_e64 v6, v41, v42, s31
	s_delay_alu instid0(VALU_DEP_2) | instskip(NEXT) | instid1(VALU_DEP_2)
	v_lshlrev_b32_e32 v5, 16, v5
	v_and_b32_e32 v28, 0xff, v6
	s_delay_alu instid0(VALU_DEP_2) | instskip(NEXT) | instid1(VALU_DEP_1)
	v_and_or_b32 v5, 0xffff, v2, v5
	v_cndmask_b32_e64 v5, v2, v5, s20
	v_perm_b32 v2, v2, v1, 0x3020107
	s_delay_alu instid0(VALU_DEP_2) | instskip(NEXT) | instid1(VALU_DEP_2)
	v_perm_b32 v23, 0, v5, 0xc0c0001
	v_cndmask_b32_e64 v2, v1, v2, s20
	s_delay_alu instid0(VALU_DEP_2) | instskip(NEXT) | instid1(VALU_DEP_2)
	v_and_or_b32 v23, 0xffff0000, v5, v23
	v_perm_b32 v15, v2, v2, 0x7050604
	s_delay_alu instid0(VALU_DEP_2) | instskip(NEXT) | instid1(VALU_DEP_2)
	v_cndmask_b32_e64 v5, v5, v23, s26
	v_cndmask_b32_e64 v2, v2, v15, s7
	v_and_b32_e32 v15, 24, v4
	s_delay_alu instid0(VALU_DEP_3) | instskip(NEXT) | instid1(VALU_DEP_3)
	v_lshrrev_b32_e32 v14, 16, v5
	v_perm_b32 v23, v2, v2, 0x7060405
	s_delay_alu instid0(VALU_DEP_2) | instskip(NEXT) | instid1(VALU_DEP_2)
	v_perm_b32 v1, 0, v14, 0xc0c0001
	v_cndmask_b32_e64 v2, v2, v23, s8
	v_and_b32_e32 v14, 0xe0, v4
	s_delay_alu instid0(VALU_DEP_3) | instskip(NEXT) | instid1(VALU_DEP_3)
	v_lshlrev_b32_e32 v19, 16, v1
	v_perm_b32 v23, v2, v2, 0x6070504
	v_add_nc_u32_e32 v1, v0, v4
	s_delay_alu instid0(VALU_DEP_3) | instskip(NEXT) | instid1(VALU_DEP_3)
	v_and_or_b32 v19, 0xffff, v5, v19
	v_cndmask_b32_e64 v23, v2, v23, s12
	s_delay_alu instid0(VALU_DEP_2) | instskip(SKIP_1) | instid1(VALU_DEP_2)
	v_cndmask_b32_e64 v5, v5, v19, s11
	v_add_nc_u32_e32 v19, v0, v31
	v_perm_b32 v12, v5, v5, 0x7050604
	s_delay_alu instid0(VALU_DEP_1) | instskip(SKIP_1) | instid1(VALU_DEP_2)
	v_cndmask_b32_e64 v12, v5, v12, s13
	v_lshlrev_b16 v5, 8, v23
	v_lshrrev_b32_e32 v2, 16, v12
	v_perm_b32 v6, v12, v23, 0x3020107
	s_delay_alu instid0(VALU_DEP_2) | instskip(NEXT) | instid1(VALU_DEP_2)
	v_and_b32_e32 v2, 0xff, v2
	v_cndmask_b32_e64 v6, v23, v6, s17
	v_or_b32_e32 v23, v11, v13
	v_cndmask_b32_e32 v13, v22, v20, vcc_lo
	v_cndmask_b32_e32 v11, v30, v32, vcc_lo
	v_or_b32_e32 v29, v2, v5
	v_perm_b32 v7, v6, v6, 0x7050604
	v_or_b32_e32 v5, 16, v14
	v_add_nc_u32_e32 v2, 32, v14
	v_lshlrev_b16 v21, 8, v11
	v_lshlrev_b32_e32 v8, 16, v29
	v_cndmask_b32_e64 v7, v6, v7, s21
	v_sub_nc_u32_e32 v22, v5, v14
	v_sub_nc_u32_e32 v20, v2, v5
	s_delay_alu instid0(VALU_DEP_4) | instskip(NEXT) | instid1(VALU_DEP_2)
	v_and_or_b32 v8, 0xffff, v12, v8
	v_cmp_ge_i32_e32 vcc_lo, v15, v20
	s_delay_alu instid0(VALU_DEP_2)
	v_cndmask_b32_e64 v6, v12, v8, s17
	v_add_nc_u32_e32 v12, v0, v13
	ds_store_b64 v1, v[6:7]
	; wave barrier
	ds_load_u8 v7, v9
	ds_load_u8 v9, v10
	;; [unrolled: 1-line block ×8, first 2 shown]
	v_or_b32_e32 v16, v27, v26
	v_or_b32_e32 v19, v28, v21
	v_and_b32_e32 v18, 0xffff, v23
	v_lshlrev_b32_e32 v21, 16, v17
	v_sub_nc_u32_e32 v17, v15, v20
	v_and_b32_e32 v23, 0xffff, v16
	v_lshlrev_b32_e32 v19, 16, v19
	s_delay_alu instid0(VALU_DEP_4) | instskip(NEXT) | instid1(VALU_DEP_4)
	v_or_b32_e32 v18, v18, v21
	v_cndmask_b32_e32 v16, 0, v17, vcc_lo
	v_min_i32_e32 v17, v15, v22
	s_delay_alu instid0(VALU_DEP_4)
	v_or_b32_e32 v19, v23, v19
	; wave barrier
	ds_store_b64 v1, v[18:19]
	; wave barrier
	v_cmpx_lt_i32_e64 v16, v17
	s_cbranch_execz .LBB129_36
; %bb.33:
	v_add_nc_u32_e32 v18, v0, v14
	v_add3_u32 v19, v0, v5, v15
	.p2align	6
.LBB129_34:                             ; =>This Inner Loop Header: Depth=1
	v_sub_nc_u32_e32 v20, v17, v16
	s_delay_alu instid0(VALU_DEP_1) | instskip(NEXT) | instid1(VALU_DEP_1)
	v_lshrrev_b32_e32 v21, 31, v20
	v_add_nc_u32_e32 v20, v20, v21
	s_delay_alu instid0(VALU_DEP_1) | instskip(NEXT) | instid1(VALU_DEP_1)
	v_ashrrev_i32_e32 v20, 1, v20
	v_add_nc_u32_e32 v20, v20, v16
	s_delay_alu instid0(VALU_DEP_1)
	v_add_nc_u32_e32 v21, v18, v20
	v_xad_u32 v22, v20, -1, v19
	v_add_nc_u32_e32 v23, 1, v20
	ds_load_u8 v21, v21
	ds_load_u8 v22, v22
	s_waitcnt lgkmcnt(0)
	v_cmp_lt_u16_e32 vcc_lo, v22, v21
	v_cndmask_b32_e32 v17, v17, v20, vcc_lo
	v_cndmask_b32_e32 v16, v23, v16, vcc_lo
	s_delay_alu instid0(VALU_DEP_1) | instskip(SKIP_1) | instid1(SALU_CYCLE_1)
	v_cmp_ge_i32_e32 vcc_lo, v16, v17
	s_or_b32 s0, vcc_lo, s0
	s_and_not1_b32 exec_lo, exec_lo, s0
	s_cbranch_execnz .LBB129_34
; %bb.35:
	s_or_b32 exec_lo, exec_lo, s0
.LBB129_36:
	s_delay_alu instid0(SALU_CYCLE_1) | instskip(SKIP_2) | instid1(VALU_DEP_2)
	s_or_b32 exec_lo, exec_lo, s1
	v_add_nc_u32_e32 v15, v5, v15
	v_add_nc_u32_e32 v14, v16, v14
	v_sub_nc_u32_e32 v15, v15, v16
	s_delay_alu instid0(VALU_DEP_2) | instskip(SKIP_1) | instid1(VALU_DEP_3)
	v_add_nc_u32_e32 v21, v0, v14
	v_cmp_le_i32_e32 vcc_lo, v5, v14
	v_add_nc_u32_e32 v20, v0, v15
	v_cmp_gt_i32_e64 s1, v2, v15
	ds_load_u8 v16, v21
	ds_load_u8 v17, v20
	s_waitcnt lgkmcnt(1)
	v_and_b32_e32 v18, 0xff, v16
	s_waitcnt lgkmcnt(0)
	v_and_b32_e32 v19, 0xff, v17
	s_delay_alu instid0(VALU_DEP_1) | instskip(NEXT) | instid1(VALU_DEP_1)
	v_cmp_lt_u16_e64 s0, v19, v18
                                        ; implicit-def: $vgpr18
                                        ; implicit-def: $vgpr19
	s_or_b32 s0, vcc_lo, s0
	s_delay_alu instid0(SALU_CYCLE_1) | instskip(NEXT) | instid1(SALU_CYCLE_1)
	s_and_b32 vcc_lo, s1, s0
	s_xor_b32 s0, vcc_lo, -1
	s_delay_alu instid0(SALU_CYCLE_1) | instskip(NEXT) | instid1(SALU_CYCLE_1)
	s_and_saveexec_b32 s1, s0
	s_xor_b32 s0, exec_lo, s1
	s_cbranch_execz .LBB129_38
; %bb.37:
	ds_load_u8 v19, v21 offset:1
	v_mov_b32_e32 v18, v17
                                        ; implicit-def: $vgpr20
.LBB129_38:
	s_and_not1_saveexec_b32 s0, s0
	s_cbranch_execz .LBB129_40
; %bb.39:
	ds_load_u8 v18, v20 offset:1
	s_waitcnt lgkmcnt(1)
	v_mov_b32_e32 v19, v16
.LBB129_40:
	s_or_b32 exec_lo, exec_lo, s0
	v_add_nc_u32_e32 v21, 1, v15
	v_add_nc_u32_e32 v20, 1, v14
	s_waitcnt lgkmcnt(0)
	v_and_b32_e32 v22, 0xff, v19
	v_and_b32_e32 v23, 0xff, v18
	s_delay_alu instid0(VALU_DEP_3) | instskip(NEXT) | instid1(VALU_DEP_2)
	v_dual_cndmask_b32 v21, v15, v21 :: v_dual_cndmask_b32 v20, v20, v14
	v_cmp_lt_u16_e64 s1, v23, v22
                                        ; implicit-def: $vgpr22
	s_delay_alu instid0(VALU_DEP_2) | instskip(NEXT) | instid1(VALU_DEP_3)
	v_cmp_lt_i32_e64 s2, v21, v2
	v_cmp_ge_i32_e64 s0, v20, v5
	s_delay_alu instid0(VALU_DEP_1)
	s_or_b32 s0, s0, s1
	s_delay_alu instid0(VALU_DEP_2) | instid1(SALU_CYCLE_1)
	s_and_b32 s0, s2, s0
	s_delay_alu instid0(SALU_CYCLE_1) | instskip(NEXT) | instid1(SALU_CYCLE_1)
	s_xor_b32 s1, s0, -1
	s_and_saveexec_b32 s2, s1
	s_delay_alu instid0(SALU_CYCLE_1)
	s_xor_b32 s1, exec_lo, s2
	s_cbranch_execz .LBB129_42
; %bb.41:
	v_add_nc_u32_e32 v22, v0, v20
	ds_load_u8 v22, v22 offset:1
.LBB129_42:
	s_or_saveexec_b32 s1, s1
	v_mov_b32_e32 v23, v18
	s_xor_b32 exec_lo, exec_lo, s1
	s_cbranch_execz .LBB129_44
; %bb.43:
	s_waitcnt lgkmcnt(0)
	v_add_nc_u32_e32 v22, v0, v21
	ds_load_u8 v23, v22 offset:1
	v_mov_b32_e32 v22, v19
.LBB129_44:
	s_or_b32 exec_lo, exec_lo, s1
	v_add_nc_u32_e32 v24, 1, v20
	v_add_nc_u32_e32 v25, 1, v21
	s_waitcnt lgkmcnt(0)
	v_and_b32_e32 v26, 0xff, v22
	v_and_b32_e32 v27, 0xff, v23
	v_cndmask_b32_e64 v24, v24, v20, s0
	v_cndmask_b32_e64 v25, v21, v25, s0
	s_delay_alu instid0(VALU_DEP_3) | instskip(NEXT) | instid1(VALU_DEP_3)
	v_cmp_lt_u16_e64 s2, v27, v26
                                        ; implicit-def: $vgpr26
	v_cmp_ge_i32_e64 s1, v24, v5
	s_delay_alu instid0(VALU_DEP_3) | instskip(NEXT) | instid1(VALU_DEP_2)
	v_cmp_lt_i32_e64 s3, v25, v2
	s_or_b32 s1, s1, s2
	s_delay_alu instid0(VALU_DEP_1) | instid1(SALU_CYCLE_1)
	s_and_b32 s1, s3, s1
	s_delay_alu instid0(SALU_CYCLE_1) | instskip(NEXT) | instid1(SALU_CYCLE_1)
	s_xor_b32 s2, s1, -1
	s_and_saveexec_b32 s3, s2
	s_delay_alu instid0(SALU_CYCLE_1)
	s_xor_b32 s2, exec_lo, s3
	s_cbranch_execz .LBB129_46
; %bb.45:
	v_add_nc_u32_e32 v26, v0, v24
	ds_load_u8 v26, v26 offset:1
.LBB129_46:
	s_or_saveexec_b32 s2, s2
	v_mov_b32_e32 v27, v23
	s_xor_b32 exec_lo, exec_lo, s2
	s_cbranch_execz .LBB129_48
; %bb.47:
	s_waitcnt lgkmcnt(0)
	v_add_nc_u32_e32 v26, v0, v25
	ds_load_u8 v27, v26 offset:1
	v_mov_b32_e32 v26, v22
.LBB129_48:
	s_or_b32 exec_lo, exec_lo, s2
	v_add_nc_u32_e32 v28, 1, v24
	v_add_nc_u32_e32 v29, 1, v25
	s_waitcnt lgkmcnt(0)
	v_and_b32_e32 v30, 0xff, v26
	v_and_b32_e32 v31, 0xff, v27
	v_cndmask_b32_e64 v28, v28, v24, s1
	v_cndmask_b32_e64 v29, v25, v29, s1
	s_delay_alu instid0(VALU_DEP_3) | instskip(NEXT) | instid1(VALU_DEP_3)
	v_cmp_lt_u16_e64 s3, v31, v30
                                        ; implicit-def: $vgpr30
	v_cmp_ge_i32_e64 s2, v28, v5
	s_delay_alu instid0(VALU_DEP_3) | instskip(NEXT) | instid1(VALU_DEP_2)
	v_cmp_lt_i32_e64 s4, v29, v2
	s_or_b32 s2, s2, s3
	s_delay_alu instid0(VALU_DEP_1) | instid1(SALU_CYCLE_1)
	s_and_b32 s2, s4, s2
	s_delay_alu instid0(SALU_CYCLE_1) | instskip(NEXT) | instid1(SALU_CYCLE_1)
	s_xor_b32 s3, s2, -1
	s_and_saveexec_b32 s4, s3
	s_delay_alu instid0(SALU_CYCLE_1)
	s_xor_b32 s3, exec_lo, s4
	s_cbranch_execz .LBB129_50
; %bb.49:
	v_add_nc_u32_e32 v30, v0, v28
	ds_load_u8 v30, v30 offset:1
.LBB129_50:
	s_or_saveexec_b32 s3, s3
	v_mov_b32_e32 v31, v27
	s_xor_b32 exec_lo, exec_lo, s3
	s_cbranch_execz .LBB129_52
; %bb.51:
	s_waitcnt lgkmcnt(0)
	v_add_nc_u32_e32 v30, v0, v29
	ds_load_u8 v31, v30 offset:1
	v_mov_b32_e32 v30, v26
.LBB129_52:
	s_or_b32 exec_lo, exec_lo, s3
	v_add_nc_u32_e32 v32, 1, v28
	v_add_nc_u32_e32 v33, 1, v29
	s_waitcnt lgkmcnt(0)
	v_and_b32_e32 v34, 0xff, v30
	v_and_b32_e32 v35, 0xff, v31
	v_cndmask_b32_e64 v32, v32, v28, s2
	v_cndmask_b32_e64 v33, v29, v33, s2
	s_delay_alu instid0(VALU_DEP_3) | instskip(NEXT) | instid1(VALU_DEP_3)
	v_cmp_lt_u16_e64 s4, v35, v34
                                        ; implicit-def: $vgpr34
	v_cmp_ge_i32_e64 s3, v32, v5
	s_delay_alu instid0(VALU_DEP_3) | instskip(NEXT) | instid1(VALU_DEP_2)
	v_cmp_lt_i32_e64 s5, v33, v2
	s_or_b32 s3, s3, s4
	s_delay_alu instid0(VALU_DEP_1) | instid1(SALU_CYCLE_1)
	s_and_b32 s3, s5, s3
	s_delay_alu instid0(SALU_CYCLE_1) | instskip(NEXT) | instid1(SALU_CYCLE_1)
	s_xor_b32 s4, s3, -1
	s_and_saveexec_b32 s5, s4
	s_delay_alu instid0(SALU_CYCLE_1)
	s_xor_b32 s4, exec_lo, s5
	s_cbranch_execz .LBB129_54
; %bb.53:
	v_add_nc_u32_e32 v34, v0, v32
	ds_load_u8 v34, v34 offset:1
.LBB129_54:
	s_or_saveexec_b32 s4, s4
	v_mov_b32_e32 v35, v31
	s_xor_b32 exec_lo, exec_lo, s4
	s_cbranch_execz .LBB129_56
; %bb.55:
	s_waitcnt lgkmcnt(0)
	v_add_nc_u32_e32 v34, v0, v33
	ds_load_u8 v35, v34 offset:1
	v_mov_b32_e32 v34, v30
.LBB129_56:
	s_or_b32 exec_lo, exec_lo, s4
	v_add_nc_u32_e32 v36, 1, v32
	v_add_nc_u32_e32 v37, 1, v33
	s_waitcnt lgkmcnt(0)
	v_and_b32_e32 v38, 0xff, v34
	v_and_b32_e32 v39, 0xff, v35
	v_cndmask_b32_e64 v36, v36, v32, s3
	v_cndmask_b32_e64 v37, v33, v37, s3
	s_delay_alu instid0(VALU_DEP_3) | instskip(NEXT) | instid1(VALU_DEP_3)
	v_cmp_lt_u16_e64 s5, v39, v38
                                        ; implicit-def: $vgpr39
	v_cmp_ge_i32_e64 s4, v36, v5
	s_delay_alu instid0(VALU_DEP_3) | instskip(NEXT) | instid1(VALU_DEP_2)
	v_cmp_lt_i32_e64 s6, v37, v2
	s_or_b32 s4, s4, s5
	s_delay_alu instid0(VALU_DEP_1) | instid1(SALU_CYCLE_1)
	s_and_b32 s4, s6, s4
	s_delay_alu instid0(SALU_CYCLE_1) | instskip(NEXT) | instid1(SALU_CYCLE_1)
	s_xor_b32 s5, s4, -1
	s_and_saveexec_b32 s6, s5
	s_delay_alu instid0(SALU_CYCLE_1)
	s_xor_b32 s5, exec_lo, s6
	s_cbranch_execz .LBB129_58
; %bb.57:
	v_add_nc_u32_e32 v38, v0, v36
	ds_load_u8 v39, v38 offset:1
.LBB129_58:
	s_or_saveexec_b32 s5, s5
	v_mov_b32_e32 v41, v35
	s_xor_b32 exec_lo, exec_lo, s5
	s_cbranch_execz .LBB129_60
; %bb.59:
	s_waitcnt lgkmcnt(0)
	v_dual_mov_b32 v39, v34 :: v_dual_add_nc_u32 v38, v0, v37
	ds_load_u8 v41, v38 offset:1
.LBB129_60:
	s_or_b32 exec_lo, exec_lo, s5
	v_add_nc_u32_e32 v38, 1, v36
	v_add_nc_u32_e32 v40, 1, v37
	s_waitcnt lgkmcnt(0)
	v_and_b32_e32 v44, 0xff, v39
	s_delay_alu instid0(VALU_DEP_3) | instskip(SKIP_2) | instid1(VALU_DEP_3)
	v_cndmask_b32_e64 v42, v38, v36, s4
	v_and_b32_e32 v38, 0xff, v41
	v_cndmask_b32_e64 v43, v37, v40, s4
	v_cmp_ge_i32_e64 s5, v42, v5
	s_delay_alu instid0(VALU_DEP_3) | instskip(NEXT) | instid1(VALU_DEP_3)
	v_cmp_lt_u16_e64 s6, v38, v44
	v_cmp_lt_i32_e64 s7, v43, v2
                                        ; implicit-def: $vgpr38
	s_delay_alu instid0(VALU_DEP_2)
	s_or_b32 s5, s5, s6
	s_delay_alu instid0(VALU_DEP_1) | instid1(SALU_CYCLE_1)
	s_and_b32 s5, s7, s5
	s_delay_alu instid0(SALU_CYCLE_1) | instskip(NEXT) | instid1(SALU_CYCLE_1)
	s_xor_b32 s6, s5, -1
	s_and_saveexec_b32 s7, s6
	s_delay_alu instid0(SALU_CYCLE_1)
	s_xor_b32 s6, exec_lo, s7
	s_cbranch_execz .LBB129_62
; %bb.61:
	v_add_nc_u32_e32 v38, v0, v42
	ds_load_u8 v38, v38 offset:1
.LBB129_62:
	s_or_saveexec_b32 s6, s6
	v_mov_b32_e32 v40, v41
	s_xor_b32 exec_lo, exec_lo, s6
	s_cbranch_execz .LBB129_64
; %bb.63:
	s_waitcnt lgkmcnt(0)
	v_add_nc_u32_e32 v38, v0, v43
	ds_load_u8 v40, v38 offset:1
	v_mov_b32_e32 v38, v39
.LBB129_64:
	s_or_b32 exec_lo, exec_lo, s6
	v_dual_cndmask_b32 v16, v16, v17 :: v_dual_add_nc_u32 v45, 1, v42
	v_add_nc_u32_e32 v44, 1, v43
	v_cndmask_b32_e64 v39, v39, v41, s5
	v_cndmask_b32_e64 v41, v42, v43, s5
	s_delay_alu instid0(VALU_DEP_4)
	v_cndmask_b32_e64 v42, v45, v42, s5
	v_cndmask_b32_e64 v18, v19, v18, s0
	;; [unrolled: 1-line block ×4, first 2 shown]
	s_waitcnt lgkmcnt(0)
	v_and_b32_e32 v17, 0xff, v40
	v_cmp_ge_i32_e64 s0, v42, v5
	v_and_b32_e32 v5, 0xff, v38
	v_cndmask_b32_e64 v26, v26, v27, s2
	v_cndmask_b32_e64 v27, v28, v29, s2
	;; [unrolled: 1-line block ×4, first 2 shown]
	v_cmp_lt_i32_e64 s2, v43, v2
	v_cndmask_b32_e32 v2, v14, v15, vcc_lo
	v_cmp_lt_u16_e64 s1, v17, v5
	v_lshlrev_b16 v13, 8, v13
	v_and_b32_e32 v11, 0xff, v11
	v_lshlrev_b16 v12, 8, v12
	v_lshlrev_b16 v9, 8, v9
	s_or_b32 s0, s0, s1
	v_and_b32_e32 v7, 0xff, v7
	v_lshlrev_b16 v8, 8, v8
	v_and_b32_e32 v6, 0xff, v6
	s_and_b32 vcc_lo, s2, s0
	v_and_b32_e32 v10, 0xff, v10
	v_or_b32_e32 v11, v11, v13
	v_or_b32_e32 v7, v7, v9
	;; [unrolled: 1-line block ×3, first 2 shown]
	v_cndmask_b32_e64 v34, v34, v35, s4
	v_or_b32_e32 v10, v10, v12
	v_and_b32_e32 v5, 0xffff, v11
	v_and_b32_e32 v7, 0xffff, v7
	v_lshlrev_b32_e32 v9, 16, v6
	v_cndmask_b32_e64 v35, v36, v37, s4
	v_lshlrev_b32_e32 v8, 16, v10
	v_cndmask_b32_e64 v30, v30, v31, s3
	v_cndmask_b32_e64 v31, v32, v33, s3
	v_add_nc_u32_e32 v2, v0, v2
	s_delay_alu instid0(VALU_DEP_4)
	v_or_b32_e32 v6, v5, v8
	v_or_b32_e32 v5, v7, v9
	v_cndmask_b32_e32 v7, v42, v43, vcc_lo
	; wave barrier
	v_add_nc_u32_e32 v8, v0, v23
	v_add_nc_u32_e32 v9, v0, v27
	ds_store_b64 v1, v[5:6]
	v_add_nc_u32_e32 v6, v0, v19
	v_add_nc_u32_e32 v10, v0, v31
	;; [unrolled: 1-line block ×3, first 2 shown]
	; wave barrier
	v_add_nc_u32_e32 v12, v0, v41
	v_add_nc_u32_e32 v13, v0, v7
	ds_load_u8 v5, v2
	ds_load_u8 v7, v6
	;; [unrolled: 1-line block ×8, first 2 shown]
	v_cndmask_b32_e32 v15, v38, v40, vcc_lo
	v_lshlrev_b16 v17, 8, v18
	v_and_b32_e32 v16, 0xff, v16
	v_lshlrev_b16 v18, 8, v26
	v_and_b32_e32 v19, 0xff, v22
	v_and_b32_e32 v14, 0xc0, v4
	;; [unrolled: 1-line block ×3, first 2 shown]
	v_or_b32_e32 v16, v16, v17
	v_lshlrev_b16 v21, 8, v15
	v_or_b32_e32 v17, v19, v18
	v_lshlrev_b16 v18, 8, v34
	v_and_b32_e32 v19, 0xff, v30
	v_or_b32_e32 v13, 32, v14
	v_add_nc_u32_e32 v12, 64, v14
	v_and_b32_e32 v15, 56, v4
	v_or_b32_e32 v20, v20, v21
	v_or_b32_e32 v18, v19, v18
	v_and_b32_e32 v16, 0xffff, v16
	v_sub_nc_u32_e32 v19, v12, v13
	v_lshlrev_b32_e32 v17, 16, v17
	v_sub_nc_u32_e32 v23, v13, v14
	v_and_b32_e32 v21, 0xffff, v18
	v_lshlrev_b32_e32 v20, 16, v20
	v_sub_nc_u32_e32 v22, v15, v19
	v_cmp_ge_i32_e32 vcc_lo, v15, v19
	v_or_b32_e32 v18, v16, v17
	v_min_i32_e32 v17, v15, v23
	v_or_b32_e32 v19, v21, v20
	s_mov_b32 s1, 0
	v_cndmask_b32_e32 v16, 0, v22, vcc_lo
	s_mov_b32 s0, exec_lo
	; wave barrier
	ds_store_b64 v1, v[18:19]
	; wave barrier
	v_cmpx_lt_i32_e64 v16, v17
	s_cbranch_execz .LBB129_68
; %bb.65:
	v_add_nc_u32_e32 v18, v0, v14
	v_add3_u32 v19, v0, v13, v15
	.p2align	6
.LBB129_66:                             ; =>This Inner Loop Header: Depth=1
	v_sub_nc_u32_e32 v20, v17, v16
	s_delay_alu instid0(VALU_DEP_1) | instskip(NEXT) | instid1(VALU_DEP_1)
	v_lshrrev_b32_e32 v21, 31, v20
	v_add_nc_u32_e32 v20, v20, v21
	s_delay_alu instid0(VALU_DEP_1) | instskip(NEXT) | instid1(VALU_DEP_1)
	v_ashrrev_i32_e32 v20, 1, v20
	v_add_nc_u32_e32 v20, v20, v16
	s_delay_alu instid0(VALU_DEP_1)
	v_add_nc_u32_e32 v21, v18, v20
	v_xad_u32 v22, v20, -1, v19
	v_add_nc_u32_e32 v23, 1, v20
	ds_load_u8 v21, v21
	ds_load_u8 v22, v22
	s_waitcnt lgkmcnt(0)
	v_cmp_lt_u16_e32 vcc_lo, v22, v21
	v_cndmask_b32_e32 v17, v17, v20, vcc_lo
	v_cndmask_b32_e32 v16, v23, v16, vcc_lo
	s_delay_alu instid0(VALU_DEP_1) | instskip(SKIP_1) | instid1(SALU_CYCLE_1)
	v_cmp_ge_i32_e32 vcc_lo, v16, v17
	s_or_b32 s1, vcc_lo, s1
	s_and_not1_b32 exec_lo, exec_lo, s1
	s_cbranch_execnz .LBB129_66
; %bb.67:
	s_or_b32 exec_lo, exec_lo, s1
.LBB129_68:
	s_delay_alu instid0(SALU_CYCLE_1) | instskip(SKIP_2) | instid1(VALU_DEP_2)
	s_or_b32 exec_lo, exec_lo, s0
	v_add_nc_u32_e32 v15, v13, v15
	v_add_nc_u32_e32 v14, v16, v14
	v_sub_nc_u32_e32 v15, v15, v16
	s_delay_alu instid0(VALU_DEP_2) | instskip(SKIP_1) | instid1(VALU_DEP_3)
	v_add_nc_u32_e32 v21, v0, v14
	v_cmp_le_i32_e32 vcc_lo, v13, v14
	v_add_nc_u32_e32 v20, v0, v15
	v_cmp_gt_i32_e64 s1, v12, v15
	ds_load_u8 v16, v21
	ds_load_u8 v17, v20
	s_waitcnt lgkmcnt(1)
	v_and_b32_e32 v18, 0xff, v16
	s_waitcnt lgkmcnt(0)
	v_and_b32_e32 v19, 0xff, v17
	s_delay_alu instid0(VALU_DEP_1) | instskip(NEXT) | instid1(VALU_DEP_1)
	v_cmp_lt_u16_e64 s0, v19, v18
                                        ; implicit-def: $vgpr18
                                        ; implicit-def: $vgpr19
	s_or_b32 s0, vcc_lo, s0
	s_delay_alu instid0(SALU_CYCLE_1) | instskip(NEXT) | instid1(SALU_CYCLE_1)
	s_and_b32 vcc_lo, s1, s0
	s_xor_b32 s0, vcc_lo, -1
	s_delay_alu instid0(SALU_CYCLE_1) | instskip(NEXT) | instid1(SALU_CYCLE_1)
	s_and_saveexec_b32 s1, s0
	s_xor_b32 s0, exec_lo, s1
	s_cbranch_execz .LBB129_70
; %bb.69:
	ds_load_u8 v19, v21 offset:1
	v_mov_b32_e32 v18, v17
                                        ; implicit-def: $vgpr20
.LBB129_70:
	s_and_not1_saveexec_b32 s0, s0
	s_cbranch_execz .LBB129_72
; %bb.71:
	ds_load_u8 v18, v20 offset:1
	s_waitcnt lgkmcnt(1)
	v_mov_b32_e32 v19, v16
.LBB129_72:
	s_or_b32 exec_lo, exec_lo, s0
	v_add_nc_u32_e32 v21, 1, v15
	v_add_nc_u32_e32 v20, 1, v14
	s_waitcnt lgkmcnt(0)
	v_and_b32_e32 v22, 0xff, v19
	v_and_b32_e32 v23, 0xff, v18
	s_delay_alu instid0(VALU_DEP_3) | instskip(NEXT) | instid1(VALU_DEP_2)
	v_dual_cndmask_b32 v21, v15, v21 :: v_dual_cndmask_b32 v20, v20, v14
	v_cmp_lt_u16_e64 s1, v23, v22
                                        ; implicit-def: $vgpr22
	s_delay_alu instid0(VALU_DEP_2) | instskip(NEXT) | instid1(VALU_DEP_3)
	v_cmp_lt_i32_e64 s2, v21, v12
	v_cmp_ge_i32_e64 s0, v20, v13
	s_delay_alu instid0(VALU_DEP_1)
	s_or_b32 s0, s0, s1
	s_delay_alu instid0(VALU_DEP_2) | instid1(SALU_CYCLE_1)
	s_and_b32 s0, s2, s0
	s_delay_alu instid0(SALU_CYCLE_1) | instskip(NEXT) | instid1(SALU_CYCLE_1)
	s_xor_b32 s1, s0, -1
	s_and_saveexec_b32 s2, s1
	s_delay_alu instid0(SALU_CYCLE_1)
	s_xor_b32 s1, exec_lo, s2
	s_cbranch_execz .LBB129_74
; %bb.73:
	v_add_nc_u32_e32 v22, v0, v20
	ds_load_u8 v22, v22 offset:1
.LBB129_74:
	s_or_saveexec_b32 s1, s1
	v_mov_b32_e32 v23, v18
	s_xor_b32 exec_lo, exec_lo, s1
	s_cbranch_execz .LBB129_76
; %bb.75:
	s_waitcnt lgkmcnt(0)
	v_add_nc_u32_e32 v22, v0, v21
	ds_load_u8 v23, v22 offset:1
	v_mov_b32_e32 v22, v19
.LBB129_76:
	s_or_b32 exec_lo, exec_lo, s1
	v_add_nc_u32_e32 v24, 1, v20
	v_add_nc_u32_e32 v25, 1, v21
	s_waitcnt lgkmcnt(0)
	v_and_b32_e32 v26, 0xff, v22
	v_and_b32_e32 v27, 0xff, v23
	v_cndmask_b32_e64 v24, v24, v20, s0
	v_cndmask_b32_e64 v25, v21, v25, s0
	s_delay_alu instid0(VALU_DEP_3) | instskip(NEXT) | instid1(VALU_DEP_3)
	v_cmp_lt_u16_e64 s2, v27, v26
                                        ; implicit-def: $vgpr26
	v_cmp_ge_i32_e64 s1, v24, v13
	s_delay_alu instid0(VALU_DEP_3) | instskip(NEXT) | instid1(VALU_DEP_2)
	v_cmp_lt_i32_e64 s3, v25, v12
	s_or_b32 s1, s1, s2
	s_delay_alu instid0(VALU_DEP_1) | instid1(SALU_CYCLE_1)
	s_and_b32 s1, s3, s1
	s_delay_alu instid0(SALU_CYCLE_1) | instskip(NEXT) | instid1(SALU_CYCLE_1)
	s_xor_b32 s2, s1, -1
	s_and_saveexec_b32 s3, s2
	s_delay_alu instid0(SALU_CYCLE_1)
	s_xor_b32 s2, exec_lo, s3
	s_cbranch_execz .LBB129_78
; %bb.77:
	v_add_nc_u32_e32 v26, v0, v24
	ds_load_u8 v26, v26 offset:1
.LBB129_78:
	s_or_saveexec_b32 s2, s2
	v_mov_b32_e32 v27, v23
	s_xor_b32 exec_lo, exec_lo, s2
	s_cbranch_execz .LBB129_80
; %bb.79:
	s_waitcnt lgkmcnt(0)
	v_add_nc_u32_e32 v26, v0, v25
	ds_load_u8 v27, v26 offset:1
	v_mov_b32_e32 v26, v22
.LBB129_80:
	s_or_b32 exec_lo, exec_lo, s2
	v_add_nc_u32_e32 v28, 1, v24
	v_add_nc_u32_e32 v29, 1, v25
	s_waitcnt lgkmcnt(0)
	v_and_b32_e32 v30, 0xff, v26
	v_and_b32_e32 v31, 0xff, v27
	v_cndmask_b32_e64 v28, v28, v24, s1
	v_cndmask_b32_e64 v29, v25, v29, s1
	s_delay_alu instid0(VALU_DEP_3) | instskip(NEXT) | instid1(VALU_DEP_3)
	v_cmp_lt_u16_e64 s3, v31, v30
                                        ; implicit-def: $vgpr30
	v_cmp_ge_i32_e64 s2, v28, v13
	s_delay_alu instid0(VALU_DEP_3) | instskip(NEXT) | instid1(VALU_DEP_2)
	v_cmp_lt_i32_e64 s4, v29, v12
	s_or_b32 s2, s2, s3
	s_delay_alu instid0(VALU_DEP_1) | instid1(SALU_CYCLE_1)
	s_and_b32 s2, s4, s2
	s_delay_alu instid0(SALU_CYCLE_1) | instskip(NEXT) | instid1(SALU_CYCLE_1)
	s_xor_b32 s3, s2, -1
	s_and_saveexec_b32 s4, s3
	s_delay_alu instid0(SALU_CYCLE_1)
	s_xor_b32 s3, exec_lo, s4
	s_cbranch_execz .LBB129_82
; %bb.81:
	v_add_nc_u32_e32 v30, v0, v28
	ds_load_u8 v30, v30 offset:1
.LBB129_82:
	s_or_saveexec_b32 s3, s3
	v_mov_b32_e32 v31, v27
	s_xor_b32 exec_lo, exec_lo, s3
	s_cbranch_execz .LBB129_84
; %bb.83:
	s_waitcnt lgkmcnt(0)
	v_add_nc_u32_e32 v30, v0, v29
	ds_load_u8 v31, v30 offset:1
	v_mov_b32_e32 v30, v26
.LBB129_84:
	s_or_b32 exec_lo, exec_lo, s3
	v_add_nc_u32_e32 v32, 1, v28
	v_add_nc_u32_e32 v33, 1, v29
	s_waitcnt lgkmcnt(0)
	v_and_b32_e32 v34, 0xff, v30
	v_and_b32_e32 v35, 0xff, v31
	v_cndmask_b32_e64 v32, v32, v28, s2
	v_cndmask_b32_e64 v33, v29, v33, s2
	s_delay_alu instid0(VALU_DEP_3) | instskip(NEXT) | instid1(VALU_DEP_3)
	v_cmp_lt_u16_e64 s4, v35, v34
                                        ; implicit-def: $vgpr34
	v_cmp_ge_i32_e64 s3, v32, v13
	s_delay_alu instid0(VALU_DEP_3) | instskip(NEXT) | instid1(VALU_DEP_2)
	v_cmp_lt_i32_e64 s5, v33, v12
	s_or_b32 s3, s3, s4
	s_delay_alu instid0(VALU_DEP_1) | instid1(SALU_CYCLE_1)
	s_and_b32 s3, s5, s3
	s_delay_alu instid0(SALU_CYCLE_1) | instskip(NEXT) | instid1(SALU_CYCLE_1)
	s_xor_b32 s4, s3, -1
	s_and_saveexec_b32 s5, s4
	s_delay_alu instid0(SALU_CYCLE_1)
	s_xor_b32 s4, exec_lo, s5
	s_cbranch_execz .LBB129_86
; %bb.85:
	v_add_nc_u32_e32 v34, v0, v32
	ds_load_u8 v34, v34 offset:1
.LBB129_86:
	s_or_saveexec_b32 s4, s4
	v_mov_b32_e32 v35, v31
	s_xor_b32 exec_lo, exec_lo, s4
	s_cbranch_execz .LBB129_88
; %bb.87:
	s_waitcnt lgkmcnt(0)
	v_add_nc_u32_e32 v34, v0, v33
	ds_load_u8 v35, v34 offset:1
	v_mov_b32_e32 v34, v30
.LBB129_88:
	s_or_b32 exec_lo, exec_lo, s4
	v_add_nc_u32_e32 v36, 1, v32
	v_add_nc_u32_e32 v37, 1, v33
	s_waitcnt lgkmcnt(0)
	v_and_b32_e32 v38, 0xff, v34
	v_and_b32_e32 v39, 0xff, v35
	v_cndmask_b32_e64 v36, v36, v32, s3
	v_cndmask_b32_e64 v37, v33, v37, s3
	s_delay_alu instid0(VALU_DEP_3) | instskip(NEXT) | instid1(VALU_DEP_3)
	v_cmp_lt_u16_e64 s5, v39, v38
                                        ; implicit-def: $vgpr39
	v_cmp_ge_i32_e64 s4, v36, v13
	s_delay_alu instid0(VALU_DEP_3) | instskip(NEXT) | instid1(VALU_DEP_2)
	v_cmp_lt_i32_e64 s6, v37, v12
	s_or_b32 s4, s4, s5
	s_delay_alu instid0(VALU_DEP_1) | instid1(SALU_CYCLE_1)
	s_and_b32 s4, s6, s4
	s_delay_alu instid0(SALU_CYCLE_1) | instskip(NEXT) | instid1(SALU_CYCLE_1)
	s_xor_b32 s5, s4, -1
	s_and_saveexec_b32 s6, s5
	s_delay_alu instid0(SALU_CYCLE_1)
	s_xor_b32 s5, exec_lo, s6
	s_cbranch_execz .LBB129_90
; %bb.89:
	v_add_nc_u32_e32 v38, v0, v36
	ds_load_u8 v39, v38 offset:1
.LBB129_90:
	s_or_saveexec_b32 s5, s5
	v_mov_b32_e32 v41, v35
	s_xor_b32 exec_lo, exec_lo, s5
	s_cbranch_execz .LBB129_92
; %bb.91:
	s_waitcnt lgkmcnt(0)
	v_dual_mov_b32 v39, v34 :: v_dual_add_nc_u32 v38, v0, v37
	ds_load_u8 v41, v38 offset:1
.LBB129_92:
	s_or_b32 exec_lo, exec_lo, s5
	v_add_nc_u32_e32 v38, 1, v36
	v_add_nc_u32_e32 v40, 1, v37
	s_waitcnt lgkmcnt(0)
	v_and_b32_e32 v44, 0xff, v39
	s_delay_alu instid0(VALU_DEP_3) | instskip(SKIP_2) | instid1(VALU_DEP_3)
	v_cndmask_b32_e64 v42, v38, v36, s4
	v_and_b32_e32 v38, 0xff, v41
	v_cndmask_b32_e64 v43, v37, v40, s4
	v_cmp_ge_i32_e64 s5, v42, v13
	s_delay_alu instid0(VALU_DEP_3) | instskip(NEXT) | instid1(VALU_DEP_3)
	v_cmp_lt_u16_e64 s6, v38, v44
	v_cmp_lt_i32_e64 s7, v43, v12
                                        ; implicit-def: $vgpr38
	s_delay_alu instid0(VALU_DEP_2)
	s_or_b32 s5, s5, s6
	s_delay_alu instid0(VALU_DEP_1) | instid1(SALU_CYCLE_1)
	s_and_b32 s5, s7, s5
	s_delay_alu instid0(SALU_CYCLE_1) | instskip(NEXT) | instid1(SALU_CYCLE_1)
	s_xor_b32 s6, s5, -1
	s_and_saveexec_b32 s7, s6
	s_delay_alu instid0(SALU_CYCLE_1)
	s_xor_b32 s6, exec_lo, s7
	s_cbranch_execz .LBB129_94
; %bb.93:
	v_add_nc_u32_e32 v38, v0, v42
	ds_load_u8 v38, v38 offset:1
.LBB129_94:
	s_or_saveexec_b32 s6, s6
	v_mov_b32_e32 v40, v41
	s_xor_b32 exec_lo, exec_lo, s6
	s_cbranch_execz .LBB129_96
; %bb.95:
	s_waitcnt lgkmcnt(0)
	v_add_nc_u32_e32 v38, v0, v43
	ds_load_u8 v40, v38 offset:1
	v_mov_b32_e32 v38, v39
.LBB129_96:
	s_or_b32 exec_lo, exec_lo, s6
	v_dual_cndmask_b32 v16, v16, v17 :: v_dual_add_nc_u32 v45, 1, v42
	v_cndmask_b32_e64 v39, v39, v41, s5
	v_cndmask_b32_e64 v41, v42, v43, s5
	v_lshlrev_b16 v10, 8, v10
	s_delay_alu instid0(VALU_DEP_4)
	v_cndmask_b32_e64 v42, v45, v42, s5
	v_and_b32_e32 v8, 0xff, v8
	v_add_nc_u32_e32 v44, 1, v43
	v_cndmask_b32_e64 v18, v19, v18, s0
	v_cndmask_b32_e64 v19, v20, v21, s0
	v_cmp_ge_i32_e64 s0, v42, v13
	s_waitcnt lgkmcnt(0)
	v_and_b32_e32 v13, 0xff, v38
	v_lshlrev_b16 v7, 8, v7
	v_and_b32_e32 v5, 0xff, v5
	v_and_b32_e32 v17, 0xff, v40
	v_or_b32_e32 v8, v8, v10
	v_cndmask_b32_e64 v43, v43, v44, s5
	v_lshlrev_b16 v6, 8, v6
	v_and_b32_e32 v2, 0xff, v2
	v_cndmask_b32_e64 v22, v22, v23, s1
	v_cndmask_b32_e64 v23, v24, v25, s1
	v_or_b32_e32 v5, v5, v7
	v_dual_cndmask_b32 v8, v14, v15 :: v_dual_lshlrev_b32 v7, 16, v8
	v_cmp_lt_u16_e64 s1, v17, v13
	v_cndmask_b32_e64 v26, v26, v27, s2
	v_cndmask_b32_e64 v27, v28, v29, s2
	v_or_b32_e32 v2, v2, v6
	v_cmp_lt_i32_e64 s2, v43, v12
	s_or_b32 s0, s0, s1
	v_lshlrev_b16 v11, 8, v11
	v_and_b32_e32 v5, 0xffff, v5
	v_lshlrev_b32_e32 v2, 16, v2
	s_and_b32 vcc_lo, s2, s0
	v_and_b32_e32 v9, 0xff, v9
	v_cndmask_b32_e64 v34, v34, v35, s4
	v_cndmask_b32_e64 v35, v36, v37, s4
	v_or_b32_e32 v5, v5, v2
	v_cndmask_b32_e32 v2, v42, v43, vcc_lo
	v_or_b32_e32 v9, v9, v11
	v_cndmask_b32_e64 v30, v30, v31, s3
	v_cndmask_b32_e64 v31, v32, v33, s3
	; wave barrier
	s_delay_alu instid0(VALU_DEP_3) | instskip(SKIP_1) | instid1(VALU_DEP_3)
	v_and_b32_e32 v6, 0xffff, v9
	v_add_nc_u32_e32 v9, v0, v27
	v_add_nc_u32_e32 v10, v0, v31
	;; [unrolled: 1-line block ×4, first 2 shown]
	v_or_b32_e32 v6, v6, v7
	v_add_nc_u32_e32 v13, v0, v2
	v_cndmask_b32_e32 v15, v38, v40, vcc_lo
	v_lshlrev_b16 v17, 8, v18
	v_and_b32_e32 v16, 0xff, v16
	ds_store_b64 v1, v[5:6]
	v_add_nc_u32_e32 v5, v0, v8
	v_add_nc_u32_e32 v6, v0, v19
	;; [unrolled: 1-line block ×3, first 2 shown]
	; wave barrier
	ds_load_u8 v5, v5
	ds_load_u8 v7, v6
	;; [unrolled: 1-line block ×8, first 2 shown]
	v_lshlrev_b16 v18, 8, v26
	v_and_b32_e32 v19, 0xff, v22
	v_and_b32_e32 v14, 0x80, v4
	v_or_b32_e32 v16, v16, v17
	v_and_b32_e32 v20, 0xff, v39
	v_lshlrev_b16 v21, 8, v15
	v_or_b32_e32 v17, v19, v18
	v_lshlrev_b16 v18, 8, v34
	v_and_b32_e32 v19, 0xff, v30
	v_or_b32_e32 v13, 64, v14
	v_add_nc_u32_e32 v12, 0x80, v14
	v_and_b32_e32 v15, 0x78, v4
	v_or_b32_e32 v20, v20, v21
	v_or_b32_e32 v18, v19, v18
	v_and_b32_e32 v16, 0xffff, v16
	v_sub_nc_u32_e32 v19, v12, v13
	v_lshlrev_b32_e32 v17, 16, v17
	v_sub_nc_u32_e32 v23, v13, v14
	v_and_b32_e32 v21, 0xffff, v18
	v_lshlrev_b32_e32 v20, 16, v20
	v_sub_nc_u32_e32 v22, v15, v19
	v_cmp_ge_i32_e32 vcc_lo, v15, v19
	v_or_b32_e32 v18, v16, v17
	v_min_i32_e32 v17, v15, v23
	v_or_b32_e32 v19, v21, v20
	s_mov_b32 s1, 0
	v_cndmask_b32_e32 v16, 0, v22, vcc_lo
	s_mov_b32 s0, exec_lo
	; wave barrier
	ds_store_b64 v1, v[18:19]
	; wave barrier
	v_cmpx_lt_i32_e64 v16, v17
	s_cbranch_execz .LBB129_100
; %bb.97:
	v_add_nc_u32_e32 v18, v0, v14
	v_add3_u32 v19, v0, v13, v15
	.p2align	6
.LBB129_98:                             ; =>This Inner Loop Header: Depth=1
	v_sub_nc_u32_e32 v20, v17, v16
	s_delay_alu instid0(VALU_DEP_1) | instskip(NEXT) | instid1(VALU_DEP_1)
	v_lshrrev_b32_e32 v21, 31, v20
	v_add_nc_u32_e32 v20, v20, v21
	s_delay_alu instid0(VALU_DEP_1) | instskip(NEXT) | instid1(VALU_DEP_1)
	v_ashrrev_i32_e32 v20, 1, v20
	v_add_nc_u32_e32 v20, v20, v16
	s_delay_alu instid0(VALU_DEP_1)
	v_add_nc_u32_e32 v21, v18, v20
	v_xad_u32 v22, v20, -1, v19
	v_add_nc_u32_e32 v23, 1, v20
	ds_load_u8 v21, v21
	ds_load_u8 v22, v22
	s_waitcnt lgkmcnt(0)
	v_cmp_lt_u16_e32 vcc_lo, v22, v21
	v_cndmask_b32_e32 v17, v17, v20, vcc_lo
	v_cndmask_b32_e32 v16, v23, v16, vcc_lo
	s_delay_alu instid0(VALU_DEP_1) | instskip(SKIP_1) | instid1(SALU_CYCLE_1)
	v_cmp_ge_i32_e32 vcc_lo, v16, v17
	s_or_b32 s1, vcc_lo, s1
	s_and_not1_b32 exec_lo, exec_lo, s1
	s_cbranch_execnz .LBB129_98
; %bb.99:
	s_or_b32 exec_lo, exec_lo, s1
.LBB129_100:
	s_delay_alu instid0(SALU_CYCLE_1) | instskip(SKIP_2) | instid1(VALU_DEP_2)
	s_or_b32 exec_lo, exec_lo, s0
	v_add_nc_u32_e32 v15, v13, v15
	v_add_nc_u32_e32 v14, v16, v14
	v_sub_nc_u32_e32 v15, v15, v16
	s_delay_alu instid0(VALU_DEP_2) | instskip(SKIP_1) | instid1(VALU_DEP_3)
	v_add_nc_u32_e32 v21, v0, v14
	v_cmp_le_i32_e32 vcc_lo, v13, v14
	v_add_nc_u32_e32 v20, v0, v15
	v_cmp_gt_i32_e64 s1, v12, v15
	ds_load_u8 v16, v21
	ds_load_u8 v17, v20
	s_waitcnt lgkmcnt(1)
	v_and_b32_e32 v18, 0xff, v16
	s_waitcnt lgkmcnt(0)
	v_and_b32_e32 v19, 0xff, v17
	s_delay_alu instid0(VALU_DEP_1) | instskip(NEXT) | instid1(VALU_DEP_1)
	v_cmp_lt_u16_e64 s0, v19, v18
                                        ; implicit-def: $vgpr18
                                        ; implicit-def: $vgpr19
	s_or_b32 s0, vcc_lo, s0
	s_delay_alu instid0(SALU_CYCLE_1) | instskip(NEXT) | instid1(SALU_CYCLE_1)
	s_and_b32 vcc_lo, s1, s0
	s_xor_b32 s0, vcc_lo, -1
	s_delay_alu instid0(SALU_CYCLE_1) | instskip(NEXT) | instid1(SALU_CYCLE_1)
	s_and_saveexec_b32 s1, s0
	s_xor_b32 s0, exec_lo, s1
	s_cbranch_execz .LBB129_102
; %bb.101:
	ds_load_u8 v19, v21 offset:1
	v_mov_b32_e32 v18, v17
                                        ; implicit-def: $vgpr20
.LBB129_102:
	s_and_not1_saveexec_b32 s0, s0
	s_cbranch_execz .LBB129_104
; %bb.103:
	ds_load_u8 v18, v20 offset:1
	s_waitcnt lgkmcnt(1)
	v_mov_b32_e32 v19, v16
.LBB129_104:
	s_or_b32 exec_lo, exec_lo, s0
	v_add_nc_u32_e32 v21, 1, v15
	v_add_nc_u32_e32 v20, 1, v14
	s_waitcnt lgkmcnt(0)
	v_and_b32_e32 v22, 0xff, v19
	v_and_b32_e32 v23, 0xff, v18
	s_delay_alu instid0(VALU_DEP_3) | instskip(NEXT) | instid1(VALU_DEP_2)
	v_dual_cndmask_b32 v21, v15, v21 :: v_dual_cndmask_b32 v20, v20, v14
	v_cmp_lt_u16_e64 s1, v23, v22
                                        ; implicit-def: $vgpr22
	s_delay_alu instid0(VALU_DEP_2) | instskip(NEXT) | instid1(VALU_DEP_3)
	v_cmp_lt_i32_e64 s2, v21, v12
	v_cmp_ge_i32_e64 s0, v20, v13
	s_delay_alu instid0(VALU_DEP_1)
	s_or_b32 s0, s0, s1
	s_delay_alu instid0(VALU_DEP_2) | instid1(SALU_CYCLE_1)
	s_and_b32 s0, s2, s0
	s_delay_alu instid0(SALU_CYCLE_1) | instskip(NEXT) | instid1(SALU_CYCLE_1)
	s_xor_b32 s1, s0, -1
	s_and_saveexec_b32 s2, s1
	s_delay_alu instid0(SALU_CYCLE_1)
	s_xor_b32 s1, exec_lo, s2
	s_cbranch_execz .LBB129_106
; %bb.105:
	v_add_nc_u32_e32 v22, v0, v20
	ds_load_u8 v22, v22 offset:1
.LBB129_106:
	s_or_saveexec_b32 s1, s1
	v_mov_b32_e32 v23, v18
	s_xor_b32 exec_lo, exec_lo, s1
	s_cbranch_execz .LBB129_108
; %bb.107:
	s_waitcnt lgkmcnt(0)
	v_add_nc_u32_e32 v22, v0, v21
	ds_load_u8 v23, v22 offset:1
	v_mov_b32_e32 v22, v19
.LBB129_108:
	s_or_b32 exec_lo, exec_lo, s1
	v_add_nc_u32_e32 v24, 1, v20
	v_add_nc_u32_e32 v25, 1, v21
	s_waitcnt lgkmcnt(0)
	v_and_b32_e32 v26, 0xff, v22
	v_and_b32_e32 v27, 0xff, v23
	v_cndmask_b32_e64 v24, v24, v20, s0
	v_cndmask_b32_e64 v25, v21, v25, s0
	s_delay_alu instid0(VALU_DEP_3) | instskip(NEXT) | instid1(VALU_DEP_3)
	v_cmp_lt_u16_e64 s2, v27, v26
                                        ; implicit-def: $vgpr26
	v_cmp_ge_i32_e64 s1, v24, v13
	s_delay_alu instid0(VALU_DEP_3) | instskip(NEXT) | instid1(VALU_DEP_2)
	v_cmp_lt_i32_e64 s3, v25, v12
	s_or_b32 s1, s1, s2
	s_delay_alu instid0(VALU_DEP_1) | instid1(SALU_CYCLE_1)
	s_and_b32 s1, s3, s1
	s_delay_alu instid0(SALU_CYCLE_1) | instskip(NEXT) | instid1(SALU_CYCLE_1)
	s_xor_b32 s2, s1, -1
	s_and_saveexec_b32 s3, s2
	s_delay_alu instid0(SALU_CYCLE_1)
	s_xor_b32 s2, exec_lo, s3
	s_cbranch_execz .LBB129_110
; %bb.109:
	v_add_nc_u32_e32 v26, v0, v24
	ds_load_u8 v26, v26 offset:1
.LBB129_110:
	s_or_saveexec_b32 s2, s2
	v_mov_b32_e32 v27, v23
	s_xor_b32 exec_lo, exec_lo, s2
	s_cbranch_execz .LBB129_112
; %bb.111:
	s_waitcnt lgkmcnt(0)
	v_add_nc_u32_e32 v26, v0, v25
	ds_load_u8 v27, v26 offset:1
	v_mov_b32_e32 v26, v22
.LBB129_112:
	s_or_b32 exec_lo, exec_lo, s2
	v_add_nc_u32_e32 v28, 1, v24
	v_add_nc_u32_e32 v29, 1, v25
	s_waitcnt lgkmcnt(0)
	v_and_b32_e32 v30, 0xff, v26
	v_and_b32_e32 v31, 0xff, v27
	v_cndmask_b32_e64 v28, v28, v24, s1
	v_cndmask_b32_e64 v29, v25, v29, s1
	s_delay_alu instid0(VALU_DEP_3) | instskip(NEXT) | instid1(VALU_DEP_3)
	v_cmp_lt_u16_e64 s3, v31, v30
                                        ; implicit-def: $vgpr30
	v_cmp_ge_i32_e64 s2, v28, v13
	s_delay_alu instid0(VALU_DEP_3) | instskip(NEXT) | instid1(VALU_DEP_2)
	v_cmp_lt_i32_e64 s4, v29, v12
	s_or_b32 s2, s2, s3
	s_delay_alu instid0(VALU_DEP_1) | instid1(SALU_CYCLE_1)
	s_and_b32 s2, s4, s2
	s_delay_alu instid0(SALU_CYCLE_1) | instskip(NEXT) | instid1(SALU_CYCLE_1)
	s_xor_b32 s3, s2, -1
	s_and_saveexec_b32 s4, s3
	s_delay_alu instid0(SALU_CYCLE_1)
	s_xor_b32 s3, exec_lo, s4
	s_cbranch_execz .LBB129_114
; %bb.113:
	v_add_nc_u32_e32 v30, v0, v28
	ds_load_u8 v30, v30 offset:1
.LBB129_114:
	s_or_saveexec_b32 s3, s3
	v_mov_b32_e32 v31, v27
	s_xor_b32 exec_lo, exec_lo, s3
	s_cbranch_execz .LBB129_116
; %bb.115:
	s_waitcnt lgkmcnt(0)
	v_add_nc_u32_e32 v30, v0, v29
	ds_load_u8 v31, v30 offset:1
	v_mov_b32_e32 v30, v26
.LBB129_116:
	s_or_b32 exec_lo, exec_lo, s3
	v_add_nc_u32_e32 v32, 1, v28
	v_add_nc_u32_e32 v33, 1, v29
	s_waitcnt lgkmcnt(0)
	v_and_b32_e32 v34, 0xff, v30
	v_and_b32_e32 v35, 0xff, v31
	v_cndmask_b32_e64 v32, v32, v28, s2
	v_cndmask_b32_e64 v33, v29, v33, s2
	s_delay_alu instid0(VALU_DEP_3) | instskip(NEXT) | instid1(VALU_DEP_3)
	v_cmp_lt_u16_e64 s4, v35, v34
                                        ; implicit-def: $vgpr34
	v_cmp_ge_i32_e64 s3, v32, v13
	s_delay_alu instid0(VALU_DEP_3) | instskip(NEXT) | instid1(VALU_DEP_2)
	v_cmp_lt_i32_e64 s5, v33, v12
	s_or_b32 s3, s3, s4
	s_delay_alu instid0(VALU_DEP_1) | instid1(SALU_CYCLE_1)
	s_and_b32 s3, s5, s3
	s_delay_alu instid0(SALU_CYCLE_1) | instskip(NEXT) | instid1(SALU_CYCLE_1)
	s_xor_b32 s4, s3, -1
	s_and_saveexec_b32 s5, s4
	s_delay_alu instid0(SALU_CYCLE_1)
	s_xor_b32 s4, exec_lo, s5
	s_cbranch_execz .LBB129_118
; %bb.117:
	v_add_nc_u32_e32 v34, v0, v32
	ds_load_u8 v34, v34 offset:1
.LBB129_118:
	s_or_saveexec_b32 s4, s4
	v_mov_b32_e32 v35, v31
	s_xor_b32 exec_lo, exec_lo, s4
	s_cbranch_execz .LBB129_120
; %bb.119:
	s_waitcnt lgkmcnt(0)
	v_add_nc_u32_e32 v34, v0, v33
	ds_load_u8 v35, v34 offset:1
	v_mov_b32_e32 v34, v30
.LBB129_120:
	s_or_b32 exec_lo, exec_lo, s4
	v_add_nc_u32_e32 v36, 1, v32
	v_add_nc_u32_e32 v37, 1, v33
	s_waitcnt lgkmcnt(0)
	v_and_b32_e32 v38, 0xff, v34
	v_and_b32_e32 v39, 0xff, v35
	v_cndmask_b32_e64 v36, v36, v32, s3
	v_cndmask_b32_e64 v37, v33, v37, s3
	s_delay_alu instid0(VALU_DEP_3) | instskip(NEXT) | instid1(VALU_DEP_3)
	v_cmp_lt_u16_e64 s5, v39, v38
                                        ; implicit-def: $vgpr39
	v_cmp_ge_i32_e64 s4, v36, v13
	s_delay_alu instid0(VALU_DEP_3) | instskip(NEXT) | instid1(VALU_DEP_2)
	v_cmp_lt_i32_e64 s6, v37, v12
	s_or_b32 s4, s4, s5
	s_delay_alu instid0(VALU_DEP_1) | instid1(SALU_CYCLE_1)
	s_and_b32 s4, s6, s4
	s_delay_alu instid0(SALU_CYCLE_1) | instskip(NEXT) | instid1(SALU_CYCLE_1)
	s_xor_b32 s5, s4, -1
	s_and_saveexec_b32 s6, s5
	s_delay_alu instid0(SALU_CYCLE_1)
	s_xor_b32 s5, exec_lo, s6
	s_cbranch_execz .LBB129_122
; %bb.121:
	v_add_nc_u32_e32 v38, v0, v36
	ds_load_u8 v39, v38 offset:1
.LBB129_122:
	s_or_saveexec_b32 s5, s5
	v_mov_b32_e32 v41, v35
	s_xor_b32 exec_lo, exec_lo, s5
	s_cbranch_execz .LBB129_124
; %bb.123:
	s_waitcnt lgkmcnt(0)
	v_dual_mov_b32 v39, v34 :: v_dual_add_nc_u32 v38, v0, v37
	ds_load_u8 v41, v38 offset:1
.LBB129_124:
	s_or_b32 exec_lo, exec_lo, s5
	v_add_nc_u32_e32 v38, 1, v36
	v_add_nc_u32_e32 v40, 1, v37
	s_waitcnt lgkmcnt(0)
	v_and_b32_e32 v44, 0xff, v39
	s_delay_alu instid0(VALU_DEP_3) | instskip(SKIP_2) | instid1(VALU_DEP_3)
	v_cndmask_b32_e64 v42, v38, v36, s4
	v_and_b32_e32 v38, 0xff, v41
	v_cndmask_b32_e64 v43, v37, v40, s4
	v_cmp_ge_i32_e64 s5, v42, v13
	s_delay_alu instid0(VALU_DEP_3) | instskip(NEXT) | instid1(VALU_DEP_3)
	v_cmp_lt_u16_e64 s6, v38, v44
	v_cmp_lt_i32_e64 s7, v43, v12
                                        ; implicit-def: $vgpr38
	s_delay_alu instid0(VALU_DEP_2)
	s_or_b32 s5, s5, s6
	s_delay_alu instid0(VALU_DEP_1) | instid1(SALU_CYCLE_1)
	s_and_b32 s5, s7, s5
	s_delay_alu instid0(SALU_CYCLE_1) | instskip(NEXT) | instid1(SALU_CYCLE_1)
	s_xor_b32 s6, s5, -1
	s_and_saveexec_b32 s7, s6
	s_delay_alu instid0(SALU_CYCLE_1)
	s_xor_b32 s6, exec_lo, s7
	s_cbranch_execz .LBB129_126
; %bb.125:
	v_add_nc_u32_e32 v38, v0, v42
	ds_load_u8 v38, v38 offset:1
.LBB129_126:
	s_or_saveexec_b32 s6, s6
	v_mov_b32_e32 v40, v41
	s_xor_b32 exec_lo, exec_lo, s6
	s_cbranch_execz .LBB129_128
; %bb.127:
	s_waitcnt lgkmcnt(0)
	v_add_nc_u32_e32 v38, v0, v43
	ds_load_u8 v40, v38 offset:1
	v_mov_b32_e32 v38, v39
.LBB129_128:
	s_or_b32 exec_lo, exec_lo, s6
	v_dual_cndmask_b32 v16, v16, v17 :: v_dual_add_nc_u32 v45, 1, v42
	v_add_nc_u32_e32 v44, 1, v43
	v_cndmask_b32_e64 v39, v39, v41, s5
	v_cndmask_b32_e64 v41, v42, v43, s5
	s_delay_alu instid0(VALU_DEP_4)
	v_cndmask_b32_e64 v42, v45, v42, s5
	v_lshlrev_b16 v10, 8, v10
	v_and_b32_e32 v8, 0xff, v8
	v_cndmask_b32_e64 v43, v43, v44, s5
	v_cndmask_b32_e64 v18, v19, v18, s0
	;; [unrolled: 1-line block ×3, first 2 shown]
	v_cmp_ge_i32_e64 s0, v42, v13
	s_waitcnt lgkmcnt(0)
	v_and_b32_e32 v13, 0xff, v38
	v_lshlrev_b16 v7, 8, v7
	v_and_b32_e32 v5, 0xff, v5
	v_and_b32_e32 v17, 0xff, v40
	v_or_b32_e32 v8, v8, v10
	v_cndmask_b32_e64 v22, v22, v23, s1
	v_cndmask_b32_e64 v23, v24, v25, s1
	v_or_b32_e32 v5, v5, v7
	v_cndmask_b32_e64 v26, v26, v27, s2
	v_dual_cndmask_b32 v8, v14, v15 :: v_dual_lshlrev_b32 v7, 16, v8
	v_cmp_lt_u16_e64 s1, v17, v13
	v_cndmask_b32_e64 v27, v28, v29, s2
	v_cmp_lt_i32_e64 s2, v43, v12
	v_lshlrev_b16 v11, 8, v11
	v_lshlrev_b16 v6, 8, v6
	s_or_b32 s0, s0, s1
	v_and_b32_e32 v2, 0xff, v2
	s_and_b32 vcc_lo, s2, s0
	v_dual_cndmask_b32 v12, v38, v40 :: v_dual_and_b32 v9, 0xff, v9
	v_and_b32_e32 v5, 0xffff, v5
	s_delay_alu instid0(VALU_DEP_3) | instskip(SKIP_1) | instid1(VALU_DEP_4)
	v_or_b32_e32 v2, v2, v6
	v_cndmask_b32_e64 v34, v34, v35, s4
	v_or_b32_e32 v9, v9, v11
	v_cndmask_b32_e64 v35, v36, v37, s4
	v_cndmask_b32_e64 v30, v30, v31, s3
	v_lshlrev_b32_e32 v2, 16, v2
	v_cndmask_b32_e64 v31, v32, v33, s3
	v_and_b32_e32 v6, 0xffff, v9
	; wave barrier
	s_delay_alu instid0(VALU_DEP_3) | instskip(SKIP_1) | instid1(VALU_DEP_3)
	v_or_b32_e32 v5, v5, v2
	v_cndmask_b32_e32 v2, v42, v43, vcc_lo
	v_or_b32_e32 v6, v6, v7
	v_add_nc_u32_e32 v9, v0, v27
	v_add_nc_u32_e32 v10, v0, v31
	;; [unrolled: 1-line block ×4, first 2 shown]
	ds_store_b64 v1, v[5:6]
	v_add_nc_u32_e32 v5, v0, v8
	v_add_nc_u32_e32 v6, v0, v19
	;; [unrolled: 1-line block ×3, first 2 shown]
	; wave barrier
	v_add_nc_u32_e32 v14, v0, v2
	ds_load_u8 v5, v5
	ds_load_u8 v7, v6
	;; [unrolled: 1-line block ×8, first 2 shown]
	v_lshlrev_b16 v13, 8, v18
	v_and_b32_e32 v14, 0xff, v16
	v_lshlrev_b16 v15, 8, v26
	v_and_b32_e32 v16, 0xff, v22
	;; [unrolled: 2-line block ×3, first 2 shown]
	v_and_b32_e32 v19, 0xff, v39
	v_lshlrev_b16 v20, 8, v12
	v_or_b32_e32 v13, v14, v13
	v_and_b32_e32 v12, 0xf8, v4
	v_or_b32_e32 v4, v16, v15
	v_or_b32_e32 v14, v18, v17
	;; [unrolled: 1-line block ×3, first 2 shown]
	v_and_b32_e32 v16, 0xffff, v13
	v_add_nc_u32_e32 v13, 0xffffff80, v12
	v_lshlrev_b32_e32 v17, 16, v4
	v_and_b32_e32 v18, 0xffff, v14
	v_lshlrev_b32_e32 v15, 16, v15
	v_cmp_lt_i32_e32 vcc_lo, 0x7f, v12
	s_mov_b32 s0, exec_lo
	v_or_b32_e32 v14, v16, v17
	s_delay_alu instid0(VALU_DEP_3)
	v_or_b32_e32 v15, v18, v15
	v_cndmask_b32_e32 v4, 0, v13, vcc_lo
	v_min_i32_e32 v13, 0x80, v12
	; wave barrier
	ds_store_b64 v1, v[14:15]
	; wave barrier
	v_cmpx_lt_i32_e64 v4, v13
	s_cbranch_execz .LBB129_132
; %bb.129:
	v_add3_u32 v14, 0x80, v0, v12
	s_mov_b32 s1, 0
	.p2align	6
.LBB129_130:                            ; =>This Inner Loop Header: Depth=1
	v_sub_nc_u32_e32 v15, v13, v4
	s_delay_alu instid0(VALU_DEP_1) | instskip(NEXT) | instid1(VALU_DEP_1)
	v_lshrrev_b32_e32 v16, 31, v15
	v_add_nc_u32_e32 v15, v15, v16
	s_delay_alu instid0(VALU_DEP_1) | instskip(NEXT) | instid1(VALU_DEP_1)
	v_ashrrev_i32_e32 v15, 1, v15
	v_add_nc_u32_e32 v15, v15, v4
	s_delay_alu instid0(VALU_DEP_1)
	v_add_nc_u32_e32 v16, v0, v15
	v_xad_u32 v17, v15, -1, v14
	v_add_nc_u32_e32 v18, 1, v15
	ds_load_u8 v16, v16
	ds_load_u8 v17, v17
	s_waitcnt lgkmcnt(0)
	v_cmp_lt_u16_e32 vcc_lo, v17, v16
	v_dual_cndmask_b32 v13, v13, v15 :: v_dual_cndmask_b32 v4, v18, v4
	s_delay_alu instid0(VALU_DEP_1) | instskip(SKIP_1) | instid1(SALU_CYCLE_1)
	v_cmp_ge_i32_e32 vcc_lo, v4, v13
	s_or_b32 s1, vcc_lo, s1
	s_and_not1_b32 exec_lo, exec_lo, s1
	s_cbranch_execnz .LBB129_130
; %bb.131:
	s_or_b32 exec_lo, exec_lo, s1
.LBB129_132:
	s_delay_alu instid0(SALU_CYCLE_1) | instskip(SKIP_3) | instid1(VALU_DEP_3)
	s_or_b32 exec_lo, exec_lo, s0
	v_add_nc_u32_e32 v12, 0x80, v12
	v_add_nc_u32_e32 v18, v0, v4
	v_cmp_le_i32_e32 vcc_lo, 0x80, v4
	v_sub_nc_u32_e32 v16, v12, v4
	s_delay_alu instid0(VALU_DEP_1)
	v_add_nc_u32_e32 v17, v0, v16
	v_cmp_gt_i32_e64 s1, 0x100, v16
	ds_load_u8 v12, v18
	ds_load_u8 v13, v17
	s_waitcnt lgkmcnt(1)
	v_and_b32_e32 v14, 0xff, v12
	s_waitcnt lgkmcnt(0)
	v_and_b32_e32 v15, 0xff, v13
	s_delay_alu instid0(VALU_DEP_1) | instskip(NEXT) | instid1(VALU_DEP_1)
	v_cmp_lt_u16_e64 s0, v15, v14
                                        ; implicit-def: $vgpr14
                                        ; implicit-def: $vgpr15
	s_or_b32 s0, vcc_lo, s0
	s_delay_alu instid0(SALU_CYCLE_1) | instskip(NEXT) | instid1(SALU_CYCLE_1)
	s_and_b32 vcc_lo, s1, s0
	s_xor_b32 s0, vcc_lo, -1
	s_delay_alu instid0(SALU_CYCLE_1) | instskip(NEXT) | instid1(SALU_CYCLE_1)
	s_and_saveexec_b32 s1, s0
	s_xor_b32 s0, exec_lo, s1
	s_cbranch_execz .LBB129_134
; %bb.133:
	ds_load_u8 v15, v18 offset:1
	v_mov_b32_e32 v14, v13
                                        ; implicit-def: $vgpr17
.LBB129_134:
	s_and_not1_saveexec_b32 s0, s0
	s_cbranch_execz .LBB129_136
; %bb.135:
	ds_load_u8 v14, v17 offset:1
	s_waitcnt lgkmcnt(1)
	v_mov_b32_e32 v15, v12
.LBB129_136:
	s_or_b32 exec_lo, exec_lo, s0
	v_add_nc_u32_e32 v18, 1, v16
	v_add_nc_u32_e32 v17, 1, v4
	s_waitcnt lgkmcnt(0)
	s_delay_alu instid0(VALU_DEP_2) | instskip(NEXT) | instid1(VALU_DEP_2)
	v_dual_cndmask_b32 v22, v16, v18 :: v_dual_and_b32 v19, 0xff, v15
	v_cndmask_b32_e32 v21, v17, v4, vcc_lo
	v_and_b32_e32 v17, 0xff, v14
	s_delay_alu instid0(VALU_DEP_3) | instskip(NEXT) | instid1(VALU_DEP_3)
	v_cmp_gt_i32_e64 s2, 0x100, v22
	v_cmp_le_i32_e64 s0, 0x80, v21
	s_delay_alu instid0(VALU_DEP_3) | instskip(NEXT) | instid1(VALU_DEP_1)
	v_cmp_lt_u16_e64 s1, v17, v19
                                        ; implicit-def: $vgpr17
	s_or_b32 s0, s0, s1
	s_delay_alu instid0(VALU_DEP_3) | instid1(SALU_CYCLE_1)
	s_and_b32 s0, s2, s0
	s_delay_alu instid0(SALU_CYCLE_1) | instskip(NEXT) | instid1(SALU_CYCLE_1)
	s_xor_b32 s1, s0, -1
	s_and_saveexec_b32 s2, s1
	s_delay_alu instid0(SALU_CYCLE_1)
	s_xor_b32 s1, exec_lo, s2
	s_cbranch_execz .LBB129_138
; %bb.137:
	v_add_nc_u32_e32 v17, v0, v21
	ds_load_u8 v17, v17 offset:1
.LBB129_138:
	s_or_saveexec_b32 s1, s1
	v_mov_b32_e32 v18, v14
	s_xor_b32 exec_lo, exec_lo, s1
	s_cbranch_execz .LBB129_140
; %bb.139:
	s_waitcnt lgkmcnt(0)
	v_add_nc_u32_e32 v17, v0, v22
	ds_load_u8 v18, v17 offset:1
	v_mov_b32_e32 v17, v15
.LBB129_140:
	s_or_b32 exec_lo, exec_lo, s1
	v_add_nc_u32_e32 v19, 1, v21
	v_add_nc_u32_e32 v20, 1, v22
	s_waitcnt lgkmcnt(0)
	v_and_b32_e32 v23, 0xff, v17
	s_delay_alu instid0(VALU_DEP_3) | instskip(SKIP_2) | instid1(VALU_DEP_3)
	v_cndmask_b32_e64 v25, v19, v21, s0
	v_and_b32_e32 v19, 0xff, v18
	v_cndmask_b32_e64 v26, v22, v20, s0
	v_cmp_le_i32_e64 s1, 0x80, v25
	s_delay_alu instid0(VALU_DEP_3) | instskip(NEXT) | instid1(VALU_DEP_3)
	v_cmp_lt_u16_e64 s2, v19, v23
	v_cmp_gt_i32_e64 s3, 0x100, v26
                                        ; implicit-def: $vgpr19
	s_delay_alu instid0(VALU_DEP_2)
	s_or_b32 s1, s1, s2
	s_delay_alu instid0(VALU_DEP_1) | instid1(SALU_CYCLE_1)
	s_and_b32 s1, s3, s1
	s_delay_alu instid0(SALU_CYCLE_1) | instskip(NEXT) | instid1(SALU_CYCLE_1)
	s_xor_b32 s2, s1, -1
	s_and_saveexec_b32 s3, s2
	s_delay_alu instid0(SALU_CYCLE_1)
	s_xor_b32 s2, exec_lo, s3
	s_cbranch_execz .LBB129_142
; %bb.141:
	v_add_nc_u32_e32 v19, v0, v25
	ds_load_u8 v19, v19 offset:1
.LBB129_142:
	s_or_saveexec_b32 s2, s2
	v_mov_b32_e32 v20, v18
	s_xor_b32 exec_lo, exec_lo, s2
	s_cbranch_execz .LBB129_144
; %bb.143:
	s_waitcnt lgkmcnt(0)
	v_add_nc_u32_e32 v19, v0, v26
	ds_load_u8 v20, v19 offset:1
	v_mov_b32_e32 v19, v17
.LBB129_144:
	s_or_b32 exec_lo, exec_lo, s2
	v_add_nc_u32_e32 v23, 1, v25
	v_add_nc_u32_e32 v24, 1, v26
	s_waitcnt lgkmcnt(0)
	v_and_b32_e32 v27, 0xff, v19
	s_delay_alu instid0(VALU_DEP_3) | instskip(SKIP_2) | instid1(VALU_DEP_3)
	v_cndmask_b32_e64 v29, v23, v25, s1
	v_and_b32_e32 v23, 0xff, v20
	v_cndmask_b32_e64 v30, v26, v24, s1
	v_cmp_le_i32_e64 s2, 0x80, v29
	s_delay_alu instid0(VALU_DEP_3) | instskip(NEXT) | instid1(VALU_DEP_3)
	v_cmp_lt_u16_e64 s3, v23, v27
	v_cmp_gt_i32_e64 s4, 0x100, v30
                                        ; implicit-def: $vgpr23
	s_delay_alu instid0(VALU_DEP_2)
	s_or_b32 s2, s2, s3
	s_delay_alu instid0(VALU_DEP_1) | instid1(SALU_CYCLE_1)
	s_and_b32 s2, s4, s2
	s_delay_alu instid0(SALU_CYCLE_1) | instskip(NEXT) | instid1(SALU_CYCLE_1)
	s_xor_b32 s3, s2, -1
	s_and_saveexec_b32 s4, s3
	s_delay_alu instid0(SALU_CYCLE_1)
	s_xor_b32 s3, exec_lo, s4
	s_cbranch_execz .LBB129_146
; %bb.145:
	v_add_nc_u32_e32 v23, v0, v29
	ds_load_u8 v23, v23 offset:1
.LBB129_146:
	s_or_saveexec_b32 s3, s3
	v_mov_b32_e32 v24, v20
	s_xor_b32 exec_lo, exec_lo, s3
	s_cbranch_execz .LBB129_148
; %bb.147:
	s_waitcnt lgkmcnt(0)
	v_add_nc_u32_e32 v23, v0, v30
	ds_load_u8 v24, v23 offset:1
	v_mov_b32_e32 v23, v19
.LBB129_148:
	s_or_b32 exec_lo, exec_lo, s3
	v_add_nc_u32_e32 v27, 1, v29
	v_add_nc_u32_e32 v28, 1, v30
	s_waitcnt lgkmcnt(0)
	v_and_b32_e32 v33, 0xff, v23
	s_delay_alu instid0(VALU_DEP_3) | instskip(SKIP_2) | instid1(VALU_DEP_3)
	v_cndmask_b32_e64 v31, v27, v29, s2
	v_and_b32_e32 v27, 0xff, v24
	v_cndmask_b32_e64 v32, v30, v28, s2
	v_cmp_le_i32_e64 s3, 0x80, v31
	s_delay_alu instid0(VALU_DEP_3) | instskip(NEXT) | instid1(VALU_DEP_3)
	v_cmp_lt_u16_e64 s4, v27, v33
	v_cmp_gt_i32_e64 s5, 0x100, v32
                                        ; implicit-def: $vgpr27
	s_delay_alu instid0(VALU_DEP_2)
	s_or_b32 s3, s3, s4
	s_delay_alu instid0(VALU_DEP_1) | instid1(SALU_CYCLE_1)
	s_and_b32 s3, s5, s3
	s_delay_alu instid0(SALU_CYCLE_1) | instskip(NEXT) | instid1(SALU_CYCLE_1)
	s_xor_b32 s4, s3, -1
	s_and_saveexec_b32 s5, s4
	s_delay_alu instid0(SALU_CYCLE_1)
	s_xor_b32 s4, exec_lo, s5
	s_cbranch_execz .LBB129_150
; %bb.149:
	v_add_nc_u32_e32 v27, v0, v31
	ds_load_u8 v27, v27 offset:1
.LBB129_150:
	s_or_saveexec_b32 s4, s4
	v_mov_b32_e32 v28, v24
	s_xor_b32 exec_lo, exec_lo, s4
	s_cbranch_execz .LBB129_152
; %bb.151:
	s_waitcnt lgkmcnt(0)
	v_add_nc_u32_e32 v27, v0, v32
	ds_load_u8 v28, v27 offset:1
	v_mov_b32_e32 v27, v23
.LBB129_152:
	s_or_b32 exec_lo, exec_lo, s4
	v_add_nc_u32_e32 v33, 1, v31
	v_add_nc_u32_e32 v34, 1, v32
	s_waitcnt lgkmcnt(0)
	v_and_b32_e32 v37, 0xff, v27
                                        ; implicit-def: $vgpr41
	s_delay_alu instid0(VALU_DEP_3) | instskip(SKIP_2) | instid1(VALU_DEP_3)
	v_cndmask_b32_e64 v35, v33, v31, s3
	v_and_b32_e32 v33, 0xff, v28
	v_cndmask_b32_e64 v36, v32, v34, s3
	v_cmp_le_i32_e64 s4, 0x80, v35
	s_delay_alu instid0(VALU_DEP_3) | instskip(NEXT) | instid1(VALU_DEP_3)
	v_cmp_lt_u16_e64 s5, v33, v37
	v_cmp_gt_i32_e64 s6, 0x100, v36
	s_delay_alu instid0(VALU_DEP_2)
	s_or_b32 s4, s4, s5
	s_delay_alu instid0(VALU_DEP_1) | instid1(SALU_CYCLE_1)
	s_and_b32 s4, s6, s4
	s_delay_alu instid0(SALU_CYCLE_1) | instskip(NEXT) | instid1(SALU_CYCLE_1)
	s_xor_b32 s5, s4, -1
	s_and_saveexec_b32 s6, s5
	s_delay_alu instid0(SALU_CYCLE_1)
	s_xor_b32 s5, exec_lo, s6
	s_cbranch_execz .LBB129_154
; %bb.153:
	v_add_nc_u32_e32 v33, v0, v35
	ds_load_u8 v41, v33 offset:1
.LBB129_154:
	s_or_saveexec_b32 s5, s5
	v_mov_b32_e32 v33, v28
	s_xor_b32 exec_lo, exec_lo, s5
	s_cbranch_execz .LBB129_156
; %bb.155:
	v_add_nc_u32_e32 v33, v0, v36
	s_waitcnt lgkmcnt(0)
	v_mov_b32_e32 v41, v27
	ds_load_u8 v33, v33 offset:1
.LBB129_156:
	s_or_b32 exec_lo, exec_lo, s5
	v_add_nc_u32_e32 v34, 1, v35
	v_add_nc_u32_e32 v37, 1, v36
	s_waitcnt lgkmcnt(0)
	v_and_b32_e32 v38, 0xff, v41
                                        ; implicit-def: $vgpr39
	s_delay_alu instid0(VALU_DEP_3) | instskip(SKIP_2) | instid1(VALU_DEP_3)
	v_cndmask_b32_e64 v42, v34, v35, s4
	v_and_b32_e32 v34, 0xff, v33
	v_cndmask_b32_e64 v37, v36, v37, s4
	v_cmp_gt_i32_e64 s5, 0x80, v42
	s_delay_alu instid0(VALU_DEP_3) | instskip(NEXT) | instid1(VALU_DEP_3)
	v_cmp_ge_u16_e64 s6, v34, v38
	v_cmp_le_i32_e64 s7, 0x100, v37
                                        ; implicit-def: $vgpr38
	s_delay_alu instid0(VALU_DEP_2)
	s_and_b32 s5, s5, s6
	s_delay_alu instid0(VALU_DEP_1) | instid1(SALU_CYCLE_1)
	s_or_b32 s5, s7, s5
	s_delay_alu instid0(SALU_CYCLE_1) | instskip(NEXT) | instid1(SALU_CYCLE_1)
	s_and_saveexec_b32 s6, s5
	s_xor_b32 s5, exec_lo, s6
	s_cbranch_execz .LBB129_158
; %bb.157:
	v_add_nc_u32_e32 v34, v0, v42
	v_add_nc_u32_e32 v38, 1, v42
	ds_load_u8 v39, v34 offset:1
.LBB129_158:
	s_or_saveexec_b32 s5, s5
	v_mov_b32_e32 v34, v41
	v_mov_b32_e32 v40, v42
	s_xor_b32 exec_lo, exec_lo, s5
	s_cbranch_execz .LBB129_160
; %bb.159:
	s_waitcnt lgkmcnt(0)
	v_add_nc_u32_e32 v39, 1, v37
	v_add_nc_u32_e32 v34, v0, v37
	v_mov_b32_e32 v40, v37
	s_delay_alu instid0(VALU_DEP_3)
	v_dual_mov_b32 v38, v42 :: v_dual_mov_b32 v37, v39
	v_mov_b32_e32 v39, v41
	ds_load_u8 v43, v34 offset:1
	s_waitcnt lgkmcnt(0)
	v_dual_mov_b32 v34, v33 :: v_dual_mov_b32 v33, v43
.LBB129_160:
	s_or_b32 exec_lo, exec_lo, s5
	v_lshlrev_b16 v11, 8, v11
	v_and_b32_e32 v9, 0xff, v9
	v_lshlrev_b16 v10, 8, v10
	v_and_b32_e32 v8, 0xff, v8
	;; [unrolled: 2-line block ×4, first 2 shown]
	v_cndmask_b32_e64 v25, v25, v26, s1
	v_cndmask_b32_e64 v21, v21, v22, s0
	s_waitcnt lgkmcnt(0)
	v_and_b32_e32 v22, 0xff, v39
	v_and_b32_e32 v26, 0xff, v33
	v_or_b32_e32 v9, v9, v11
	v_or_b32_e32 v5, v5, v7
	;; [unrolled: 1-line block ×3, first 2 shown]
	v_cndmask_b32_e32 v11, v12, v13, vcc_lo
	v_or_b32_e32 v8, v8, v10
	v_cmp_le_i32_e64 s5, 0x80, v38
	v_dual_cndmask_b32 v9, v4, v16 :: v_dual_and_b32 v6, 0xffff, v9
	v_cmp_lt_u16_e64 s6, v26, v22
	s_delay_alu instid0(VALU_DEP_4)
	v_lshlrev_b32_e32 v7, 16, v8
	v_and_b32_e32 v8, 0xffff, v5
	v_lshlrev_b32_e32 v2, 16, v2
	v_cmp_gt_i32_e64 s7, 0x100, v37
	s_or_b32 s5, s5, s6
	v_or_b32_e32 v5, v6, v7
	v_cndmask_b32_e64 v29, v29, v30, s2
	v_or_b32_e32 v4, v8, v2
	s_and_b32 s5, s7, s5
	v_cndmask_b32_e64 v35, v35, v36, s4
	v_cndmask_b32_e64 v31, v31, v32, s3
	v_cndmask_b32_e64 v6, v38, v37, s5
	; wave barrier
	ds_store_b64 v1, v[4:5]
	v_add_nc_u32_e32 v1, v0, v9
	v_add_nc_u32_e32 v4, v0, v21
	;; [unrolled: 1-line block ×8, first 2 shown]
	; wave barrier
	ds_load_u8 v1, v1
	ds_load_u8 v4, v4
	;; [unrolled: 1-line block ×8, first 2 shown]
	v_cndmask_b32_e64 v2, v39, v33, s5
	v_cndmask_b32_e64 v10, v27, v28, s4
	;; [unrolled: 1-line block ×6, first 2 shown]
	s_add_u32 s0, s38, s40
	s_addc_u32 s1, s39, 0
	s_waitcnt lgkmcnt(7)
	v_add_nc_u16 v1, v1, v11
	s_waitcnt lgkmcnt(6)
	v_add_nc_u16 v4, v4, v12
	;; [unrolled: 2-line block ×8, first 2 shown]
	v_lshlrev_b16 v2, 8, v4
	v_and_b32_e32 v1, 0xff, v1
	v_lshlrev_b16 v4, 8, v6
	v_and_b32_e32 v5, 0xff, v5
	;; [unrolled: 2-line block ×4, first 2 shown]
	v_or_b32_e32 v1, v1, v2
	v_or_b32_e32 v2, v5, v4
	;; [unrolled: 1-line block ×3, first 2 shown]
	s_delay_alu instid0(VALU_DEP_4) | instskip(NEXT) | instid1(VALU_DEP_4)
	v_or_b32_e32 v0, v8, v0
	v_and_b32_e32 v5, 0xffff, v1
	s_delay_alu instid0(VALU_DEP_4) | instskip(NEXT) | instid1(VALU_DEP_4)
	v_lshlrev_b32_e32 v2, 16, v2
	v_and_b32_e32 v4, 0xffff, v4
	s_delay_alu instid0(VALU_DEP_4) | instskip(SKIP_1) | instid1(VALU_DEP_1)
	v_lshlrev_b32_e32 v6, 16, v0
	v_add_co_u32 v0, s0, s0, v3
	v_add_co_ci_u32_e64 v1, null, s1, 0, s0
	v_or_b32_e32 v2, v5, v2
	s_delay_alu instid0(VALU_DEP_4)
	v_or_b32_e32 v3, v4, v6
	global_store_b64 v[0:1], v[2:3], off
	s_nop 0
	s_sendmsg sendmsg(MSG_DEALLOC_VGPRS)
	s_endpgm
	.section	.rodata,"a",@progbits
	.p2align	6, 0x0
	.amdhsa_kernel _Z10sort_pairsILj256ELj32ELj8EhN10test_utils4lessEEvPKT2_PS2_T3_
		.amdhsa_group_segment_fixed_size 2056
		.amdhsa_private_segment_fixed_size 0
		.amdhsa_kernarg_size 20
		.amdhsa_user_sgpr_count 15
		.amdhsa_user_sgpr_dispatch_ptr 0
		.amdhsa_user_sgpr_queue_ptr 0
		.amdhsa_user_sgpr_kernarg_segment_ptr 1
		.amdhsa_user_sgpr_dispatch_id 0
		.amdhsa_user_sgpr_private_segment_size 0
		.amdhsa_wavefront_size32 1
		.amdhsa_uses_dynamic_stack 0
		.amdhsa_enable_private_segment 0
		.amdhsa_system_sgpr_workgroup_id_x 1
		.amdhsa_system_sgpr_workgroup_id_y 0
		.amdhsa_system_sgpr_workgroup_id_z 0
		.amdhsa_system_sgpr_workgroup_info 0
		.amdhsa_system_vgpr_workitem_id 0
		.amdhsa_next_free_vgpr 46
		.amdhsa_next_free_sgpr 41
		.amdhsa_reserve_vcc 1
		.amdhsa_float_round_mode_32 0
		.amdhsa_float_round_mode_16_64 0
		.amdhsa_float_denorm_mode_32 3
		.amdhsa_float_denorm_mode_16_64 3
		.amdhsa_dx10_clamp 1
		.amdhsa_ieee_mode 1
		.amdhsa_fp16_overflow 0
		.amdhsa_workgroup_processor_mode 1
		.amdhsa_memory_ordered 1
		.amdhsa_forward_progress 0
		.amdhsa_shared_vgpr_count 0
		.amdhsa_exception_fp_ieee_invalid_op 0
		.amdhsa_exception_fp_denorm_src 0
		.amdhsa_exception_fp_ieee_div_zero 0
		.amdhsa_exception_fp_ieee_overflow 0
		.amdhsa_exception_fp_ieee_underflow 0
		.amdhsa_exception_fp_ieee_inexact 0
		.amdhsa_exception_int_div_zero 0
	.end_amdhsa_kernel
	.section	.text._Z10sort_pairsILj256ELj32ELj8EhN10test_utils4lessEEvPKT2_PS2_T3_,"axG",@progbits,_Z10sort_pairsILj256ELj32ELj8EhN10test_utils4lessEEvPKT2_PS2_T3_,comdat
.Lfunc_end129:
	.size	_Z10sort_pairsILj256ELj32ELj8EhN10test_utils4lessEEvPKT2_PS2_T3_, .Lfunc_end129-_Z10sort_pairsILj256ELj32ELj8EhN10test_utils4lessEEvPKT2_PS2_T3_
                                        ; -- End function
	.section	.AMDGPU.csdata,"",@progbits
; Kernel info:
; codeLenInByte = 12692
; NumSgprs: 43
; NumVgprs: 46
; ScratchSize: 0
; MemoryBound: 0
; FloatMode: 240
; IeeeMode: 1
; LDSByteSize: 2056 bytes/workgroup (compile time only)
; SGPRBlocks: 5
; VGPRBlocks: 5
; NumSGPRsForWavesPerEU: 43
; NumVGPRsForWavesPerEU: 46
; Occupancy: 16
; WaveLimiterHint : 0
; COMPUTE_PGM_RSRC2:SCRATCH_EN: 0
; COMPUTE_PGM_RSRC2:USER_SGPR: 15
; COMPUTE_PGM_RSRC2:TRAP_HANDLER: 0
; COMPUTE_PGM_RSRC2:TGID_X_EN: 1
; COMPUTE_PGM_RSRC2:TGID_Y_EN: 0
; COMPUTE_PGM_RSRC2:TGID_Z_EN: 0
; COMPUTE_PGM_RSRC2:TIDIG_COMP_CNT: 0
	.section	.text._Z19sort_keys_segmentedILj256ELj32ELj8EhN10test_utils4lessEEvPKT2_PS2_PKjT3_,"axG",@progbits,_Z19sort_keys_segmentedILj256ELj32ELj8EhN10test_utils4lessEEvPKT2_PS2_PKjT3_,comdat
	.protected	_Z19sort_keys_segmentedILj256ELj32ELj8EhN10test_utils4lessEEvPKT2_PS2_PKjT3_ ; -- Begin function _Z19sort_keys_segmentedILj256ELj32ELj8EhN10test_utils4lessEEvPKT2_PS2_PKjT3_
	.globl	_Z19sort_keys_segmentedILj256ELj32ELj8EhN10test_utils4lessEEvPKT2_PS2_PKjT3_
	.p2align	8
	.type	_Z19sort_keys_segmentedILj256ELj32ELj8EhN10test_utils4lessEEvPKT2_PS2_PKjT3_,@function
_Z19sort_keys_segmentedILj256ELj32ELj8EhN10test_utils4lessEEvPKT2_PS2_PKjT3_: ; @_Z19sort_keys_segmentedILj256ELj32ELj8EhN10test_utils4lessEEvPKT2_PS2_PKjT3_
; %bb.0:
	s_clause 0x1
	s_load_b64 s[2:3], s[0:1], 0x10
	s_load_b128 s[16:19], s[0:1], 0x0
	v_lshrrev_b32_e32 v5, 5, v0
                                        ; implicit-def: $vgpr9
	s_delay_alu instid0(VALU_DEP_1) | instskip(SKIP_1) | instid1(VALU_DEP_1)
	v_lshl_or_b32 v0, s15, 3, v5
	v_mov_b32_e32 v1, 0
	v_lshlrev_b64 v[1:2], 2, v[0:1]
	s_waitcnt lgkmcnt(0)
	s_delay_alu instid0(VALU_DEP_1) | instskip(NEXT) | instid1(VALU_DEP_2)
	v_add_co_u32 v1, vcc_lo, s2, v1
	v_add_co_ci_u32_e32 v2, vcc_lo, s3, v2, vcc_lo
	global_load_b32 v4, v[1:2], off
	v_lshlrev_b32_e32 v2, 8, v0
	v_mbcnt_lo_u32_b32 v1, -1, 0
	s_delay_alu instid0(VALU_DEP_2) | instskip(NEXT) | instid1(VALU_DEP_2)
	v_add_co_u32 v0, s0, s16, v2
	v_lshlrev_b32_e32 v3, 3, v1
	v_add_co_ci_u32_e64 v1, null, s17, 0, s0
	s_delay_alu instid0(VALU_DEP_2) | instskip(NEXT) | instid1(VALU_DEP_2)
	v_add_co_u32 v0, vcc_lo, v0, v3
	v_add_co_ci_u32_e32 v1, vcc_lo, 0, v1, vcc_lo
	s_waitcnt vmcnt(0)
	v_cmp_lt_u32_e32 vcc_lo, v3, v4
	s_and_saveexec_b32 s0, vcc_lo
	s_cbranch_execz .LBB130_2
; %bb.1:
	global_load_u8 v9, v[0:1], off
.LBB130_2:
	s_or_b32 exec_lo, exec_lo, s0
	v_or_b32_e32 v7, 1, v3
                                        ; implicit-def: $vgpr10
	s_delay_alu instid0(VALU_DEP_1) | instskip(NEXT) | instid1(VALU_DEP_1)
	v_cmp_lt_u32_e64 s0, v7, v4
	s_and_saveexec_b32 s1, s0
	s_cbranch_execz .LBB130_4
; %bb.3:
	global_load_u8 v10, v[0:1], off offset:1
.LBB130_4:
	s_or_b32 exec_lo, exec_lo, s1
	v_or_b32_e32 v6, 2, v3
                                        ; implicit-def: $vgpr11
	s_delay_alu instid0(VALU_DEP_1) | instskip(NEXT) | instid1(VALU_DEP_1)
	v_cmp_lt_u32_e64 s1, v6, v4
	s_and_saveexec_b32 s2, s1
	s_cbranch_execz .LBB130_6
; %bb.5:
	global_load_u8 v11, v[0:1], off offset:2
.LBB130_6:
	s_or_b32 exec_lo, exec_lo, s2
	v_or_b32_e32 v8, 3, v3
                                        ; implicit-def: $vgpr14
	s_delay_alu instid0(VALU_DEP_1) | instskip(NEXT) | instid1(VALU_DEP_1)
	v_cmp_lt_u32_e64 s2, v8, v4
	s_and_saveexec_b32 s3, s2
	s_cbranch_execz .LBB130_8
; %bb.7:
	global_load_u8 v14, v[0:1], off offset:3
.LBB130_8:
	s_or_b32 exec_lo, exec_lo, s3
	v_or_b32_e32 v12, 4, v3
                                        ; implicit-def: $vgpr15
	s_delay_alu instid0(VALU_DEP_1) | instskip(NEXT) | instid1(VALU_DEP_1)
	v_cmp_lt_u32_e64 s3, v12, v4
	s_and_saveexec_b32 s4, s3
	s_cbranch_execz .LBB130_10
; %bb.9:
	global_load_u8 v15, v[0:1], off offset:4
.LBB130_10:
	s_or_b32 exec_lo, exec_lo, s4
	v_or_b32_e32 v13, 5, v3
                                        ; implicit-def: $vgpr17
	s_delay_alu instid0(VALU_DEP_1) | instskip(NEXT) | instid1(VALU_DEP_1)
	v_cmp_lt_u32_e64 s4, v13, v4
	s_and_saveexec_b32 s5, s4
	s_cbranch_execz .LBB130_12
; %bb.11:
	global_load_u8 v17, v[0:1], off offset:5
.LBB130_12:
	s_or_b32 exec_lo, exec_lo, s5
	v_or_b32_e32 v16, 6, v3
                                        ; implicit-def: $vgpr19
	s_delay_alu instid0(VALU_DEP_1) | instskip(NEXT) | instid1(VALU_DEP_1)
	v_cmp_lt_u32_e64 s5, v16, v4
	s_and_saveexec_b32 s6, s5
	s_cbranch_execz .LBB130_14
; %bb.13:
	global_load_u8 v19, v[0:1], off offset:6
.LBB130_14:
	s_or_b32 exec_lo, exec_lo, s6
	v_or_b32_e32 v18, 7, v3
                                        ; implicit-def: $vgpr20
	s_delay_alu instid0(VALU_DEP_1) | instskip(NEXT) | instid1(VALU_DEP_1)
	v_cmp_lt_u32_e64 s6, v18, v4
	s_and_saveexec_b32 s7, s6
	s_cbranch_execz .LBB130_16
; %bb.15:
	global_load_u8 v20, v[0:1], off offset:7
.LBB130_16:
	s_or_b32 exec_lo, exec_lo, s7
	s_waitcnt vmcnt(0)
	v_and_b32_e32 v0, 0xff, v9
	v_lshlrev_b16 v1, 8, v10
	v_and_b32_e32 v9, 0xff, v11
	v_lshlrev_b16 v10, 8, v14
	v_cmp_lt_i32_e64 s7, v7, v4
	v_and_b32_e32 v7, 0xff, v15
	v_or_b32_e32 v1, v0, v1
	v_or_b32_e32 v0, 0xffffff00, v0
	;; [unrolled: 1-line block ×3, first 2 shown]
	v_and_b32_e32 v11, 0xff, v19
	v_lshlrev_b16 v14, 8, v20
	v_and_b32_e32 v1, 0xffff, v1
	v_and_b32_e32 v0, 0xffff, v0
	v_lshlrev_b32_e32 v9, 16, v9
	v_cmp_lt_i32_e64 s8, v8, v4
	s_mov_b32 s9, exec_lo
	s_delay_alu instid0(VALU_DEP_2) | instskip(SKIP_2) | instid1(VALU_DEP_2)
	v_or_b32_e32 v10, v1, v9
	v_or_b32_e32 v0, v0, v9
	v_lshlrev_b16 v9, 8, v17
	v_cndmask_b32_e64 v0, v0, v10, s7
	s_delay_alu instid0(VALU_DEP_2) | instskip(SKIP_2) | instid1(VALU_DEP_4)
	v_or_b32_e32 v7, v7, v9
	v_or_b32_e32 v9, v11, v14
	v_cmp_lt_i32_e64 s7, v6, v4
	v_lshrrev_b32_e32 v1, 16, v0
	s_delay_alu instid0(VALU_DEP_3) | instskip(NEXT) | instid1(VALU_DEP_2)
	v_lshlrev_b32_e32 v9, 16, v9
	v_or_b32_e32 v1, 0xff, v1
	s_delay_alu instid0(VALU_DEP_1) | instskip(NEXT) | instid1(VALU_DEP_1)
	v_lshlrev_b32_e32 v1, 16, v1
	v_and_or_b32 v0, 0xffff, v0, v1
	v_and_b32_e32 v1, 0xffff, v7
	v_or_b32_e32 v7, 0xff, v7
	s_delay_alu instid0(VALU_DEP_3) | instskip(NEXT) | instid1(VALU_DEP_3)
	v_cndmask_b32_e64 v0, v0, v10, s7
	v_or_b32_e32 v1, v1, v9
	s_delay_alu instid0(VALU_DEP_3) | instskip(SKIP_1) | instid1(VALU_DEP_4)
	v_and_b32_e32 v6, 0xffff, v7
	v_cmp_lt_i32_e64 s7, v12, v4
	v_lshrrev_b32_e32 v7, 16, v0
	s_delay_alu instid0(VALU_DEP_3) | instskip(NEXT) | instid1(VALU_DEP_2)
	v_and_or_b32 v6, 0xffff0000, v1, v6
	v_or_b32_e32 v7, 0xffffff00, v7
	s_delay_alu instid0(VALU_DEP_2) | instskip(NEXT) | instid1(VALU_DEP_2)
	v_cndmask_b32_e64 v6, v6, v1, s7
	v_lshlrev_b32_e32 v7, 16, v7
	s_delay_alu instid0(VALU_DEP_2) | instskip(NEXT) | instid1(VALU_DEP_2)
	v_or_b32_e32 v9, 0xffffff00, v6
	v_and_or_b32 v0, 0xffff, v0, v7
	s_delay_alu instid0(VALU_DEP_2) | instskip(NEXT) | instid1(VALU_DEP_2)
	v_and_b32_e32 v7, 0xffff, v9
	v_cndmask_b32_e64 v0, v0, v10, s8
	s_delay_alu instid0(VALU_DEP_2) | instskip(NEXT) | instid1(VALU_DEP_2)
	v_and_or_b32 v6, 0xffff0000, v6, v7
	v_cndmask_b32_e64 v0, v0, v10, s7
	v_cmp_lt_i32_e64 s7, v13, v4
	s_delay_alu instid0(VALU_DEP_1) | instskip(NEXT) | instid1(VALU_DEP_3)
	v_cndmask_b32_e64 v6, v6, v1, s7
	v_cndmask_b32_e64 v0, v0, v10, s7
	v_cmp_lt_i32_e64 s7, v16, v4
	s_delay_alu instid0(VALU_DEP_3) | instskip(NEXT) | instid1(VALU_DEP_2)
	v_lshrrev_b32_e32 v7, 16, v6
	v_cndmask_b32_e64 v0, v0, v10, s7
	s_delay_alu instid0(VALU_DEP_2) | instskip(NEXT) | instid1(VALU_DEP_1)
	v_or_b32_e32 v7, 0xff, v7
	v_lshlrev_b32_e32 v7, 16, v7
	s_delay_alu instid0(VALU_DEP_1) | instskip(NEXT) | instid1(VALU_DEP_1)
	v_and_or_b32 v6, 0xffff, v6, v7
	v_cndmask_b32_e64 v6, v6, v1, s7
	v_cmp_lt_i32_e64 s7, v18, v4
	s_delay_alu instid0(VALU_DEP_2) | instskip(NEXT) | instid1(VALU_DEP_2)
	v_lshrrev_b32_e32 v7, 16, v6
	v_cndmask_b32_e64 v0, v0, v10, s7
	s_delay_alu instid0(VALU_DEP_2) | instskip(NEXT) | instid1(VALU_DEP_1)
	v_or_b32_e32 v7, 0xffffff00, v7
	v_lshlrev_b32_e32 v7, 16, v7
	s_delay_alu instid0(VALU_DEP_1) | instskip(NEXT) | instid1(VALU_DEP_1)
	v_and_or_b32 v6, 0xffff, v6, v7
	v_cndmask_b32_e64 v1, v6, v1, s7
	v_cmpx_lt_i32_e64 v3, v4
	s_cbranch_execz .LBB130_18
; %bb.17:
	v_lshrrev_b32_e32 v6, 8, v0
	v_perm_b32 v7, 0, v0, 0xc0c0001
	v_and_b32_e32 v8, 0xff, v0
	v_and_b32_e32 v15, 0xff, v1
	s_delay_alu instid0(VALU_DEP_4) | instskip(NEXT) | instid1(VALU_DEP_4)
	v_and_b32_e32 v6, 0xff, v6
	v_and_or_b32 v7, 0xffff0000, v0, v7
	s_delay_alu instid0(VALU_DEP_2) | instskip(SKIP_2) | instid1(VALU_DEP_3)
	v_cmp_lt_u16_e64 s7, v6, v8
	v_max_u16 v12, v6, v8
	v_min_u16 v6, v6, v8
	v_cndmask_b32_e64 v0, v0, v7, s7
	s_delay_alu instid0(VALU_DEP_1) | instskip(SKIP_1) | instid1(VALU_DEP_2)
	v_lshrrev_b32_e32 v7, 16, v0
	v_lshrrev_b32_e32 v10, 24, v0
	v_perm_b32 v9, 0, v7, 0xc0c0001
	v_and_b32_e32 v7, 0xff, v7
	s_delay_alu instid0(VALU_DEP_2) | instskip(NEXT) | instid1(VALU_DEP_2)
	v_lshlrev_b32_e32 v9, 16, v9
	v_cmp_lt_u16_e64 s7, v10, v7
	s_delay_alu instid0(VALU_DEP_2) | instskip(NEXT) | instid1(VALU_DEP_1)
	v_and_or_b32 v9, 0xffff, v0, v9
	v_cndmask_b32_e64 v0, v0, v9, s7
	v_min_u16 v9, v10, v7
	v_max_u16 v7, v10, v7
	s_delay_alu instid0(VALU_DEP_3) | instskip(NEXT) | instid1(VALU_DEP_3)
	v_lshrrev_b32_e32 v11, 16, v0
	v_lshlrev_b16 v13, 8, v9
	v_and_b32_e32 v14, 0xff, v0
	v_cmp_lt_u16_e64 s7, v9, v12
	v_cmp_lt_u16_e64 s8, v9, v6
	v_and_b32_e32 v11, 0xffffff00, v11
	s_delay_alu instid0(VALU_DEP_4) | instskip(SKIP_1) | instid1(VALU_DEP_3)
	v_or_b32_e32 v13, v14, v13
	v_lshrrev_b32_e32 v14, 8, v1
	v_or_b32_e32 v11, v12, v11
	s_delay_alu instid0(VALU_DEP_3) | instskip(NEXT) | instid1(VALU_DEP_2)
	v_and_b32_e32 v13, 0xffff, v13
	v_lshlrev_b32_e32 v11, 16, v11
	s_delay_alu instid0(VALU_DEP_1) | instskip(SKIP_2) | instid1(VALU_DEP_3)
	v_or_b32_e32 v11, v13, v11
	v_and_b32_e32 v13, 0xff, v14
	v_perm_b32 v14, v1, v1, 0x7060405
	v_cndmask_b32_e64 v0, v0, v11, s7
	s_delay_alu instid0(VALU_DEP_3) | instskip(SKIP_1) | instid1(VALU_DEP_2)
	v_cmp_lt_u16_e64 s7, v13, v15
	v_min_u16 v11, v13, v15
	v_cndmask_b32_e64 v1, v1, v14, s7
	s_delay_alu instid0(VALU_DEP_4) | instskip(NEXT) | instid1(VALU_DEP_3)
	v_lshrrev_b32_e32 v14, 16, v0
	v_lshlrev_b16 v18, 8, v11
	s_delay_alu instid0(VALU_DEP_3) | instskip(SKIP_1) | instid1(VALU_DEP_4)
	v_lshrrev_b32_e32 v16, 16, v1
	v_lshrrev_b32_e32 v17, 24, v1
	v_and_b32_e32 v14, 0xff, v14
	v_perm_b32 v19, v1, v1, 0x6070504
	s_delay_alu instid0(VALU_DEP_4) | instskip(NEXT) | instid1(VALU_DEP_3)
	v_and_b32_e32 v16, 0xff, v16
	v_or_b32_e32 v8, v14, v18
	v_lshlrev_b16 v14, 8, v6
	v_min_u16 v18, v9, v12
	s_delay_alu instid0(VALU_DEP_4) | instskip(SKIP_2) | instid1(VALU_DEP_4)
	v_cmp_lt_u16_e64 s7, v17, v16
	v_max_u16 v12, v9, v12
	v_lshlrev_b32_e32 v8, 16, v8
	v_or_b32_e32 v14, v18, v14
	s_delay_alu instid0(VALU_DEP_4) | instskip(SKIP_1) | instid1(VALU_DEP_4)
	v_cndmask_b32_e64 v1, v1, v19, s7
	v_cmp_lt_u16_e64 s7, v11, v7
	v_and_or_b32 v8, 0xffff, v0, v8
	v_min_u16 v19, v11, v7
	v_lshlrev_b16 v20, 8, v12
	v_and_b32_e32 v10, 0xffffff00, v1
	v_and_b32_e32 v14, 0xffff, v14
	v_cndmask_b32_e64 v0, v0, v8, s7
	v_max_u16 v8, v13, v15
	v_or_b32_e32 v13, v19, v20
	v_or_b32_e32 v10, v7, v10
	v_max_u16 v7, v11, v7
	v_and_or_b32 v14, 0xffff0000, v0, v14
	v_max_u16 v15, v17, v16
	v_lshlrev_b32_e32 v13, 16, v13
	v_and_b32_e32 v10, 0xffff, v10
	v_min_u16 v16, v17, v16
	v_cndmask_b32_e64 v0, v0, v14, s8
	v_min_u16 v17, v19, v12
	v_lshlrev_b16 v20, 8, v7
	v_and_or_b32 v10, 0xffff0000, v1, v10
	v_lshlrev_b16 v9, 8, v16
	v_and_or_b32 v11, 0xffff, v0, v13
	v_min_u16 v13, v16, v8
	v_lshlrev_b16 v21, 8, v17
	v_cndmask_b32_e64 v1, v1, v10, s7
	v_cmp_lt_u16_e64 s7, v19, v12
	v_max_u16 v10, v16, v8
	v_or_b32_e32 v20, v13, v20
	v_max_u16 v12, v19, v12
	v_lshrrev_b32_e32 v14, 16, v1
	v_cndmask_b32_e64 v0, v0, v11, s7
	v_and_b32_e32 v11, 0xff, v1
	v_cmp_lt_u16_e64 s7, v16, v8
	s_delay_alu instid0(VALU_DEP_4) | instskip(NEXT) | instid1(VALU_DEP_4)
	v_and_b32_e32 v14, 0xffffff00, v14
	v_lshrrev_b32_e32 v22, 16, v0
	s_delay_alu instid0(VALU_DEP_4) | instskip(SKIP_1) | instid1(VALU_DEP_4)
	v_or_b32_e32 v9, v11, v9
	v_and_b32_e32 v23, 0xff, v0
	v_or_b32_e32 v11, v8, v14
	v_cndmask_b32_e64 v14, v18, v6, s8
	v_and_b32_e32 v22, 0xffffff00, v22
	v_and_b32_e32 v9, 0xffff, v9
	v_or_b32_e32 v21, v23, v21
	v_lshlrev_b32_e32 v11, 16, v11
	v_lshlrev_b16 v23, 8, v10
	v_or_b32_e32 v22, v14, v22
	v_cndmask_b32_e64 v6, v6, v18, s8
	s_delay_alu instid0(VALU_DEP_4) | instskip(SKIP_3) | instid1(VALU_DEP_4)
	v_or_b32_e32 v9, v9, v11
	v_and_b32_e32 v11, 0xffff, v20
	v_and_b32_e32 v20, 0xffff, v21
	v_lshlrev_b32_e32 v21, 16, v22
	v_cndmask_b32_e64 v1, v1, v9, s7
	v_cmp_lt_u16_e64 s7, v17, v14
	v_or_b32_e32 v9, v15, v23
	s_delay_alu instid0(VALU_DEP_4) | instskip(NEXT) | instid1(VALU_DEP_4)
	v_or_b32_e32 v16, v20, v21
	v_and_or_b32 v11, 0xffff0000, v1, v11
	s_delay_alu instid0(VALU_DEP_3) | instskip(NEXT) | instid1(VALU_DEP_3)
	v_lshlrev_b32_e32 v9, 16, v9
	v_cndmask_b32_e64 v0, v0, v16, s7
	v_cmp_lt_u16_e64 s7, v13, v7
	s_delay_alu instid0(VALU_DEP_2) | instskip(NEXT) | instid1(VALU_DEP_2)
	v_lshrrev_b32_e32 v16, 16, v0
	v_cndmask_b32_e64 v1, v1, v11, s7
	v_min_u16 v11, v13, v7
	v_cmp_gt_u16_e64 s7, v8, v15
	v_max_u16 v7, v13, v7
	v_and_b32_e32 v16, 0xff, v16
	v_and_or_b32 v9, 0xffff, v1, v9
	v_lshlrev_b16 v19, 8, v11
	v_cmp_lt_u16_e64 s8, v11, v12
	v_max_u16 v18, v11, v12
	s_delay_alu instid0(VALU_DEP_4) | instskip(NEXT) | instid1(VALU_DEP_4)
	v_cndmask_b32_e64 v1, v1, v9, s7
	v_or_b32_e32 v8, v16, v19
	v_min_u16 v9, v17, v14
	v_lshlrev_b16 v16, 8, v6
	v_max_u16 v14, v17, v14
	v_and_b32_e32 v13, 0xffffff00, v1
	v_lshlrev_b32_e32 v8, 16, v8
	v_min_u16 v17, v11, v12
	v_or_b32_e32 v16, v9, v16
	v_lshlrev_b16 v19, 8, v14
	v_or_b32_e32 v13, v12, v13
	v_and_or_b32 v8, 0xffff, v0, v8
	v_lshlrev_b16 v12, 8, v18
	v_and_b32_e32 v16, 0xffff, v16
	s_delay_alu instid0(VALU_DEP_4) | instskip(NEXT) | instid1(VALU_DEP_4)
	v_and_b32_e32 v13, 0xffff, v13
	v_cndmask_b32_e64 v0, v0, v8, s8
	v_or_b32_e32 v8, v17, v19
	s_delay_alu instid0(VALU_DEP_3) | instskip(NEXT) | instid1(VALU_DEP_3)
	v_and_or_b32 v11, 0xffff0000, v1, v13
	v_and_or_b32 v16, 0xffff0000, v0, v16
	s_delay_alu instid0(VALU_DEP_3) | instskip(SKIP_1) | instid1(VALU_DEP_4)
	v_lshlrev_b32_e32 v8, 16, v8
	v_min_u16 v13, v17, v14
	v_cndmask_b32_e64 v1, v1, v11, s8
	v_cmp_lt_u16_e64 s8, v9, v6
	v_cndmask_b32_e64 v11, v10, v15, s7
	v_cndmask_b32_e64 v10, v15, v10, s7
	v_cmp_lt_u16_e64 s7, v17, v14
	v_lshrrev_b32_e32 v19, 16, v1
	v_cndmask_b32_e64 v0, v0, v16, s8
	v_lshlrev_b16 v21, 8, v11
	v_and_b32_e32 v22, 0xff, v1
	v_max_u16 v16, v9, v6
	v_and_b32_e32 v19, 0xffffff00, v19
	v_and_or_b32 v8, 0xffff, v0, v8
	v_lshlrev_b16 v20, 8, v13
	v_min_u16 v6, v9, v6
	s_delay_alu instid0(VALU_DEP_4) | instskip(NEXT) | instid1(VALU_DEP_4)
	v_or_b32_e32 v15, v7, v19
	v_cndmask_b32_e64 v0, v0, v8, s7
	v_or_b32_e32 v8, v22, v21
	v_min_u16 v19, v11, v7
	v_cmp_lt_u16_e64 s7, v11, v7
	v_lshlrev_b32_e32 v15, 16, v15
	v_lshrrev_b32_e32 v22, 16, v0
	v_and_b32_e32 v8, 0xffff, v8
	v_or_b32_e32 v12, v19, v12
	v_and_b32_e32 v23, 0xff, v0
	v_max_u16 v21, v11, v7
	v_and_b32_e32 v22, 0xffffff00, v22
	v_or_b32_e32 v8, v8, v15
	v_and_b32_e32 v12, 0xffff, v12
	v_or_b32_e32 v15, v23, v20
	v_lshlrev_b16 v24, 8, v21
	v_or_b32_e32 v20, v16, v22
	v_cndmask_b32_e64 v1, v1, v8, s7
	v_cmp_lt_u16_e64 s7, v19, v18
	v_and_b32_e32 v8, 0xffff, v15
	v_or_b32_e32 v7, v10, v24
	v_lshlrev_b32_e32 v11, 16, v20
	v_and_or_b32 v12, 0xffff0000, v1, v12
	v_min_u16 v9, v19, v18
	s_delay_alu instid0(VALU_DEP_4) | instskip(NEXT) | instid1(VALU_DEP_4)
	v_lshlrev_b32_e32 v7, 16, v7
	v_or_b32_e32 v8, v8, v11
	s_delay_alu instid0(VALU_DEP_4) | instskip(SKIP_2) | instid1(VALU_DEP_3)
	v_cndmask_b32_e64 v1, v1, v12, s7
	v_cmp_lt_u16_e64 s7, v13, v16
	v_lshlrev_b16 v12, 8, v9
	v_and_or_b32 v7, 0xffff, v1, v7
	s_delay_alu instid0(VALU_DEP_3)
	v_cndmask_b32_e64 v0, v0, v8, s7
	v_cmp_lt_u16_e64 s7, v10, v21
	v_max_u16 v8, v17, v14
	v_lshlrev_b16 v14, 8, v6
	v_max_u16 v17, v19, v18
	v_lshrrev_b32_e32 v11, 16, v0
	v_cndmask_b32_e64 v1, v1, v7, s7
	v_min_u16 v7, v13, v16
	v_max_u16 v16, v13, v16
	v_cmp_lt_u16_e64 s7, v9, v8
	v_and_b32_e32 v11, 0xff, v11
	v_and_b32_e32 v15, 0xffffff00, v1
	v_min_u16 v19, v9, v8
	v_max_u16 v18, v10, v21
	v_min_u16 v10, v10, v21
	v_or_b32_e32 v11, v11, v12
	v_or_b32_e32 v12, v7, v14
	;; [unrolled: 1-line block ×3, first 2 shown]
	v_lshlrev_b16 v15, 8, v16
	v_max_u16 v8, v9, v8
	v_lshlrev_b32_e32 v11, 16, v11
	v_and_b32_e32 v12, 0xffff, v12
	v_and_b32_e32 v14, 0xffff, v14
	v_or_b32_e32 v9, v19, v15
	v_cmp_lt_u16_e64 s8, v19, v16
	v_and_or_b32 v11, 0xffff, v0, v11
	v_lshlrev_b16 v20, 8, v8
	v_and_or_b32 v14, 0xffff0000, v1, v14
	v_lshlrev_b32_e32 v9, 16, v9
	v_min_u16 v21, v19, v16
	v_cndmask_b32_e64 v0, v0, v11, s7
	v_lshlrev_b16 v11, 8, v10
	v_cndmask_b32_e64 v1, v1, v14, s7
	v_cmp_lt_u16_e64 s7, v13, v6
	v_max_u16 v14, v10, v17
	v_and_or_b32 v12, 0xffff0000, v0, v12
	v_lshlrev_b16 v22, 8, v21
	v_lshrrev_b32_e32 v15, 16, v1
	v_and_b32_e32 v13, 0xff, v1
	v_cndmask_b32_e64 v6, v7, v6, s7
	v_cndmask_b32_e64 v0, v0, v12, s7
	v_min_u16 v12, v10, v17
	v_and_b32_e32 v15, 0xffffff00, v15
	v_or_b32_e32 v11, v13, v11
	v_cmp_lt_u16_e64 s7, v10, v17
	v_and_or_b32 v9, 0xffff, v0, v9
	s_delay_alu instid0(VALU_DEP_4) | instskip(NEXT) | instid1(VALU_DEP_4)
	v_or_b32_e32 v13, v17, v15
	v_and_b32_e32 v11, 0xffff, v11
	v_or_b32_e32 v15, v12, v20
	s_delay_alu instid0(VALU_DEP_4) | instskip(SKIP_2) | instid1(VALU_DEP_4)
	v_cndmask_b32_e64 v0, v0, v9, s8
	v_lshlrev_b16 v9, 8, v14
	v_lshlrev_b32_e32 v13, 16, v13
	v_and_b32_e32 v15, 0xffff, v15
	s_delay_alu instid0(VALU_DEP_4) | instskip(NEXT) | instid1(VALU_DEP_4)
	v_lshrrev_b32_e32 v20, 16, v0
	v_or_b32_e32 v9, v18, v9
	s_delay_alu instid0(VALU_DEP_4) | instskip(SKIP_1) | instid1(VALU_DEP_4)
	v_or_b32_e32 v7, v11, v13
	v_and_b32_e32 v11, 0xff, v0
	v_and_b32_e32 v13, 0xffffff00, v20
	s_delay_alu instid0(VALU_DEP_4) | instskip(NEXT) | instid1(VALU_DEP_4)
	v_lshlrev_b32_e32 v9, 16, v9
	v_cndmask_b32_e64 v1, v1, v7, s7
	s_delay_alu instid0(VALU_DEP_4) | instskip(SKIP_2) | instid1(VALU_DEP_4)
	v_or_b32_e32 v7, v11, v22
	v_cmp_lt_u16_e64 s7, v12, v8
	v_or_b32_e32 v10, v6, v13
	v_and_or_b32 v11, 0xffff0000, v1, v15
	s_delay_alu instid0(VALU_DEP_4) | instskip(NEXT) | instid1(VALU_DEP_3)
	v_and_b32_e32 v7, 0xffff, v7
	v_lshlrev_b32_e32 v10, 16, v10
	s_delay_alu instid0(VALU_DEP_3) | instskip(SKIP_2) | instid1(VALU_DEP_4)
	v_cndmask_b32_e64 v1, v1, v11, s7
	v_cmp_lt_u16_e64 s7, v21, v6
	v_min_u16 v6, v12, v8
	v_or_b32_e32 v7, v7, v10
	v_max_u16 v8, v12, v8
	v_and_or_b32 v9, 0xffff, v1, v9
	s_delay_alu instid0(VALU_DEP_4) | instskip(NEXT) | instid1(VALU_DEP_4)
	v_lshlrev_b16 v10, 8, v6
	v_cndmask_b32_e64 v0, v0, v7, s7
	v_cmp_gt_u16_e64 s7, v17, v18
	s_delay_alu instid0(VALU_DEP_2) | instskip(NEXT) | instid1(VALU_DEP_2)
	v_lshrrev_b32_e32 v7, 16, v0
	v_cndmask_b32_e64 v1, v1, v9, s7
	v_max_u16 v9, v19, v16
	s_delay_alu instid0(VALU_DEP_3) | instskip(NEXT) | instid1(VALU_DEP_3)
	v_and_b32_e32 v7, 0xff, v7
	v_and_b32_e32 v11, 0xffffff00, v1
	s_delay_alu instid0(VALU_DEP_3) | instskip(SKIP_1) | instid1(VALU_DEP_4)
	v_cmp_lt_u16_e64 s8, v6, v9
	v_cndmask_b32_e64 v6, v14, v18, s7
	v_or_b32_e32 v7, v7, v10
	s_delay_alu instid0(VALU_DEP_4) | instskip(NEXT) | instid1(VALU_DEP_3)
	v_or_b32_e32 v11, v9, v11
	v_cmp_lt_u16_e64 s7, v6, v8
	s_delay_alu instid0(VALU_DEP_3) | instskip(NEXT) | instid1(VALU_DEP_3)
	v_lshlrev_b32_e32 v7, 16, v7
	v_and_b32_e32 v10, 0xffff, v11
	s_delay_alu instid0(VALU_DEP_2) | instskip(NEXT) | instid1(VALU_DEP_2)
	v_and_or_b32 v7, 0xffff, v0, v7
	v_and_or_b32 v10, 0xffff0000, v1, v10
	s_delay_alu instid0(VALU_DEP_2) | instskip(NEXT) | instid1(VALU_DEP_2)
	v_cndmask_b32_e64 v0, v0, v7, s8
	v_cndmask_b32_e64 v1, v1, v10, s8
	v_lshlrev_b16 v10, 8, v6
	s_delay_alu instid0(VALU_DEP_2) | instskip(SKIP_1) | instid1(VALU_DEP_2)
	v_lshrrev_b32_e32 v7, 16, v1
	v_and_b32_e32 v9, 0xff, v1
	v_and_b32_e32 v7, 0xffffff00, v7
	s_delay_alu instid0(VALU_DEP_2) | instskip(NEXT) | instid1(VALU_DEP_2)
	v_or_b32_e32 v9, v9, v10
	v_or_b32_e32 v7, v8, v7
	s_delay_alu instid0(VALU_DEP_2) | instskip(NEXT) | instid1(VALU_DEP_2)
	v_and_b32_e32 v9, 0xffff, v9
	v_lshlrev_b32_e32 v7, 16, v7
	s_delay_alu instid0(VALU_DEP_1) | instskip(NEXT) | instid1(VALU_DEP_1)
	v_or_b32_e32 v7, v9, v7
	v_cndmask_b32_e64 v1, v1, v7, s7
.LBB130_18:
	s_or_b32 exec_lo, exec_lo, s9
	v_and_b32_e32 v6, 0xf0, v3
	v_and_b32_e32 v9, 8, v3
	s_mov_b32 s8, exec_lo
	; wave barrier
	s_delay_alu instid0(VALU_DEP_2) | instskip(NEXT) | instid1(VALU_DEP_2)
	v_min_i32_e32 v8, v4, v6
	v_min_i32_e32 v9, v4, v9
	s_delay_alu instid0(VALU_DEP_2) | instskip(NEXT) | instid1(VALU_DEP_1)
	v_add_nc_u32_e32 v6, 8, v8
	v_min_i32_e32 v7, v4, v6
	s_delay_alu instid0(VALU_DEP_1) | instskip(SKIP_1) | instid1(VALU_DEP_2)
	v_add_nc_u32_e32 v6, 8, v7
	v_sub_nc_u32_e32 v12, v7, v8
	v_min_i32_e32 v6, v4, v6
	s_delay_alu instid0(VALU_DEP_1) | instskip(NEXT) | instid1(VALU_DEP_1)
	v_sub_nc_u32_e32 v10, v6, v7
	v_sub_nc_u32_e32 v11, v9, v10
	v_cmp_ge_i32_e64 s7, v9, v10
	s_delay_alu instid0(VALU_DEP_1)
	v_cndmask_b32_e64 v10, 0, v11, s7
	v_min_i32_e32 v11, v9, v12
	v_mad_u32_u24 v12, 0x101, v5, v3
	v_mul_u32_u24_e32 v5, 0x101, v5
	ds_store_b64 v12, v[0:1]
	; wave barrier
	v_cmpx_lt_i32_e64 v10, v11
	s_cbranch_execz .LBB130_22
; %bb.19:
	v_add_nc_u32_e32 v0, v5, v8
	v_add3_u32 v1, v5, v7, v9
	s_mov_b32 s9, 0
	.p2align	6
.LBB130_20:                             ; =>This Inner Loop Header: Depth=1
	v_sub_nc_u32_e32 v12, v11, v10
	s_delay_alu instid0(VALU_DEP_1) | instskip(NEXT) | instid1(VALU_DEP_1)
	v_lshrrev_b32_e32 v13, 31, v12
	v_add_nc_u32_e32 v12, v12, v13
	s_delay_alu instid0(VALU_DEP_1) | instskip(NEXT) | instid1(VALU_DEP_1)
	v_ashrrev_i32_e32 v12, 1, v12
	v_add_nc_u32_e32 v12, v12, v10
	s_delay_alu instid0(VALU_DEP_1)
	v_add_nc_u32_e32 v13, v0, v12
	v_xad_u32 v14, v12, -1, v1
	v_add_nc_u32_e32 v15, 1, v12
	ds_load_u8 v13, v13
	ds_load_u8 v14, v14
	s_waitcnt lgkmcnt(0)
	v_cmp_lt_u16_e64 s7, v14, v13
	s_delay_alu instid0(VALU_DEP_1) | instskip(SKIP_1) | instid1(VALU_DEP_1)
	v_cndmask_b32_e64 v11, v11, v12, s7
	v_cndmask_b32_e64 v10, v15, v10, s7
	v_cmp_ge_i32_e64 s7, v10, v11
	s_delay_alu instid0(VALU_DEP_1) | instskip(NEXT) | instid1(SALU_CYCLE_1)
	s_or_b32 s9, s7, s9
	s_and_not1_b32 exec_lo, exec_lo, s9
	s_cbranch_execnz .LBB130_20
; %bb.21:
	s_or_b32 exec_lo, exec_lo, s9
.LBB130_22:
	s_delay_alu instid0(SALU_CYCLE_1) | instskip(SKIP_2) | instid1(VALU_DEP_2)
	s_or_b32 exec_lo, exec_lo, s8
	v_add_nc_u32_e32 v0, v7, v9
	v_add_nc_u32_e32 v11, v10, v8
	v_sub_nc_u32_e32 v10, v0, v10
	s_delay_alu instid0(VALU_DEP_2) | instskip(SKIP_1) | instid1(VALU_DEP_3)
	v_add_nc_u32_e32 v13, v5, v11
	v_cmp_le_i32_e64 s7, v7, v11
	v_add_nc_u32_e32 v12, v5, v10
	v_cmp_gt_i32_e64 s9, v6, v10
	ds_load_u8 v0, v13
	ds_load_u8 v1, v12
	s_waitcnt lgkmcnt(1)
	v_and_b32_e32 v8, 0xff, v0
	s_waitcnt lgkmcnt(0)
	v_and_b32_e32 v9, 0xff, v1
	s_delay_alu instid0(VALU_DEP_1) | instskip(NEXT) | instid1(VALU_DEP_1)
	v_cmp_lt_u16_e64 s8, v9, v8
                                        ; implicit-def: $vgpr8
                                        ; implicit-def: $vgpr9
	s_or_b32 s7, s7, s8
	s_delay_alu instid0(SALU_CYCLE_1) | instskip(NEXT) | instid1(SALU_CYCLE_1)
	s_and_b32 s7, s9, s7
	s_xor_b32 s8, s7, -1
	s_delay_alu instid0(SALU_CYCLE_1) | instskip(NEXT) | instid1(SALU_CYCLE_1)
	s_and_saveexec_b32 s9, s8
	s_xor_b32 s8, exec_lo, s9
	s_cbranch_execz .LBB130_24
; %bb.23:
	ds_load_u8 v9, v13 offset:1
	v_mov_b32_e32 v8, v1
                                        ; implicit-def: $vgpr12
.LBB130_24:
	s_and_not1_saveexec_b32 s8, s8
	s_cbranch_execz .LBB130_26
; %bb.25:
	ds_load_u8 v8, v12 offset:1
	s_waitcnt lgkmcnt(1)
	v_mov_b32_e32 v9, v0
.LBB130_26:
	s_or_b32 exec_lo, exec_lo, s8
	v_add_nc_u32_e32 v12, 1, v11
	v_add_nc_u32_e32 v14, 1, v10
	s_waitcnt lgkmcnt(0)
	v_and_b32_e32 v15, 0xff, v9
	s_delay_alu instid0(VALU_DEP_3) | instskip(SKIP_2) | instid1(VALU_DEP_3)
	v_cndmask_b32_e64 v13, v12, v11, s7
	v_and_b32_e32 v11, 0xff, v8
	v_cndmask_b32_e64 v12, v10, v14, s7
                                        ; implicit-def: $vgpr10
	v_cmp_ge_i32_e64 s8, v13, v7
	s_delay_alu instid0(VALU_DEP_3) | instskip(NEXT) | instid1(VALU_DEP_3)
	v_cmp_lt_u16_e64 s9, v11, v15
	v_cmp_lt_i32_e64 s10, v12, v6
	s_delay_alu instid0(VALU_DEP_2)
	s_or_b32 s8, s8, s9
	s_delay_alu instid0(VALU_DEP_1) | instid1(SALU_CYCLE_1)
	s_and_b32 s8, s10, s8
	s_delay_alu instid0(SALU_CYCLE_1) | instskip(NEXT) | instid1(SALU_CYCLE_1)
	s_xor_b32 s9, s8, -1
	s_and_saveexec_b32 s10, s9
	s_delay_alu instid0(SALU_CYCLE_1)
	s_xor_b32 s9, exec_lo, s10
	s_cbranch_execz .LBB130_28
; %bb.27:
	v_add_nc_u32_e32 v10, v5, v13
	ds_load_u8 v10, v10 offset:1
.LBB130_28:
	s_or_saveexec_b32 s9, s9
	v_mov_b32_e32 v11, v8
	s_xor_b32 exec_lo, exec_lo, s9
	s_cbranch_execz .LBB130_30
; %bb.29:
	s_waitcnt lgkmcnt(0)
	v_add_nc_u32_e32 v10, v5, v12
	ds_load_u8 v11, v10 offset:1
	v_mov_b32_e32 v10, v9
.LBB130_30:
	s_or_b32 exec_lo, exec_lo, s9
	v_add_nc_u32_e32 v14, 1, v13
	v_add_nc_u32_e32 v16, 1, v12
	s_waitcnt lgkmcnt(0)
	v_and_b32_e32 v17, 0xff, v10
	s_delay_alu instid0(VALU_DEP_3) | instskip(SKIP_2) | instid1(VALU_DEP_3)
	v_cndmask_b32_e64 v15, v14, v13, s8
	v_and_b32_e32 v13, 0xff, v11
	v_cndmask_b32_e64 v14, v12, v16, s8
                                        ; implicit-def: $vgpr12
	v_cmp_ge_i32_e64 s9, v15, v7
	s_delay_alu instid0(VALU_DEP_3) | instskip(NEXT) | instid1(VALU_DEP_3)
	v_cmp_lt_u16_e64 s10, v13, v17
	v_cmp_lt_i32_e64 s11, v14, v6
	s_delay_alu instid0(VALU_DEP_2)
	s_or_b32 s9, s9, s10
	s_delay_alu instid0(VALU_DEP_1) | instid1(SALU_CYCLE_1)
	s_and_b32 s9, s11, s9
	s_delay_alu instid0(SALU_CYCLE_1) | instskip(NEXT) | instid1(SALU_CYCLE_1)
	s_xor_b32 s10, s9, -1
	s_and_saveexec_b32 s11, s10
	s_delay_alu instid0(SALU_CYCLE_1)
	s_xor_b32 s10, exec_lo, s11
	s_cbranch_execz .LBB130_32
; %bb.31:
	v_add_nc_u32_e32 v12, v5, v15
	ds_load_u8 v12, v12 offset:1
.LBB130_32:
	s_or_saveexec_b32 s10, s10
	v_mov_b32_e32 v13, v11
	s_xor_b32 exec_lo, exec_lo, s10
	s_cbranch_execz .LBB130_34
; %bb.33:
	s_waitcnt lgkmcnt(0)
	v_add_nc_u32_e32 v12, v5, v14
	ds_load_u8 v13, v12 offset:1
	v_mov_b32_e32 v12, v10
.LBB130_34:
	s_or_b32 exec_lo, exec_lo, s10
	v_add_nc_u32_e32 v16, 1, v15
	v_add_nc_u32_e32 v18, 1, v14
	s_waitcnt lgkmcnt(0)
	v_and_b32_e32 v19, 0xff, v12
	s_delay_alu instid0(VALU_DEP_3) | instskip(SKIP_2) | instid1(VALU_DEP_3)
	v_cndmask_b32_e64 v17, v16, v15, s9
	v_and_b32_e32 v15, 0xff, v13
	v_cndmask_b32_e64 v16, v14, v18, s9
                                        ; implicit-def: $vgpr14
	v_cmp_ge_i32_e64 s10, v17, v7
	s_delay_alu instid0(VALU_DEP_3) | instskip(NEXT) | instid1(VALU_DEP_3)
	v_cmp_lt_u16_e64 s11, v15, v19
	v_cmp_lt_i32_e64 s12, v16, v6
	s_delay_alu instid0(VALU_DEP_2)
	s_or_b32 s10, s10, s11
	s_delay_alu instid0(VALU_DEP_1) | instid1(SALU_CYCLE_1)
	s_and_b32 s10, s12, s10
	s_delay_alu instid0(SALU_CYCLE_1) | instskip(NEXT) | instid1(SALU_CYCLE_1)
	s_xor_b32 s11, s10, -1
	s_and_saveexec_b32 s12, s11
	s_delay_alu instid0(SALU_CYCLE_1)
	s_xor_b32 s11, exec_lo, s12
	s_cbranch_execz .LBB130_36
; %bb.35:
	v_add_nc_u32_e32 v14, v5, v17
	ds_load_u8 v14, v14 offset:1
.LBB130_36:
	s_or_saveexec_b32 s11, s11
	v_mov_b32_e32 v15, v13
	s_xor_b32 exec_lo, exec_lo, s11
	s_cbranch_execz .LBB130_38
; %bb.37:
	s_waitcnt lgkmcnt(0)
	v_add_nc_u32_e32 v14, v5, v16
	ds_load_u8 v15, v14 offset:1
	v_mov_b32_e32 v14, v12
.LBB130_38:
	s_or_b32 exec_lo, exec_lo, s11
	v_add_nc_u32_e32 v18, 1, v17
	v_add_nc_u32_e32 v20, 1, v16
	s_waitcnt lgkmcnt(0)
	v_and_b32_e32 v21, 0xff, v14
	s_delay_alu instid0(VALU_DEP_3) | instskip(SKIP_2) | instid1(VALU_DEP_3)
	v_cndmask_b32_e64 v19, v18, v17, s10
	v_and_b32_e32 v17, 0xff, v15
	v_cndmask_b32_e64 v18, v16, v20, s10
                                        ; implicit-def: $vgpr16
	v_cmp_ge_i32_e64 s11, v19, v7
	s_delay_alu instid0(VALU_DEP_3) | instskip(NEXT) | instid1(VALU_DEP_3)
	v_cmp_lt_u16_e64 s12, v17, v21
	v_cmp_lt_i32_e64 s13, v18, v6
	s_delay_alu instid0(VALU_DEP_2)
	s_or_b32 s11, s11, s12
	s_delay_alu instid0(VALU_DEP_1) | instid1(SALU_CYCLE_1)
	s_and_b32 s11, s13, s11
	s_delay_alu instid0(SALU_CYCLE_1) | instskip(NEXT) | instid1(SALU_CYCLE_1)
	s_xor_b32 s12, s11, -1
	s_and_saveexec_b32 s13, s12
	s_delay_alu instid0(SALU_CYCLE_1)
	s_xor_b32 s12, exec_lo, s13
	s_cbranch_execz .LBB130_40
; %bb.39:
	v_add_nc_u32_e32 v16, v5, v19
	ds_load_u8 v16, v16 offset:1
.LBB130_40:
	s_or_saveexec_b32 s12, s12
	v_mov_b32_e32 v17, v15
	s_xor_b32 exec_lo, exec_lo, s12
	s_cbranch_execz .LBB130_42
; %bb.41:
	s_waitcnt lgkmcnt(0)
	v_add_nc_u32_e32 v16, v5, v18
	ds_load_u8 v17, v16 offset:1
	v_mov_b32_e32 v16, v14
.LBB130_42:
	s_or_b32 exec_lo, exec_lo, s12
	v_add_nc_u32_e32 v20, 1, v19
	v_add_nc_u32_e32 v21, 1, v18
	s_waitcnt lgkmcnt(0)
	v_and_b32_e32 v22, 0xff, v16
	s_delay_alu instid0(VALU_DEP_3) | instskip(SKIP_2) | instid1(VALU_DEP_3)
	v_cndmask_b32_e64 v19, v20, v19, s11
	v_and_b32_e32 v20, 0xff, v17
	v_cndmask_b32_e64 v18, v18, v21, s11
	v_cmp_ge_i32_e64 s12, v19, v7
	s_delay_alu instid0(VALU_DEP_3) | instskip(NEXT) | instid1(VALU_DEP_3)
	v_cmp_lt_u16_e64 s13, v20, v22
	v_cmp_lt_i32_e64 s14, v18, v6
                                        ; implicit-def: $vgpr20
	s_delay_alu instid0(VALU_DEP_2)
	s_or_b32 s12, s12, s13
	s_delay_alu instid0(VALU_DEP_1) | instid1(SALU_CYCLE_1)
	s_and_b32 s12, s14, s12
	s_delay_alu instid0(SALU_CYCLE_1) | instskip(NEXT) | instid1(SALU_CYCLE_1)
	s_xor_b32 s13, s12, -1
	s_and_saveexec_b32 s14, s13
	s_delay_alu instid0(SALU_CYCLE_1)
	s_xor_b32 s13, exec_lo, s14
	s_cbranch_execz .LBB130_44
; %bb.43:
	v_add_nc_u32_e32 v20, v5, v19
	ds_load_u8 v20, v20 offset:1
.LBB130_44:
	s_or_saveexec_b32 s13, s13
	v_mov_b32_e32 v21, v17
	s_xor_b32 exec_lo, exec_lo, s13
	s_cbranch_execz .LBB130_46
; %bb.45:
	s_waitcnt lgkmcnt(0)
	v_add_nc_u32_e32 v20, v5, v18
	ds_load_u8 v21, v20 offset:1
	v_mov_b32_e32 v20, v16
.LBB130_46:
	s_or_b32 exec_lo, exec_lo, s13
	v_add_nc_u32_e32 v22, 1, v19
	v_add_nc_u32_e32 v23, 1, v18
	s_waitcnt lgkmcnt(0)
	v_and_b32_e32 v24, 0xff, v20
	s_delay_alu instid0(VALU_DEP_3) | instskip(SKIP_2) | instid1(VALU_DEP_3)
	v_cndmask_b32_e64 v22, v22, v19, s12
	v_and_b32_e32 v19, 0xff, v21
	v_cndmask_b32_e64 v23, v18, v23, s12
                                        ; implicit-def: $vgpr18
	v_cmp_ge_i32_e64 s13, v22, v7
	s_delay_alu instid0(VALU_DEP_3) | instskip(NEXT) | instid1(VALU_DEP_3)
	v_cmp_lt_u16_e64 s14, v19, v24
	v_cmp_lt_i32_e64 s15, v23, v6
	s_delay_alu instid0(VALU_DEP_2)
	s_or_b32 s13, s13, s14
	s_delay_alu instid0(VALU_DEP_1) | instid1(SALU_CYCLE_1)
	s_and_b32 s13, s15, s13
	s_delay_alu instid0(SALU_CYCLE_1) | instskip(NEXT) | instid1(SALU_CYCLE_1)
	s_xor_b32 s14, s13, -1
	s_and_saveexec_b32 s15, s14
	s_delay_alu instid0(SALU_CYCLE_1)
	s_xor_b32 s14, exec_lo, s15
	s_cbranch_execz .LBB130_48
; %bb.47:
	v_add_nc_u32_e32 v18, v5, v22
	ds_load_u8 v18, v18 offset:1
.LBB130_48:
	s_or_saveexec_b32 s14, s14
	v_mov_b32_e32 v19, v21
	s_xor_b32 exec_lo, exec_lo, s14
	s_cbranch_execz .LBB130_50
; %bb.49:
	s_waitcnt lgkmcnt(0)
	v_add_nc_u32_e32 v18, v5, v23
	ds_load_u8 v19, v18 offset:1
	v_mov_b32_e32 v18, v20
.LBB130_50:
	s_or_b32 exec_lo, exec_lo, s14
	v_add_nc_u32_e32 v24, 1, v23
	v_add_nc_u32_e32 v25, 1, v22
	v_cndmask_b32_e64 v20, v20, v21, s13
	v_cndmask_b32_e64 v16, v16, v17, s12
	;; [unrolled: 1-line block ×5, first 2 shown]
	v_and_b32_e32 v23, 0xe0, v3
	v_cndmask_b32_e64 v14, v14, v15, s11
	s_waitcnt lgkmcnt(0)
	v_and_b32_e32 v15, 0xff, v18
	v_and_b32_e32 v22, 0xff, v19
	v_cmp_ge_i32_e64 s9, v21, v7
	v_min_i32_e32 v7, v4, v23
	v_cndmask_b32_e64 v8, v9, v8, s8
	v_cndmask_b32_e64 v0, v0, v1, s7
	;; [unrolled: 1-line block ×3, first 2 shown]
	v_cmp_lt_u16_e64 s10, v22, v15
	v_add_nc_u32_e32 v1, 16, v7
	v_cmp_lt_i32_e64 s7, v17, v6
	v_lshlrev_b16 v6, 8, v8
	v_and_b32_e32 v8, 0xff, v0
	s_or_b32 s8, s9, s10
	v_min_i32_e32 v1, v4, v1
	s_and_b32 s7, s7, s8
	v_lshlrev_b16 v9, 8, v12
	v_and_b32_e32 v10, 0xff, v10
	v_cndmask_b32_e64 v11, v18, v19, s7
	v_or_b32_e32 v12, v8, v6
	v_add_nc_u32_e32 v6, 16, v1
	v_lshlrev_b16 v8, 8, v16
	v_or_b32_e32 v9, v10, v9
	v_and_b32_e32 v10, 0xff, v14
	v_and_b32_e32 v13, 24, v3
	v_min_i32_e32 v6, v4, v6
	v_and_b32_e32 v14, 0xff, v20
	v_lshlrev_b16 v11, 8, v11
	v_or_b32_e32 v10, v10, v8
	v_min_i32_e32 v8, v4, v13
	v_sub_nc_u32_e32 v13, v6, v1
	v_and_b32_e32 v12, 0xffff, v12
	v_or_b32_e32 v11, v14, v11
	v_lshlrev_b32_e32 v9, 16, v9
	v_and_b32_e32 v14, 0xffff, v10
	v_sub_nc_u32_e32 v10, v8, v13
	v_sub_nc_u32_e32 v15, v1, v7
	v_lshlrev_b32_e32 v16, 16, v11
	v_cmp_ge_i32_e64 s7, v8, v13
	v_add_nc_u32_e32 v0, v5, v3
	v_or_b32_e32 v11, v12, v9
	s_mov_b32 s9, 0
	v_or_b32_e32 v12, v14, v16
	v_cndmask_b32_e64 v9, 0, v10, s7
	v_min_i32_e32 v10, v8, v15
	s_mov_b32 s8, exec_lo
	; wave barrier
	ds_store_b64 v0, v[11:12]
	; wave barrier
	v_cmpx_lt_i32_e64 v9, v10
	s_cbranch_execz .LBB130_54
; %bb.51:
	v_add_nc_u32_e32 v11, v5, v7
	v_add3_u32 v12, v5, v1, v8
	.p2align	6
.LBB130_52:                             ; =>This Inner Loop Header: Depth=1
	v_sub_nc_u32_e32 v13, v10, v9
	s_delay_alu instid0(VALU_DEP_1) | instskip(NEXT) | instid1(VALU_DEP_1)
	v_lshrrev_b32_e32 v14, 31, v13
	v_add_nc_u32_e32 v13, v13, v14
	s_delay_alu instid0(VALU_DEP_1) | instskip(NEXT) | instid1(VALU_DEP_1)
	v_ashrrev_i32_e32 v13, 1, v13
	v_add_nc_u32_e32 v13, v13, v9
	s_delay_alu instid0(VALU_DEP_1)
	v_add_nc_u32_e32 v14, v11, v13
	v_xad_u32 v15, v13, -1, v12
	v_add_nc_u32_e32 v16, 1, v13
	ds_load_u8 v14, v14
	ds_load_u8 v15, v15
	s_waitcnt lgkmcnt(0)
	v_cmp_lt_u16_e64 s7, v15, v14
	s_delay_alu instid0(VALU_DEP_1) | instskip(SKIP_1) | instid1(VALU_DEP_1)
	v_cndmask_b32_e64 v10, v10, v13, s7
	v_cndmask_b32_e64 v9, v16, v9, s7
	v_cmp_ge_i32_e64 s7, v9, v10
	s_delay_alu instid0(VALU_DEP_1) | instskip(NEXT) | instid1(SALU_CYCLE_1)
	s_or_b32 s9, s7, s9
	s_and_not1_b32 exec_lo, exec_lo, s9
	s_cbranch_execnz .LBB130_52
; %bb.53:
	s_or_b32 exec_lo, exec_lo, s9
.LBB130_54:
	s_delay_alu instid0(SALU_CYCLE_1) | instskip(SKIP_2) | instid1(VALU_DEP_2)
	s_or_b32 exec_lo, exec_lo, s8
	v_add_nc_u32_e32 v8, v1, v8
	v_add_nc_u32_e32 v12, v9, v7
	v_sub_nc_u32_e32 v11, v8, v9
	s_delay_alu instid0(VALU_DEP_2) | instskip(SKIP_1) | instid1(VALU_DEP_3)
	v_add_nc_u32_e32 v14, v5, v12
	v_cmp_le_i32_e64 s7, v1, v12
	v_add_nc_u32_e32 v13, v5, v11
	v_cmp_gt_i32_e64 s9, v6, v11
	ds_load_u8 v7, v14
	ds_load_u8 v8, v13
	s_waitcnt lgkmcnt(1)
	v_and_b32_e32 v9, 0xff, v7
	s_waitcnt lgkmcnt(0)
	v_and_b32_e32 v10, 0xff, v8
	s_delay_alu instid0(VALU_DEP_1) | instskip(NEXT) | instid1(VALU_DEP_1)
	v_cmp_lt_u16_e64 s8, v10, v9
                                        ; implicit-def: $vgpr9
                                        ; implicit-def: $vgpr10
	s_or_b32 s7, s7, s8
	s_delay_alu instid0(SALU_CYCLE_1) | instskip(NEXT) | instid1(SALU_CYCLE_1)
	s_and_b32 s7, s9, s7
	s_xor_b32 s8, s7, -1
	s_delay_alu instid0(SALU_CYCLE_1) | instskip(NEXT) | instid1(SALU_CYCLE_1)
	s_and_saveexec_b32 s9, s8
	s_xor_b32 s8, exec_lo, s9
	s_cbranch_execz .LBB130_56
; %bb.55:
	ds_load_u8 v10, v14 offset:1
	v_mov_b32_e32 v9, v8
                                        ; implicit-def: $vgpr13
.LBB130_56:
	s_and_not1_saveexec_b32 s8, s8
	s_cbranch_execz .LBB130_58
; %bb.57:
	ds_load_u8 v9, v13 offset:1
	s_waitcnt lgkmcnt(1)
	v_mov_b32_e32 v10, v7
.LBB130_58:
	s_or_b32 exec_lo, exec_lo, s8
	v_add_nc_u32_e32 v13, 1, v12
	v_add_nc_u32_e32 v15, 1, v11
	s_waitcnt lgkmcnt(0)
	v_and_b32_e32 v16, 0xff, v10
	s_delay_alu instid0(VALU_DEP_3) | instskip(SKIP_2) | instid1(VALU_DEP_3)
	v_cndmask_b32_e64 v14, v13, v12, s7
	v_and_b32_e32 v12, 0xff, v9
	v_cndmask_b32_e64 v13, v11, v15, s7
                                        ; implicit-def: $vgpr11
	v_cmp_ge_i32_e64 s8, v14, v1
	s_delay_alu instid0(VALU_DEP_3) | instskip(NEXT) | instid1(VALU_DEP_3)
	v_cmp_lt_u16_e64 s9, v12, v16
	v_cmp_lt_i32_e64 s10, v13, v6
	s_delay_alu instid0(VALU_DEP_2)
	s_or_b32 s8, s8, s9
	s_delay_alu instid0(VALU_DEP_1) | instid1(SALU_CYCLE_1)
	s_and_b32 s8, s10, s8
	s_delay_alu instid0(SALU_CYCLE_1) | instskip(NEXT) | instid1(SALU_CYCLE_1)
	s_xor_b32 s9, s8, -1
	s_and_saveexec_b32 s10, s9
	s_delay_alu instid0(SALU_CYCLE_1)
	s_xor_b32 s9, exec_lo, s10
	s_cbranch_execz .LBB130_60
; %bb.59:
	v_add_nc_u32_e32 v11, v5, v14
	ds_load_u8 v11, v11 offset:1
.LBB130_60:
	s_or_saveexec_b32 s9, s9
	v_mov_b32_e32 v12, v9
	s_xor_b32 exec_lo, exec_lo, s9
	s_cbranch_execz .LBB130_62
; %bb.61:
	s_waitcnt lgkmcnt(0)
	v_add_nc_u32_e32 v11, v5, v13
	ds_load_u8 v12, v11 offset:1
	v_mov_b32_e32 v11, v10
.LBB130_62:
	s_or_b32 exec_lo, exec_lo, s9
	v_add_nc_u32_e32 v15, 1, v14
	v_add_nc_u32_e32 v17, 1, v13
	s_waitcnt lgkmcnt(0)
	v_and_b32_e32 v18, 0xff, v11
	s_delay_alu instid0(VALU_DEP_3) | instskip(SKIP_2) | instid1(VALU_DEP_3)
	v_cndmask_b32_e64 v16, v15, v14, s8
	v_and_b32_e32 v14, 0xff, v12
	v_cndmask_b32_e64 v15, v13, v17, s8
                                        ; implicit-def: $vgpr13
	v_cmp_ge_i32_e64 s9, v16, v1
	s_delay_alu instid0(VALU_DEP_3) | instskip(NEXT) | instid1(VALU_DEP_3)
	v_cmp_lt_u16_e64 s10, v14, v18
	v_cmp_lt_i32_e64 s11, v15, v6
	s_delay_alu instid0(VALU_DEP_2)
	s_or_b32 s9, s9, s10
	s_delay_alu instid0(VALU_DEP_1) | instid1(SALU_CYCLE_1)
	s_and_b32 s9, s11, s9
	s_delay_alu instid0(SALU_CYCLE_1) | instskip(NEXT) | instid1(SALU_CYCLE_1)
	s_xor_b32 s10, s9, -1
	s_and_saveexec_b32 s11, s10
	s_delay_alu instid0(SALU_CYCLE_1)
	s_xor_b32 s10, exec_lo, s11
	s_cbranch_execz .LBB130_64
; %bb.63:
	v_add_nc_u32_e32 v13, v5, v16
	ds_load_u8 v13, v13 offset:1
.LBB130_64:
	s_or_saveexec_b32 s10, s10
	v_mov_b32_e32 v14, v12
	s_xor_b32 exec_lo, exec_lo, s10
	s_cbranch_execz .LBB130_66
; %bb.65:
	s_waitcnt lgkmcnt(0)
	v_add_nc_u32_e32 v13, v5, v15
	ds_load_u8 v14, v13 offset:1
	v_mov_b32_e32 v13, v11
.LBB130_66:
	s_or_b32 exec_lo, exec_lo, s10
	v_add_nc_u32_e32 v17, 1, v16
	v_add_nc_u32_e32 v19, 1, v15
	s_waitcnt lgkmcnt(0)
	v_and_b32_e32 v20, 0xff, v13
	s_delay_alu instid0(VALU_DEP_3) | instskip(SKIP_2) | instid1(VALU_DEP_3)
	v_cndmask_b32_e64 v18, v17, v16, s9
	v_and_b32_e32 v16, 0xff, v14
	v_cndmask_b32_e64 v17, v15, v19, s9
                                        ; implicit-def: $vgpr15
	v_cmp_ge_i32_e64 s10, v18, v1
	s_delay_alu instid0(VALU_DEP_3) | instskip(NEXT) | instid1(VALU_DEP_3)
	v_cmp_lt_u16_e64 s11, v16, v20
	v_cmp_lt_i32_e64 s12, v17, v6
	s_delay_alu instid0(VALU_DEP_2)
	s_or_b32 s10, s10, s11
	s_delay_alu instid0(VALU_DEP_1) | instid1(SALU_CYCLE_1)
	s_and_b32 s10, s12, s10
	s_delay_alu instid0(SALU_CYCLE_1) | instskip(NEXT) | instid1(SALU_CYCLE_1)
	s_xor_b32 s11, s10, -1
	s_and_saveexec_b32 s12, s11
	s_delay_alu instid0(SALU_CYCLE_1)
	s_xor_b32 s11, exec_lo, s12
	s_cbranch_execz .LBB130_68
; %bb.67:
	v_add_nc_u32_e32 v15, v5, v18
	ds_load_u8 v15, v15 offset:1
.LBB130_68:
	s_or_saveexec_b32 s11, s11
	v_mov_b32_e32 v16, v14
	s_xor_b32 exec_lo, exec_lo, s11
	s_cbranch_execz .LBB130_70
; %bb.69:
	s_waitcnt lgkmcnt(0)
	v_add_nc_u32_e32 v15, v5, v17
	ds_load_u8 v16, v15 offset:1
	v_mov_b32_e32 v15, v13
.LBB130_70:
	s_or_b32 exec_lo, exec_lo, s11
	v_add_nc_u32_e32 v19, 1, v18
	v_add_nc_u32_e32 v21, 1, v17
	s_waitcnt lgkmcnt(0)
	v_and_b32_e32 v22, 0xff, v15
	s_delay_alu instid0(VALU_DEP_3) | instskip(SKIP_2) | instid1(VALU_DEP_3)
	v_cndmask_b32_e64 v20, v19, v18, s10
	v_and_b32_e32 v18, 0xff, v16
	v_cndmask_b32_e64 v19, v17, v21, s10
                                        ; implicit-def: $vgpr17
	v_cmp_ge_i32_e64 s11, v20, v1
	s_delay_alu instid0(VALU_DEP_3) | instskip(NEXT) | instid1(VALU_DEP_3)
	v_cmp_lt_u16_e64 s12, v18, v22
	v_cmp_lt_i32_e64 s13, v19, v6
	s_delay_alu instid0(VALU_DEP_2)
	s_or_b32 s11, s11, s12
	s_delay_alu instid0(VALU_DEP_1) | instid1(SALU_CYCLE_1)
	s_and_b32 s11, s13, s11
	s_delay_alu instid0(SALU_CYCLE_1) | instskip(NEXT) | instid1(SALU_CYCLE_1)
	s_xor_b32 s12, s11, -1
	s_and_saveexec_b32 s13, s12
	s_delay_alu instid0(SALU_CYCLE_1)
	s_xor_b32 s12, exec_lo, s13
	s_cbranch_execz .LBB130_72
; %bb.71:
	v_add_nc_u32_e32 v17, v5, v20
	ds_load_u8 v17, v17 offset:1
.LBB130_72:
	s_or_saveexec_b32 s12, s12
	v_mov_b32_e32 v18, v16
	s_xor_b32 exec_lo, exec_lo, s12
	s_cbranch_execz .LBB130_74
; %bb.73:
	s_waitcnt lgkmcnt(0)
	v_add_nc_u32_e32 v17, v5, v19
	ds_load_u8 v18, v17 offset:1
	v_mov_b32_e32 v17, v15
.LBB130_74:
	s_or_b32 exec_lo, exec_lo, s12
	v_add_nc_u32_e32 v21, 1, v20
	v_add_nc_u32_e32 v22, 1, v19
	s_waitcnt lgkmcnt(0)
	v_and_b32_e32 v23, 0xff, v17
	s_delay_alu instid0(VALU_DEP_3) | instskip(SKIP_2) | instid1(VALU_DEP_3)
	v_cndmask_b32_e64 v20, v21, v20, s11
	v_and_b32_e32 v21, 0xff, v18
	v_cndmask_b32_e64 v19, v19, v22, s11
	v_cmp_ge_i32_e64 s12, v20, v1
	s_delay_alu instid0(VALU_DEP_3) | instskip(NEXT) | instid1(VALU_DEP_3)
	v_cmp_lt_u16_e64 s13, v21, v23
	v_cmp_lt_i32_e64 s14, v19, v6
                                        ; implicit-def: $vgpr21
	s_delay_alu instid0(VALU_DEP_2)
	s_or_b32 s12, s12, s13
	s_delay_alu instid0(VALU_DEP_1) | instid1(SALU_CYCLE_1)
	s_and_b32 s12, s14, s12
	s_delay_alu instid0(SALU_CYCLE_1) | instskip(NEXT) | instid1(SALU_CYCLE_1)
	s_xor_b32 s13, s12, -1
	s_and_saveexec_b32 s14, s13
	s_delay_alu instid0(SALU_CYCLE_1)
	s_xor_b32 s13, exec_lo, s14
	s_cbranch_execz .LBB130_76
; %bb.75:
	v_add_nc_u32_e32 v21, v5, v20
	ds_load_u8 v21, v21 offset:1
.LBB130_76:
	s_or_saveexec_b32 s13, s13
	v_mov_b32_e32 v22, v18
	s_xor_b32 exec_lo, exec_lo, s13
	s_cbranch_execz .LBB130_78
; %bb.77:
	s_waitcnt lgkmcnt(0)
	v_add_nc_u32_e32 v21, v5, v19
	ds_load_u8 v22, v21 offset:1
	v_mov_b32_e32 v21, v17
.LBB130_78:
	s_or_b32 exec_lo, exec_lo, s13
	v_add_nc_u32_e32 v23, 1, v20
	v_add_nc_u32_e32 v24, 1, v19
	s_waitcnt lgkmcnt(0)
	v_and_b32_e32 v25, 0xff, v21
	s_delay_alu instid0(VALU_DEP_3) | instskip(SKIP_2) | instid1(VALU_DEP_3)
	v_cndmask_b32_e64 v23, v23, v20, s12
	v_and_b32_e32 v20, 0xff, v22
	v_cndmask_b32_e64 v24, v19, v24, s12
                                        ; implicit-def: $vgpr19
	v_cmp_ge_i32_e64 s13, v23, v1
	s_delay_alu instid0(VALU_DEP_3) | instskip(NEXT) | instid1(VALU_DEP_3)
	v_cmp_lt_u16_e64 s14, v20, v25
	v_cmp_lt_i32_e64 s15, v24, v6
	s_delay_alu instid0(VALU_DEP_2)
	s_or_b32 s13, s13, s14
	s_delay_alu instid0(VALU_DEP_1) | instid1(SALU_CYCLE_1)
	s_and_b32 s13, s15, s13
	s_delay_alu instid0(SALU_CYCLE_1) | instskip(NEXT) | instid1(SALU_CYCLE_1)
	s_xor_b32 s14, s13, -1
	s_and_saveexec_b32 s15, s14
	s_delay_alu instid0(SALU_CYCLE_1)
	s_xor_b32 s14, exec_lo, s15
	s_cbranch_execz .LBB130_80
; %bb.79:
	v_add_nc_u32_e32 v19, v5, v23
	ds_load_u8 v19, v19 offset:1
.LBB130_80:
	s_or_saveexec_b32 s14, s14
	v_mov_b32_e32 v20, v22
	s_xor_b32 exec_lo, exec_lo, s14
	s_cbranch_execz .LBB130_82
; %bb.81:
	s_waitcnt lgkmcnt(0)
	v_add_nc_u32_e32 v19, v5, v24
	ds_load_u8 v20, v19 offset:1
	v_mov_b32_e32 v19, v21
.LBB130_82:
	s_or_b32 exec_lo, exec_lo, s14
	v_add_nc_u32_e32 v26, 1, v23
	v_add_nc_u32_e32 v25, 1, v24
	v_cndmask_b32_e64 v21, v21, v22, s13
	v_cndmask_b32_e64 v17, v17, v18, s12
	;; [unrolled: 1-line block ×4, first 2 shown]
	v_and_b32_e32 v23, 0xc0, v3
	v_cndmask_b32_e64 v18, v24, v25, s13
	v_cndmask_b32_e64 v15, v15, v16, s11
	s_waitcnt lgkmcnt(0)
	v_and_b32_e32 v16, 0xff, v19
	v_and_b32_e32 v24, 0xff, v20
	v_min_i32_e32 v11, v4, v23
	v_cmp_ge_i32_e64 s9, v22, v1
	v_cndmask_b32_e64 v1, v10, v9, s8
	v_cndmask_b32_e64 v7, v7, v8, s7
	v_cmp_lt_i32_e64 s7, v18, v6
	v_add_nc_u32_e32 v6, 32, v11
	v_cndmask_b32_e64 v13, v13, v14, s10
	v_cmp_lt_u16_e64 s10, v24, v16
	v_lshlrev_b16 v8, 8, v1
	v_and_b32_e32 v7, 0xff, v7
	v_min_i32_e32 v1, v4, v6
	v_lshlrev_b16 v9, 8, v13
	s_or_b32 s8, s9, s10
	v_and_b32_e32 v6, 0xff, v12
	s_and_b32 s7, s7, s8
	v_or_b32_e32 v8, v7, v8
	v_cndmask_b32_e64 v10, v19, v20, s7
	v_add_nc_u32_e32 v7, 32, v1
	v_or_b32_e32 v9, v6, v9
	v_lshlrev_b16 v12, 8, v17
	v_and_b32_e32 v13, 0xff, v15
	v_and_b32_e32 v14, 56, v3
	v_min_i32_e32 v6, v4, v7
	v_and_b32_e32 v15, 0xff, v21
	v_lshlrev_b16 v10, 8, v10
	v_or_b32_e32 v12, v13, v12
	v_min_i32_e32 v7, v4, v14
	v_sub_nc_u32_e32 v13, v6, v1
	v_and_b32_e32 v8, 0xffff, v8
	v_or_b32_e32 v10, v15, v10
	v_lshlrev_b32_e32 v9, 16, v9
	v_and_b32_e32 v14, 0xffff, v12
	v_sub_nc_u32_e32 v15, v7, v13
	v_sub_nc_u32_e32 v16, v1, v11
	v_lshlrev_b32_e32 v10, 16, v10
	v_cmp_ge_i32_e64 s7, v7, v13
	v_or_b32_e32 v12, v8, v9
	s_mov_b32 s9, 0
	v_min_i32_e32 v9, v7, v16
	v_or_b32_e32 v13, v14, v10
	v_cndmask_b32_e64 v8, 0, v15, s7
	s_mov_b32 s8, exec_lo
	; wave barrier
	ds_store_b64 v0, v[12:13]
	; wave barrier
	v_cmpx_lt_i32_e64 v8, v9
	s_cbranch_execz .LBB130_86
; %bb.83:
	v_add_nc_u32_e32 v10, v5, v11
	v_add3_u32 v12, v5, v1, v7
	.p2align	6
.LBB130_84:                             ; =>This Inner Loop Header: Depth=1
	v_sub_nc_u32_e32 v13, v9, v8
	s_delay_alu instid0(VALU_DEP_1) | instskip(NEXT) | instid1(VALU_DEP_1)
	v_lshrrev_b32_e32 v14, 31, v13
	v_add_nc_u32_e32 v13, v13, v14
	s_delay_alu instid0(VALU_DEP_1) | instskip(NEXT) | instid1(VALU_DEP_1)
	v_ashrrev_i32_e32 v13, 1, v13
	v_add_nc_u32_e32 v13, v13, v8
	s_delay_alu instid0(VALU_DEP_1)
	v_add_nc_u32_e32 v14, v10, v13
	v_xad_u32 v15, v13, -1, v12
	v_add_nc_u32_e32 v16, 1, v13
	ds_load_u8 v14, v14
	ds_load_u8 v15, v15
	s_waitcnt lgkmcnt(0)
	v_cmp_lt_u16_e64 s7, v15, v14
	s_delay_alu instid0(VALU_DEP_1) | instskip(SKIP_1) | instid1(VALU_DEP_1)
	v_cndmask_b32_e64 v9, v9, v13, s7
	v_cndmask_b32_e64 v8, v16, v8, s7
	v_cmp_ge_i32_e64 s7, v8, v9
	s_delay_alu instid0(VALU_DEP_1) | instskip(NEXT) | instid1(SALU_CYCLE_1)
	s_or_b32 s9, s7, s9
	s_and_not1_b32 exec_lo, exec_lo, s9
	s_cbranch_execnz .LBB130_84
; %bb.85:
	s_or_b32 exec_lo, exec_lo, s9
.LBB130_86:
	s_delay_alu instid0(SALU_CYCLE_1) | instskip(SKIP_2) | instid1(VALU_DEP_2)
	s_or_b32 exec_lo, exec_lo, s8
	v_add_nc_u32_e32 v7, v1, v7
	v_add_nc_u32_e32 v12, v8, v11
	v_sub_nc_u32_e32 v11, v7, v8
	s_delay_alu instid0(VALU_DEP_2) | instskip(SKIP_1) | instid1(VALU_DEP_3)
	v_add_nc_u32_e32 v14, v5, v12
	v_cmp_le_i32_e64 s7, v1, v12
	v_add_nc_u32_e32 v13, v5, v11
	v_cmp_gt_i32_e64 s9, v6, v11
	ds_load_u8 v7, v14
	ds_load_u8 v8, v13
	s_waitcnt lgkmcnt(1)
	v_and_b32_e32 v9, 0xff, v7
	s_waitcnt lgkmcnt(0)
	v_and_b32_e32 v10, 0xff, v8
	s_delay_alu instid0(VALU_DEP_1) | instskip(NEXT) | instid1(VALU_DEP_1)
	v_cmp_lt_u16_e64 s8, v10, v9
                                        ; implicit-def: $vgpr9
                                        ; implicit-def: $vgpr10
	s_or_b32 s7, s7, s8
	s_delay_alu instid0(SALU_CYCLE_1) | instskip(NEXT) | instid1(SALU_CYCLE_1)
	s_and_b32 s7, s9, s7
	s_xor_b32 s8, s7, -1
	s_delay_alu instid0(SALU_CYCLE_1) | instskip(NEXT) | instid1(SALU_CYCLE_1)
	s_and_saveexec_b32 s9, s8
	s_xor_b32 s8, exec_lo, s9
	s_cbranch_execz .LBB130_88
; %bb.87:
	ds_load_u8 v10, v14 offset:1
	v_mov_b32_e32 v9, v8
                                        ; implicit-def: $vgpr13
.LBB130_88:
	s_and_not1_saveexec_b32 s8, s8
	s_cbranch_execz .LBB130_90
; %bb.89:
	ds_load_u8 v9, v13 offset:1
	s_waitcnt lgkmcnt(1)
	v_mov_b32_e32 v10, v7
.LBB130_90:
	s_or_b32 exec_lo, exec_lo, s8
	v_add_nc_u32_e32 v13, 1, v12
	v_add_nc_u32_e32 v15, 1, v11
	s_waitcnt lgkmcnt(0)
	v_and_b32_e32 v16, 0xff, v10
	s_delay_alu instid0(VALU_DEP_3) | instskip(SKIP_2) | instid1(VALU_DEP_3)
	v_cndmask_b32_e64 v14, v13, v12, s7
	v_and_b32_e32 v12, 0xff, v9
	v_cndmask_b32_e64 v13, v11, v15, s7
                                        ; implicit-def: $vgpr11
	v_cmp_ge_i32_e64 s8, v14, v1
	s_delay_alu instid0(VALU_DEP_3) | instskip(NEXT) | instid1(VALU_DEP_3)
	v_cmp_lt_u16_e64 s9, v12, v16
	v_cmp_lt_i32_e64 s10, v13, v6
	s_delay_alu instid0(VALU_DEP_2)
	s_or_b32 s8, s8, s9
	s_delay_alu instid0(VALU_DEP_1) | instid1(SALU_CYCLE_1)
	s_and_b32 s8, s10, s8
	s_delay_alu instid0(SALU_CYCLE_1) | instskip(NEXT) | instid1(SALU_CYCLE_1)
	s_xor_b32 s9, s8, -1
	s_and_saveexec_b32 s10, s9
	s_delay_alu instid0(SALU_CYCLE_1)
	s_xor_b32 s9, exec_lo, s10
	s_cbranch_execz .LBB130_92
; %bb.91:
	v_add_nc_u32_e32 v11, v5, v14
	ds_load_u8 v11, v11 offset:1
.LBB130_92:
	s_or_saveexec_b32 s9, s9
	v_mov_b32_e32 v12, v9
	s_xor_b32 exec_lo, exec_lo, s9
	s_cbranch_execz .LBB130_94
; %bb.93:
	s_waitcnt lgkmcnt(0)
	v_add_nc_u32_e32 v11, v5, v13
	ds_load_u8 v12, v11 offset:1
	v_mov_b32_e32 v11, v10
.LBB130_94:
	s_or_b32 exec_lo, exec_lo, s9
	v_add_nc_u32_e32 v15, 1, v14
	v_add_nc_u32_e32 v17, 1, v13
	s_waitcnt lgkmcnt(0)
	v_and_b32_e32 v18, 0xff, v11
	s_delay_alu instid0(VALU_DEP_3) | instskip(SKIP_2) | instid1(VALU_DEP_3)
	v_cndmask_b32_e64 v16, v15, v14, s8
	v_and_b32_e32 v14, 0xff, v12
	v_cndmask_b32_e64 v15, v13, v17, s8
                                        ; implicit-def: $vgpr13
	v_cmp_ge_i32_e64 s9, v16, v1
	s_delay_alu instid0(VALU_DEP_3) | instskip(NEXT) | instid1(VALU_DEP_3)
	v_cmp_lt_u16_e64 s10, v14, v18
	v_cmp_lt_i32_e64 s11, v15, v6
	s_delay_alu instid0(VALU_DEP_2)
	s_or_b32 s9, s9, s10
	s_delay_alu instid0(VALU_DEP_1) | instid1(SALU_CYCLE_1)
	s_and_b32 s9, s11, s9
	s_delay_alu instid0(SALU_CYCLE_1) | instskip(NEXT) | instid1(SALU_CYCLE_1)
	s_xor_b32 s10, s9, -1
	s_and_saveexec_b32 s11, s10
	s_delay_alu instid0(SALU_CYCLE_1)
	s_xor_b32 s10, exec_lo, s11
	s_cbranch_execz .LBB130_96
; %bb.95:
	v_add_nc_u32_e32 v13, v5, v16
	ds_load_u8 v13, v13 offset:1
.LBB130_96:
	s_or_saveexec_b32 s10, s10
	v_mov_b32_e32 v14, v12
	s_xor_b32 exec_lo, exec_lo, s10
	s_cbranch_execz .LBB130_98
; %bb.97:
	s_waitcnt lgkmcnt(0)
	v_add_nc_u32_e32 v13, v5, v15
	ds_load_u8 v14, v13 offset:1
	v_mov_b32_e32 v13, v11
.LBB130_98:
	s_or_b32 exec_lo, exec_lo, s10
	v_add_nc_u32_e32 v17, 1, v16
	v_add_nc_u32_e32 v19, 1, v15
	s_waitcnt lgkmcnt(0)
	v_and_b32_e32 v20, 0xff, v13
	s_delay_alu instid0(VALU_DEP_3) | instskip(SKIP_2) | instid1(VALU_DEP_3)
	v_cndmask_b32_e64 v18, v17, v16, s9
	v_and_b32_e32 v16, 0xff, v14
	v_cndmask_b32_e64 v17, v15, v19, s9
                                        ; implicit-def: $vgpr15
	v_cmp_ge_i32_e64 s10, v18, v1
	s_delay_alu instid0(VALU_DEP_3) | instskip(NEXT) | instid1(VALU_DEP_3)
	v_cmp_lt_u16_e64 s11, v16, v20
	v_cmp_lt_i32_e64 s12, v17, v6
	s_delay_alu instid0(VALU_DEP_2)
	s_or_b32 s10, s10, s11
	s_delay_alu instid0(VALU_DEP_1) | instid1(SALU_CYCLE_1)
	s_and_b32 s10, s12, s10
	s_delay_alu instid0(SALU_CYCLE_1) | instskip(NEXT) | instid1(SALU_CYCLE_1)
	s_xor_b32 s11, s10, -1
	s_and_saveexec_b32 s12, s11
	s_delay_alu instid0(SALU_CYCLE_1)
	s_xor_b32 s11, exec_lo, s12
	s_cbranch_execz .LBB130_100
; %bb.99:
	v_add_nc_u32_e32 v15, v5, v18
	ds_load_u8 v15, v15 offset:1
.LBB130_100:
	s_or_saveexec_b32 s11, s11
	v_mov_b32_e32 v16, v14
	s_xor_b32 exec_lo, exec_lo, s11
	s_cbranch_execz .LBB130_102
; %bb.101:
	s_waitcnt lgkmcnt(0)
	v_add_nc_u32_e32 v15, v5, v17
	ds_load_u8 v16, v15 offset:1
	v_mov_b32_e32 v15, v13
.LBB130_102:
	s_or_b32 exec_lo, exec_lo, s11
	v_add_nc_u32_e32 v19, 1, v18
	v_add_nc_u32_e32 v21, 1, v17
	s_waitcnt lgkmcnt(0)
	v_and_b32_e32 v22, 0xff, v15
	s_delay_alu instid0(VALU_DEP_3) | instskip(SKIP_2) | instid1(VALU_DEP_3)
	v_cndmask_b32_e64 v20, v19, v18, s10
	v_and_b32_e32 v18, 0xff, v16
	v_cndmask_b32_e64 v19, v17, v21, s10
                                        ; implicit-def: $vgpr17
	v_cmp_ge_i32_e64 s11, v20, v1
	s_delay_alu instid0(VALU_DEP_3) | instskip(NEXT) | instid1(VALU_DEP_3)
	v_cmp_lt_u16_e64 s12, v18, v22
	v_cmp_lt_i32_e64 s13, v19, v6
	s_delay_alu instid0(VALU_DEP_2)
	s_or_b32 s11, s11, s12
	s_delay_alu instid0(VALU_DEP_1) | instid1(SALU_CYCLE_1)
	s_and_b32 s11, s13, s11
	s_delay_alu instid0(SALU_CYCLE_1) | instskip(NEXT) | instid1(SALU_CYCLE_1)
	s_xor_b32 s12, s11, -1
	s_and_saveexec_b32 s13, s12
	s_delay_alu instid0(SALU_CYCLE_1)
	s_xor_b32 s12, exec_lo, s13
	s_cbranch_execz .LBB130_104
; %bb.103:
	v_add_nc_u32_e32 v17, v5, v20
	ds_load_u8 v17, v17 offset:1
.LBB130_104:
	s_or_saveexec_b32 s12, s12
	v_mov_b32_e32 v18, v16
	s_xor_b32 exec_lo, exec_lo, s12
	s_cbranch_execz .LBB130_106
; %bb.105:
	s_waitcnt lgkmcnt(0)
	v_add_nc_u32_e32 v17, v5, v19
	ds_load_u8 v18, v17 offset:1
	v_mov_b32_e32 v17, v15
.LBB130_106:
	s_or_b32 exec_lo, exec_lo, s12
	v_add_nc_u32_e32 v21, 1, v20
	v_add_nc_u32_e32 v22, 1, v19
	s_waitcnt lgkmcnt(0)
	v_and_b32_e32 v23, 0xff, v17
	s_delay_alu instid0(VALU_DEP_3) | instskip(SKIP_2) | instid1(VALU_DEP_3)
	v_cndmask_b32_e64 v20, v21, v20, s11
	v_and_b32_e32 v21, 0xff, v18
	v_cndmask_b32_e64 v19, v19, v22, s11
	v_cmp_ge_i32_e64 s12, v20, v1
	s_delay_alu instid0(VALU_DEP_3) | instskip(NEXT) | instid1(VALU_DEP_3)
	v_cmp_lt_u16_e64 s13, v21, v23
	v_cmp_lt_i32_e64 s14, v19, v6
                                        ; implicit-def: $vgpr21
	s_delay_alu instid0(VALU_DEP_2)
	s_or_b32 s12, s12, s13
	s_delay_alu instid0(VALU_DEP_1) | instid1(SALU_CYCLE_1)
	s_and_b32 s12, s14, s12
	s_delay_alu instid0(SALU_CYCLE_1) | instskip(NEXT) | instid1(SALU_CYCLE_1)
	s_xor_b32 s13, s12, -1
	s_and_saveexec_b32 s14, s13
	s_delay_alu instid0(SALU_CYCLE_1)
	s_xor_b32 s13, exec_lo, s14
	s_cbranch_execz .LBB130_108
; %bb.107:
	v_add_nc_u32_e32 v21, v5, v20
	ds_load_u8 v21, v21 offset:1
.LBB130_108:
	s_or_saveexec_b32 s13, s13
	v_mov_b32_e32 v22, v18
	s_xor_b32 exec_lo, exec_lo, s13
	s_cbranch_execz .LBB130_110
; %bb.109:
	s_waitcnt lgkmcnt(0)
	v_add_nc_u32_e32 v21, v5, v19
	ds_load_u8 v22, v21 offset:1
	v_mov_b32_e32 v21, v17
.LBB130_110:
	s_or_b32 exec_lo, exec_lo, s13
	v_add_nc_u32_e32 v23, 1, v20
	v_add_nc_u32_e32 v24, 1, v19
	s_waitcnt lgkmcnt(0)
	v_and_b32_e32 v25, 0xff, v21
	s_delay_alu instid0(VALU_DEP_3) | instskip(SKIP_2) | instid1(VALU_DEP_3)
	v_cndmask_b32_e64 v23, v23, v20, s12
	v_and_b32_e32 v20, 0xff, v22
	v_cndmask_b32_e64 v24, v19, v24, s12
                                        ; implicit-def: $vgpr19
	v_cmp_ge_i32_e64 s13, v23, v1
	s_delay_alu instid0(VALU_DEP_3) | instskip(NEXT) | instid1(VALU_DEP_3)
	v_cmp_lt_u16_e64 s14, v20, v25
	v_cmp_lt_i32_e64 s15, v24, v6
	s_delay_alu instid0(VALU_DEP_2)
	s_or_b32 s13, s13, s14
	s_delay_alu instid0(VALU_DEP_1) | instid1(SALU_CYCLE_1)
	s_and_b32 s13, s15, s13
	s_delay_alu instid0(SALU_CYCLE_1) | instskip(NEXT) | instid1(SALU_CYCLE_1)
	s_xor_b32 s14, s13, -1
	s_and_saveexec_b32 s15, s14
	s_delay_alu instid0(SALU_CYCLE_1)
	s_xor_b32 s14, exec_lo, s15
	s_cbranch_execz .LBB130_112
; %bb.111:
	v_add_nc_u32_e32 v19, v5, v23
	ds_load_u8 v19, v19 offset:1
.LBB130_112:
	s_or_saveexec_b32 s14, s14
	v_mov_b32_e32 v20, v22
	s_xor_b32 exec_lo, exec_lo, s14
	s_cbranch_execz .LBB130_114
; %bb.113:
	s_waitcnt lgkmcnt(0)
	v_add_nc_u32_e32 v19, v5, v24
	ds_load_u8 v20, v19 offset:1
	v_mov_b32_e32 v19, v21
.LBB130_114:
	s_or_b32 exec_lo, exec_lo, s14
	v_add_nc_u32_e32 v26, 1, v23
	v_add_nc_u32_e32 v25, 1, v24
	v_cndmask_b32_e64 v21, v21, v22, s13
	v_cndmask_b32_e64 v17, v17, v18, s12
	;; [unrolled: 1-line block ×4, first 2 shown]
	v_and_b32_e32 v23, 0x80, v3
	v_cndmask_b32_e64 v18, v24, v25, s13
	v_cndmask_b32_e64 v15, v15, v16, s11
	s_waitcnt lgkmcnt(0)
	v_and_b32_e32 v16, 0xff, v19
	v_and_b32_e32 v24, 0xff, v20
	v_min_i32_e32 v11, v4, v23
	v_cmp_ge_i32_e64 s9, v22, v1
	v_cndmask_b32_e64 v1, v10, v9, s8
	v_cndmask_b32_e64 v7, v7, v8, s7
	v_cmp_lt_i32_e64 s7, v18, v6
	v_add_nc_u32_e32 v6, 64, v11
	v_cndmask_b32_e64 v13, v13, v14, s10
	v_cmp_lt_u16_e64 s10, v24, v16
	v_lshlrev_b16 v1, 8, v1
	v_and_b32_e32 v7, 0xff, v7
	v_min_i32_e32 v6, v4, v6
	v_lshlrev_b16 v8, 8, v13
	s_or_b32 s8, s9, s10
	v_and_b32_e32 v9, 0xff, v12
	s_and_b32 s7, s7, s8
	v_or_b32_e32 v12, v7, v1
	v_cndmask_b32_e64 v10, v19, v20, s7
	v_add_nc_u32_e32 v1, 64, v6
	v_or_b32_e32 v8, v9, v8
	v_lshlrev_b16 v7, 8, v17
	v_and_b32_e32 v9, 0xff, v15
	v_and_b32_e32 v13, 0x78, v3
	v_min_i32_e32 v1, v4, v1
	v_and_b32_e32 v14, 0xff, v21
	v_lshlrev_b16 v10, 8, v10
	v_or_b32_e32 v9, v9, v7
	v_min_i32_e32 v7, v4, v13
	v_sub_nc_u32_e32 v13, v1, v6
	v_and_b32_e32 v12, 0xffff, v12
	v_or_b32_e32 v10, v14, v10
	v_lshlrev_b32_e32 v8, 16, v8
	v_and_b32_e32 v14, 0xffff, v9
	v_sub_nc_u32_e32 v9, v7, v13
	v_sub_nc_u32_e32 v15, v6, v11
	v_lshlrev_b32_e32 v10, 16, v10
	v_cmp_ge_i32_e64 s7, v7, v13
	v_or_b32_e32 v12, v12, v8
	s_mov_b32 s9, 0
	s_mov_b32 s8, exec_lo
	v_or_b32_e32 v13, v14, v10
	v_cndmask_b32_e64 v8, 0, v9, s7
	v_min_i32_e32 v9, v7, v15
	; wave barrier
	ds_store_b64 v0, v[12:13]
	; wave barrier
	v_cmpx_lt_i32_e64 v8, v9
	s_cbranch_execz .LBB130_118
; %bb.115:
	v_add_nc_u32_e32 v10, v5, v11
	v_add3_u32 v12, v5, v6, v7
	.p2align	6
.LBB130_116:                            ; =>This Inner Loop Header: Depth=1
	v_sub_nc_u32_e32 v13, v9, v8
	s_delay_alu instid0(VALU_DEP_1) | instskip(NEXT) | instid1(VALU_DEP_1)
	v_lshrrev_b32_e32 v14, 31, v13
	v_add_nc_u32_e32 v13, v13, v14
	s_delay_alu instid0(VALU_DEP_1) | instskip(NEXT) | instid1(VALU_DEP_1)
	v_ashrrev_i32_e32 v13, 1, v13
	v_add_nc_u32_e32 v13, v13, v8
	s_delay_alu instid0(VALU_DEP_1)
	v_add_nc_u32_e32 v14, v10, v13
	v_xad_u32 v15, v13, -1, v12
	v_add_nc_u32_e32 v16, 1, v13
	ds_load_u8 v14, v14
	ds_load_u8 v15, v15
	s_waitcnt lgkmcnt(0)
	v_cmp_lt_u16_e64 s7, v15, v14
	s_delay_alu instid0(VALU_DEP_1) | instskip(SKIP_1) | instid1(VALU_DEP_1)
	v_cndmask_b32_e64 v9, v9, v13, s7
	v_cndmask_b32_e64 v8, v16, v8, s7
	v_cmp_ge_i32_e64 s7, v8, v9
	s_delay_alu instid0(VALU_DEP_1) | instskip(NEXT) | instid1(SALU_CYCLE_1)
	s_or_b32 s9, s7, s9
	s_and_not1_b32 exec_lo, exec_lo, s9
	s_cbranch_execnz .LBB130_116
; %bb.117:
	s_or_b32 exec_lo, exec_lo, s9
.LBB130_118:
	s_delay_alu instid0(SALU_CYCLE_1) | instskip(SKIP_2) | instid1(VALU_DEP_2)
	s_or_b32 exec_lo, exec_lo, s8
	v_add_nc_u32_e32 v7, v6, v7
	v_add_nc_u32_e32 v12, v8, v11
	v_sub_nc_u32_e32 v11, v7, v8
	s_delay_alu instid0(VALU_DEP_2) | instskip(SKIP_1) | instid1(VALU_DEP_3)
	v_add_nc_u32_e32 v14, v5, v12
	v_cmp_le_i32_e64 s7, v6, v12
	v_add_nc_u32_e32 v13, v5, v11
	v_cmp_gt_i32_e64 s9, v1, v11
	ds_load_u8 v7, v14
	ds_load_u8 v8, v13
	s_waitcnt lgkmcnt(1)
	v_and_b32_e32 v9, 0xff, v7
	s_waitcnt lgkmcnt(0)
	v_and_b32_e32 v10, 0xff, v8
	s_delay_alu instid0(VALU_DEP_1) | instskip(NEXT) | instid1(VALU_DEP_1)
	v_cmp_lt_u16_e64 s8, v10, v9
                                        ; implicit-def: $vgpr9
                                        ; implicit-def: $vgpr10
	s_or_b32 s7, s7, s8
	s_delay_alu instid0(SALU_CYCLE_1) | instskip(NEXT) | instid1(SALU_CYCLE_1)
	s_and_b32 s7, s9, s7
	s_xor_b32 s8, s7, -1
	s_delay_alu instid0(SALU_CYCLE_1) | instskip(NEXT) | instid1(SALU_CYCLE_1)
	s_and_saveexec_b32 s9, s8
	s_xor_b32 s8, exec_lo, s9
	s_cbranch_execz .LBB130_120
; %bb.119:
	ds_load_u8 v10, v14 offset:1
	v_mov_b32_e32 v9, v8
                                        ; implicit-def: $vgpr13
.LBB130_120:
	s_and_not1_saveexec_b32 s8, s8
	s_cbranch_execz .LBB130_122
; %bb.121:
	ds_load_u8 v9, v13 offset:1
	s_waitcnt lgkmcnt(1)
	v_mov_b32_e32 v10, v7
.LBB130_122:
	s_or_b32 exec_lo, exec_lo, s8
	v_add_nc_u32_e32 v13, 1, v12
	v_add_nc_u32_e32 v15, 1, v11
	s_waitcnt lgkmcnt(0)
	v_and_b32_e32 v16, 0xff, v10
	s_delay_alu instid0(VALU_DEP_3) | instskip(SKIP_2) | instid1(VALU_DEP_3)
	v_cndmask_b32_e64 v14, v13, v12, s7
	v_and_b32_e32 v12, 0xff, v9
	v_cndmask_b32_e64 v13, v11, v15, s7
                                        ; implicit-def: $vgpr11
	v_cmp_ge_i32_e64 s8, v14, v6
	s_delay_alu instid0(VALU_DEP_3) | instskip(NEXT) | instid1(VALU_DEP_3)
	v_cmp_lt_u16_e64 s9, v12, v16
	v_cmp_lt_i32_e64 s10, v13, v1
	s_delay_alu instid0(VALU_DEP_2)
	s_or_b32 s8, s8, s9
	s_delay_alu instid0(VALU_DEP_1) | instid1(SALU_CYCLE_1)
	s_and_b32 s8, s10, s8
	s_delay_alu instid0(SALU_CYCLE_1) | instskip(NEXT) | instid1(SALU_CYCLE_1)
	s_xor_b32 s9, s8, -1
	s_and_saveexec_b32 s10, s9
	s_delay_alu instid0(SALU_CYCLE_1)
	s_xor_b32 s9, exec_lo, s10
	s_cbranch_execz .LBB130_124
; %bb.123:
	v_add_nc_u32_e32 v11, v5, v14
	ds_load_u8 v11, v11 offset:1
.LBB130_124:
	s_or_saveexec_b32 s9, s9
	v_mov_b32_e32 v12, v9
	s_xor_b32 exec_lo, exec_lo, s9
	s_cbranch_execz .LBB130_126
; %bb.125:
	s_waitcnt lgkmcnt(0)
	v_add_nc_u32_e32 v11, v5, v13
	ds_load_u8 v12, v11 offset:1
	v_mov_b32_e32 v11, v10
.LBB130_126:
	s_or_b32 exec_lo, exec_lo, s9
	v_add_nc_u32_e32 v15, 1, v14
	v_add_nc_u32_e32 v17, 1, v13
	s_waitcnt lgkmcnt(0)
	v_and_b32_e32 v18, 0xff, v11
	s_delay_alu instid0(VALU_DEP_3) | instskip(SKIP_2) | instid1(VALU_DEP_3)
	v_cndmask_b32_e64 v16, v15, v14, s8
	v_and_b32_e32 v14, 0xff, v12
	v_cndmask_b32_e64 v15, v13, v17, s8
                                        ; implicit-def: $vgpr13
	v_cmp_ge_i32_e64 s9, v16, v6
	s_delay_alu instid0(VALU_DEP_3) | instskip(NEXT) | instid1(VALU_DEP_3)
	v_cmp_lt_u16_e64 s10, v14, v18
	v_cmp_lt_i32_e64 s11, v15, v1
	s_delay_alu instid0(VALU_DEP_2)
	s_or_b32 s9, s9, s10
	s_delay_alu instid0(VALU_DEP_1) | instid1(SALU_CYCLE_1)
	s_and_b32 s9, s11, s9
	s_delay_alu instid0(SALU_CYCLE_1) | instskip(NEXT) | instid1(SALU_CYCLE_1)
	s_xor_b32 s10, s9, -1
	s_and_saveexec_b32 s11, s10
	s_delay_alu instid0(SALU_CYCLE_1)
	s_xor_b32 s10, exec_lo, s11
	s_cbranch_execz .LBB130_128
; %bb.127:
	v_add_nc_u32_e32 v13, v5, v16
	ds_load_u8 v13, v13 offset:1
.LBB130_128:
	s_or_saveexec_b32 s10, s10
	v_mov_b32_e32 v14, v12
	s_xor_b32 exec_lo, exec_lo, s10
	s_cbranch_execz .LBB130_130
; %bb.129:
	s_waitcnt lgkmcnt(0)
	v_add_nc_u32_e32 v13, v5, v15
	ds_load_u8 v14, v13 offset:1
	v_mov_b32_e32 v13, v11
.LBB130_130:
	s_or_b32 exec_lo, exec_lo, s10
	v_add_nc_u32_e32 v17, 1, v16
	v_add_nc_u32_e32 v19, 1, v15
	s_waitcnt lgkmcnt(0)
	v_and_b32_e32 v20, 0xff, v13
	s_delay_alu instid0(VALU_DEP_3) | instskip(SKIP_2) | instid1(VALU_DEP_3)
	v_cndmask_b32_e64 v18, v17, v16, s9
	v_and_b32_e32 v16, 0xff, v14
	v_cndmask_b32_e64 v17, v15, v19, s9
                                        ; implicit-def: $vgpr15
	v_cmp_ge_i32_e64 s10, v18, v6
	s_delay_alu instid0(VALU_DEP_3) | instskip(NEXT) | instid1(VALU_DEP_3)
	v_cmp_lt_u16_e64 s11, v16, v20
	v_cmp_lt_i32_e64 s12, v17, v1
	s_delay_alu instid0(VALU_DEP_2)
	s_or_b32 s10, s10, s11
	s_delay_alu instid0(VALU_DEP_1) | instid1(SALU_CYCLE_1)
	s_and_b32 s10, s12, s10
	s_delay_alu instid0(SALU_CYCLE_1) | instskip(NEXT) | instid1(SALU_CYCLE_1)
	s_xor_b32 s11, s10, -1
	s_and_saveexec_b32 s12, s11
	s_delay_alu instid0(SALU_CYCLE_1)
	s_xor_b32 s11, exec_lo, s12
	s_cbranch_execz .LBB130_132
; %bb.131:
	v_add_nc_u32_e32 v15, v5, v18
	ds_load_u8 v15, v15 offset:1
.LBB130_132:
	s_or_saveexec_b32 s11, s11
	v_mov_b32_e32 v16, v14
	s_xor_b32 exec_lo, exec_lo, s11
	s_cbranch_execz .LBB130_134
; %bb.133:
	s_waitcnt lgkmcnt(0)
	v_add_nc_u32_e32 v15, v5, v17
	ds_load_u8 v16, v15 offset:1
	v_mov_b32_e32 v15, v13
.LBB130_134:
	s_or_b32 exec_lo, exec_lo, s11
	v_add_nc_u32_e32 v19, 1, v18
	v_add_nc_u32_e32 v21, 1, v17
	s_waitcnt lgkmcnt(0)
	v_and_b32_e32 v22, 0xff, v15
	s_delay_alu instid0(VALU_DEP_3) | instskip(SKIP_2) | instid1(VALU_DEP_3)
	v_cndmask_b32_e64 v20, v19, v18, s10
	v_and_b32_e32 v18, 0xff, v16
	v_cndmask_b32_e64 v19, v17, v21, s10
                                        ; implicit-def: $vgpr17
	v_cmp_ge_i32_e64 s11, v20, v6
	s_delay_alu instid0(VALU_DEP_3) | instskip(NEXT) | instid1(VALU_DEP_3)
	v_cmp_lt_u16_e64 s12, v18, v22
	v_cmp_lt_i32_e64 s13, v19, v1
	s_delay_alu instid0(VALU_DEP_2)
	s_or_b32 s11, s11, s12
	s_delay_alu instid0(VALU_DEP_1) | instid1(SALU_CYCLE_1)
	s_and_b32 s11, s13, s11
	s_delay_alu instid0(SALU_CYCLE_1) | instskip(NEXT) | instid1(SALU_CYCLE_1)
	s_xor_b32 s12, s11, -1
	s_and_saveexec_b32 s13, s12
	s_delay_alu instid0(SALU_CYCLE_1)
	s_xor_b32 s12, exec_lo, s13
	s_cbranch_execz .LBB130_136
; %bb.135:
	v_add_nc_u32_e32 v17, v5, v20
	ds_load_u8 v17, v17 offset:1
.LBB130_136:
	s_or_saveexec_b32 s12, s12
	v_mov_b32_e32 v18, v16
	s_xor_b32 exec_lo, exec_lo, s12
	s_cbranch_execz .LBB130_138
; %bb.137:
	s_waitcnt lgkmcnt(0)
	v_add_nc_u32_e32 v17, v5, v19
	ds_load_u8 v18, v17 offset:1
	v_mov_b32_e32 v17, v15
.LBB130_138:
	s_or_b32 exec_lo, exec_lo, s12
	v_add_nc_u32_e32 v21, 1, v20
	v_add_nc_u32_e32 v22, 1, v19
	s_waitcnt lgkmcnt(0)
	v_and_b32_e32 v23, 0xff, v17
	s_delay_alu instid0(VALU_DEP_3) | instskip(SKIP_2) | instid1(VALU_DEP_3)
	v_cndmask_b32_e64 v20, v21, v20, s11
	v_and_b32_e32 v21, 0xff, v18
	v_cndmask_b32_e64 v19, v19, v22, s11
	v_cmp_ge_i32_e64 s12, v20, v6
	s_delay_alu instid0(VALU_DEP_3) | instskip(NEXT) | instid1(VALU_DEP_3)
	v_cmp_lt_u16_e64 s13, v21, v23
	v_cmp_lt_i32_e64 s14, v19, v1
                                        ; implicit-def: $vgpr21
	s_delay_alu instid0(VALU_DEP_2)
	s_or_b32 s12, s12, s13
	s_delay_alu instid0(VALU_DEP_1) | instid1(SALU_CYCLE_1)
	s_and_b32 s12, s14, s12
	s_delay_alu instid0(SALU_CYCLE_1) | instskip(NEXT) | instid1(SALU_CYCLE_1)
	s_xor_b32 s13, s12, -1
	s_and_saveexec_b32 s14, s13
	s_delay_alu instid0(SALU_CYCLE_1)
	s_xor_b32 s13, exec_lo, s14
	s_cbranch_execz .LBB130_140
; %bb.139:
	v_add_nc_u32_e32 v21, v5, v20
	ds_load_u8 v21, v21 offset:1
.LBB130_140:
	s_or_saveexec_b32 s13, s13
	v_mov_b32_e32 v22, v18
	s_xor_b32 exec_lo, exec_lo, s13
	s_cbranch_execz .LBB130_142
; %bb.141:
	s_waitcnt lgkmcnt(0)
	v_add_nc_u32_e32 v21, v5, v19
	ds_load_u8 v22, v21 offset:1
	v_mov_b32_e32 v21, v17
.LBB130_142:
	s_or_b32 exec_lo, exec_lo, s13
	v_add_nc_u32_e32 v23, 1, v20
	v_add_nc_u32_e32 v24, 1, v19
	s_waitcnt lgkmcnt(0)
	v_and_b32_e32 v25, 0xff, v21
	s_delay_alu instid0(VALU_DEP_3) | instskip(SKIP_2) | instid1(VALU_DEP_3)
	v_cndmask_b32_e64 v23, v23, v20, s12
	v_and_b32_e32 v20, 0xff, v22
	v_cndmask_b32_e64 v24, v19, v24, s12
                                        ; implicit-def: $vgpr19
	v_cmp_ge_i32_e64 s13, v23, v6
	s_delay_alu instid0(VALU_DEP_3) | instskip(NEXT) | instid1(VALU_DEP_3)
	v_cmp_lt_u16_e64 s14, v20, v25
	v_cmp_lt_i32_e64 s15, v24, v1
	s_delay_alu instid0(VALU_DEP_2)
	s_or_b32 s13, s13, s14
	s_delay_alu instid0(VALU_DEP_1) | instid1(SALU_CYCLE_1)
	s_and_b32 s13, s15, s13
	s_delay_alu instid0(SALU_CYCLE_1) | instskip(NEXT) | instid1(SALU_CYCLE_1)
	s_xor_b32 s14, s13, -1
	s_and_saveexec_b32 s15, s14
	s_delay_alu instid0(SALU_CYCLE_1)
	s_xor_b32 s14, exec_lo, s15
	s_cbranch_execz .LBB130_144
; %bb.143:
	v_add_nc_u32_e32 v19, v5, v23
	ds_load_u8 v19, v19 offset:1
.LBB130_144:
	s_or_saveexec_b32 s14, s14
	v_mov_b32_e32 v20, v22
	s_xor_b32 exec_lo, exec_lo, s14
	s_cbranch_execz .LBB130_146
; %bb.145:
	s_waitcnt lgkmcnt(0)
	v_add_nc_u32_e32 v19, v5, v24
	ds_load_u8 v20, v19 offset:1
	v_mov_b32_e32 v19, v21
.LBB130_146:
	s_or_b32 exec_lo, exec_lo, s14
	v_add_nc_u32_e32 v25, 1, v24
	v_add_nc_u32_e32 v26, 1, v23
	v_cndmask_b32_e64 v21, v21, v22, s13
	v_cndmask_b32_e64 v17, v17, v18, s12
	;; [unrolled: 1-line block ×5, first 2 shown]
	v_min_i32_e32 v11, 0, v4
	v_cndmask_b32_e64 v15, v15, v16, s11
	s_waitcnt lgkmcnt(0)
	v_and_b32_e32 v16, 0xff, v19
	v_and_b32_e32 v23, 0xff, v20
	v_cmp_ge_i32_e64 s9, v22, v6
	v_cndmask_b32_e64 v6, v10, v9, s8
	v_cndmask_b32_e64 v7, v7, v8, s7
	v_cmp_lt_i32_e64 s7, v18, v1
	v_add_nc_u32_e32 v1, 0x80, v11
	v_cndmask_b32_e64 v13, v13, v14, s10
	v_cmp_lt_u16_e64 s10, v23, v16
	v_lshlrev_b16 v8, 8, v6
	v_and_b32_e32 v7, 0xff, v7
	v_min_i32_e32 v6, v4, v1
	v_lshlrev_b16 v9, 8, v13
	s_or_b32 s8, s9, s10
	v_and_b32_e32 v1, 0xff, v12
	s_and_b32 s7, s7, s8
	v_or_b32_e32 v8, v7, v8
	v_cndmask_b32_e64 v10, v19, v20, s7
	v_add_nc_u32_e32 v7, 0x80, v6
	v_or_b32_e32 v9, v1, v9
	v_lshlrev_b16 v1, 8, v17
	v_and_b32_e32 v12, 0xff, v15
	v_and_b32_e32 v13, 0xf8, v3
	v_min_i32_e32 v7, v4, v7
	v_and_b32_e32 v14, 0xff, v21
	v_lshlrev_b16 v10, 8, v10
	v_or_b32_e32 v12, v12, v1
	v_min_i32_e32 v1, v4, v13
	v_sub_nc_u32_e32 v4, v7, v6
	v_and_b32_e32 v8, 0xffff, v8
	v_or_b32_e32 v10, v14, v10
	v_lshlrev_b32_e32 v9, 16, v9
	v_and_b32_e32 v12, 0xffff, v12
	v_sub_nc_u32_e32 v13, v1, v4
	v_sub_nc_u32_e32 v14, v6, v11
	v_lshlrev_b32_e32 v10, 16, v10
	v_cmp_ge_i32_e64 s7, v1, v4
	v_or_b32_e32 v9, v8, v9
	s_mov_b32 s9, 0
	v_min_i32_e32 v8, v1, v14
	v_or_b32_e32 v10, v12, v10
	v_cndmask_b32_e64 v4, 0, v13, s7
	s_mov_b32 s8, exec_lo
	; wave barrier
	ds_store_b64 v0, v[9:10]
	; wave barrier
	v_cmpx_lt_i32_e64 v4, v8
	s_cbranch_execz .LBB130_150
; %bb.147:
	v_add_nc_u32_e32 v0, v5, v11
	v_add3_u32 v9, v5, v6, v1
	.p2align	6
.LBB130_148:                            ; =>This Inner Loop Header: Depth=1
	v_sub_nc_u32_e32 v10, v8, v4
	s_delay_alu instid0(VALU_DEP_1) | instskip(NEXT) | instid1(VALU_DEP_1)
	v_lshrrev_b32_e32 v12, 31, v10
	v_add_nc_u32_e32 v10, v10, v12
	s_delay_alu instid0(VALU_DEP_1) | instskip(NEXT) | instid1(VALU_DEP_1)
	v_ashrrev_i32_e32 v10, 1, v10
	v_add_nc_u32_e32 v10, v10, v4
	s_delay_alu instid0(VALU_DEP_1)
	v_add_nc_u32_e32 v12, v0, v10
	v_xad_u32 v13, v10, -1, v9
	v_add_nc_u32_e32 v14, 1, v10
	ds_load_u8 v12, v12
	ds_load_u8 v13, v13
	s_waitcnt lgkmcnt(0)
	v_cmp_lt_u16_e64 s7, v13, v12
	s_delay_alu instid0(VALU_DEP_1) | instskip(SKIP_1) | instid1(VALU_DEP_1)
	v_cndmask_b32_e64 v8, v8, v10, s7
	v_cndmask_b32_e64 v4, v14, v4, s7
	v_cmp_ge_i32_e64 s7, v4, v8
	s_delay_alu instid0(VALU_DEP_1) | instskip(NEXT) | instid1(SALU_CYCLE_1)
	s_or_b32 s9, s7, s9
	s_and_not1_b32 exec_lo, exec_lo, s9
	s_cbranch_execnz .LBB130_148
; %bb.149:
	s_or_b32 exec_lo, exec_lo, s9
.LBB130_150:
	s_delay_alu instid0(SALU_CYCLE_1) | instskip(SKIP_2) | instid1(VALU_DEP_2)
	s_or_b32 exec_lo, exec_lo, s8
	v_add_nc_u32_e32 v0, v6, v1
	v_add_nc_u32_e32 v1, v4, v11
	v_sub_nc_u32_e32 v0, v0, v4
	s_delay_alu instid0(VALU_DEP_2) | instskip(SKIP_1) | instid1(VALU_DEP_3)
	v_add_nc_u32_e32 v12, v5, v1
	v_cmp_le_i32_e64 s7, v6, v1
	v_add_nc_u32_e32 v11, v5, v0
	v_cmp_gt_i32_e64 s9, v7, v0
	ds_load_u8 v4, v12
	ds_load_u8 v8, v11
	s_waitcnt lgkmcnt(1)
	v_and_b32_e32 v9, 0xff, v4
	s_waitcnt lgkmcnt(0)
	v_and_b32_e32 v10, 0xff, v8
	s_delay_alu instid0(VALU_DEP_1) | instskip(NEXT) | instid1(VALU_DEP_1)
	v_cmp_lt_u16_e64 s8, v10, v9
                                        ; implicit-def: $vgpr9
                                        ; implicit-def: $vgpr10
	s_or_b32 s7, s7, s8
	s_delay_alu instid0(SALU_CYCLE_1) | instskip(NEXT) | instid1(SALU_CYCLE_1)
	s_and_b32 s7, s9, s7
	s_xor_b32 s8, s7, -1
	s_delay_alu instid0(SALU_CYCLE_1) | instskip(NEXT) | instid1(SALU_CYCLE_1)
	s_and_saveexec_b32 s9, s8
	s_xor_b32 s8, exec_lo, s9
	s_cbranch_execz .LBB130_152
; %bb.151:
	ds_load_u8 v10, v12 offset:1
	v_mov_b32_e32 v9, v8
                                        ; implicit-def: $vgpr11
.LBB130_152:
	s_and_not1_saveexec_b32 s8, s8
	s_cbranch_execz .LBB130_154
; %bb.153:
	ds_load_u8 v9, v11 offset:1
	s_waitcnt lgkmcnt(1)
	v_mov_b32_e32 v10, v4
.LBB130_154:
	s_or_b32 exec_lo, exec_lo, s8
	v_add_nc_u32_e32 v11, 1, v1
	v_add_nc_u32_e32 v12, 1, v0
	s_waitcnt lgkmcnt(0)
	v_and_b32_e32 v13, 0xff, v10
	s_delay_alu instid0(VALU_DEP_3) | instskip(SKIP_2) | instid1(VALU_DEP_3)
	v_cndmask_b32_e64 v1, v11, v1, s7
	v_and_b32_e32 v11, 0xff, v9
	v_cndmask_b32_e64 v0, v0, v12, s7
	v_cmp_ge_i32_e64 s8, v1, v6
	s_delay_alu instid0(VALU_DEP_3) | instskip(NEXT) | instid1(VALU_DEP_3)
	v_cmp_lt_u16_e64 s9, v11, v13
	v_cmp_lt_i32_e64 s10, v0, v7
                                        ; implicit-def: $vgpr11
	s_delay_alu instid0(VALU_DEP_2)
	s_or_b32 s8, s8, s9
	s_delay_alu instid0(VALU_DEP_1) | instid1(SALU_CYCLE_1)
	s_and_b32 s8, s10, s8
	s_delay_alu instid0(SALU_CYCLE_1) | instskip(NEXT) | instid1(SALU_CYCLE_1)
	s_xor_b32 s9, s8, -1
	s_and_saveexec_b32 s10, s9
	s_delay_alu instid0(SALU_CYCLE_1)
	s_xor_b32 s9, exec_lo, s10
	s_cbranch_execz .LBB130_156
; %bb.155:
	v_add_nc_u32_e32 v11, v5, v1
	ds_load_u8 v11, v11 offset:1
.LBB130_156:
	s_or_saveexec_b32 s9, s9
	v_mov_b32_e32 v12, v9
	s_xor_b32 exec_lo, exec_lo, s9
	s_cbranch_execz .LBB130_158
; %bb.157:
	s_waitcnt lgkmcnt(0)
	v_add_nc_u32_e32 v11, v5, v0
	ds_load_u8 v12, v11 offset:1
	v_mov_b32_e32 v11, v10
.LBB130_158:
	s_or_b32 exec_lo, exec_lo, s9
	v_add_nc_u32_e32 v13, 1, v1
	v_add_nc_u32_e32 v14, 1, v0
	s_waitcnt lgkmcnt(0)
	v_and_b32_e32 v15, 0xff, v11
	s_delay_alu instid0(VALU_DEP_3) | instskip(SKIP_2) | instid1(VALU_DEP_3)
	v_cndmask_b32_e64 v1, v13, v1, s8
	v_and_b32_e32 v13, 0xff, v12
	v_cndmask_b32_e64 v0, v0, v14, s8
	v_cmp_ge_i32_e64 s9, v1, v6
	s_delay_alu instid0(VALU_DEP_3) | instskip(NEXT) | instid1(VALU_DEP_3)
	v_cmp_lt_u16_e64 s10, v13, v15
	v_cmp_lt_i32_e64 s11, v0, v7
                                        ; implicit-def: $vgpr13
	s_delay_alu instid0(VALU_DEP_2)
	s_or_b32 s9, s9, s10
	s_delay_alu instid0(VALU_DEP_1) | instid1(SALU_CYCLE_1)
	s_and_b32 s9, s11, s9
	s_delay_alu instid0(SALU_CYCLE_1) | instskip(NEXT) | instid1(SALU_CYCLE_1)
	s_xor_b32 s10, s9, -1
	s_and_saveexec_b32 s11, s10
	s_delay_alu instid0(SALU_CYCLE_1)
	s_xor_b32 s10, exec_lo, s11
	s_cbranch_execz .LBB130_160
; %bb.159:
	v_add_nc_u32_e32 v13, v5, v1
	ds_load_u8 v13, v13 offset:1
.LBB130_160:
	s_or_saveexec_b32 s10, s10
	v_mov_b32_e32 v14, v12
	s_xor_b32 exec_lo, exec_lo, s10
	s_cbranch_execz .LBB130_162
; %bb.161:
	s_waitcnt lgkmcnt(0)
	v_add_nc_u32_e32 v13, v5, v0
	ds_load_u8 v14, v13 offset:1
	v_mov_b32_e32 v13, v11
.LBB130_162:
	s_or_b32 exec_lo, exec_lo, s10
	v_add_nc_u32_e32 v15, 1, v1
	v_add_nc_u32_e32 v16, 1, v0
	s_waitcnt lgkmcnt(0)
	v_and_b32_e32 v17, 0xff, v13
	s_delay_alu instid0(VALU_DEP_3) | instskip(SKIP_2) | instid1(VALU_DEP_3)
	v_cndmask_b32_e64 v1, v15, v1, s9
	v_and_b32_e32 v15, 0xff, v14
	v_cndmask_b32_e64 v0, v0, v16, s9
	v_cmp_ge_i32_e64 s10, v1, v6
	s_delay_alu instid0(VALU_DEP_3) | instskip(NEXT) | instid1(VALU_DEP_3)
	v_cmp_lt_u16_e64 s11, v15, v17
	v_cmp_lt_i32_e64 s12, v0, v7
                                        ; implicit-def: $vgpr15
	s_delay_alu instid0(VALU_DEP_2)
	s_or_b32 s10, s10, s11
	s_delay_alu instid0(VALU_DEP_1) | instid1(SALU_CYCLE_1)
	s_and_b32 s10, s12, s10
	s_delay_alu instid0(SALU_CYCLE_1) | instskip(NEXT) | instid1(SALU_CYCLE_1)
	s_xor_b32 s11, s10, -1
	s_and_saveexec_b32 s12, s11
	s_delay_alu instid0(SALU_CYCLE_1)
	s_xor_b32 s11, exec_lo, s12
	s_cbranch_execz .LBB130_164
; %bb.163:
	v_add_nc_u32_e32 v15, v5, v1
	ds_load_u8 v15, v15 offset:1
.LBB130_164:
	s_or_saveexec_b32 s11, s11
	v_mov_b32_e32 v16, v14
	s_xor_b32 exec_lo, exec_lo, s11
	s_cbranch_execz .LBB130_166
; %bb.165:
	s_waitcnt lgkmcnt(0)
	v_add_nc_u32_e32 v15, v5, v0
	ds_load_u8 v16, v15 offset:1
	v_mov_b32_e32 v15, v13
.LBB130_166:
	s_or_b32 exec_lo, exec_lo, s11
	v_add_nc_u32_e32 v17, 1, v1
	v_add_nc_u32_e32 v18, 1, v0
	s_waitcnt lgkmcnt(0)
	v_and_b32_e32 v19, 0xff, v15
	s_delay_alu instid0(VALU_DEP_3) | instskip(SKIP_2) | instid1(VALU_DEP_3)
	v_cndmask_b32_e64 v1, v17, v1, s10
	v_and_b32_e32 v17, 0xff, v16
	v_cndmask_b32_e64 v0, v0, v18, s10
	v_cmp_ge_i32_e64 s11, v1, v6
	s_delay_alu instid0(VALU_DEP_3) | instskip(NEXT) | instid1(VALU_DEP_3)
	v_cmp_lt_u16_e64 s12, v17, v19
	v_cmp_lt_i32_e64 s13, v0, v7
                                        ; implicit-def: $vgpr17
	s_delay_alu instid0(VALU_DEP_2)
	s_or_b32 s11, s11, s12
	s_delay_alu instid0(VALU_DEP_1) | instid1(SALU_CYCLE_1)
	s_and_b32 s11, s13, s11
	s_delay_alu instid0(SALU_CYCLE_1) | instskip(NEXT) | instid1(SALU_CYCLE_1)
	s_xor_b32 s12, s11, -1
	s_and_saveexec_b32 s13, s12
	s_delay_alu instid0(SALU_CYCLE_1)
	s_xor_b32 s12, exec_lo, s13
	s_cbranch_execz .LBB130_168
; %bb.167:
	v_add_nc_u32_e32 v17, v5, v1
	ds_load_u8 v17, v17 offset:1
.LBB130_168:
	s_or_saveexec_b32 s12, s12
	v_mov_b32_e32 v18, v16
	s_xor_b32 exec_lo, exec_lo, s12
	s_cbranch_execz .LBB130_170
; %bb.169:
	s_waitcnt lgkmcnt(0)
	v_add_nc_u32_e32 v17, v5, v0
	ds_load_u8 v18, v17 offset:1
	v_mov_b32_e32 v17, v15
.LBB130_170:
	s_or_b32 exec_lo, exec_lo, s12
	v_add_nc_u32_e32 v19, 1, v1
	v_add_nc_u32_e32 v20, 1, v0
	s_waitcnt lgkmcnt(0)
	v_and_b32_e32 v21, 0xff, v17
	s_delay_alu instid0(VALU_DEP_3) | instskip(SKIP_2) | instid1(VALU_DEP_3)
	v_cndmask_b32_e64 v1, v19, v1, s11
	v_and_b32_e32 v19, 0xff, v18
	v_cndmask_b32_e64 v0, v0, v20, s11
	v_cmp_ge_i32_e64 s12, v1, v6
	s_delay_alu instid0(VALU_DEP_3) | instskip(NEXT) | instid1(VALU_DEP_3)
	v_cmp_lt_u16_e64 s13, v19, v21
	v_cmp_lt_i32_e64 s14, v0, v7
                                        ; implicit-def: $vgpr19
	s_delay_alu instid0(VALU_DEP_2)
	s_or_b32 s12, s12, s13
	s_delay_alu instid0(VALU_DEP_1) | instid1(SALU_CYCLE_1)
	s_and_b32 s12, s14, s12
	s_delay_alu instid0(SALU_CYCLE_1) | instskip(NEXT) | instid1(SALU_CYCLE_1)
	s_xor_b32 s13, s12, -1
	s_and_saveexec_b32 s14, s13
	s_delay_alu instid0(SALU_CYCLE_1)
	s_xor_b32 s13, exec_lo, s14
	s_cbranch_execz .LBB130_172
; %bb.171:
	v_add_nc_u32_e32 v19, v5, v1
	ds_load_u8 v19, v19 offset:1
.LBB130_172:
	s_or_saveexec_b32 s13, s13
	v_mov_b32_e32 v20, v18
	s_xor_b32 exec_lo, exec_lo, s13
	s_cbranch_execz .LBB130_174
; %bb.173:
	s_waitcnt lgkmcnt(0)
	v_add_nc_u32_e32 v19, v5, v0
	ds_load_u8 v20, v19 offset:1
	v_mov_b32_e32 v19, v17
.LBB130_174:
	s_or_b32 exec_lo, exec_lo, s13
	v_add_nc_u32_e32 v21, 1, v1
	v_add_nc_u32_e32 v22, 1, v0
	s_waitcnt lgkmcnt(0)
	v_and_b32_e32 v23, 0xff, v19
	v_and_b32_e32 v24, 0xff, v20
	v_cndmask_b32_e64 v1, v21, v1, s12
	v_cndmask_b32_e64 v21, v0, v22, s12
                                        ; implicit-def: $vgpr22
	s_delay_alu instid0(VALU_DEP_3) | instskip(NEXT) | instid1(VALU_DEP_3)
	v_cmp_lt_u16_e64 s14, v24, v23
                                        ; implicit-def: $vgpr23
	v_cmp_ge_i32_e64 s13, v1, v6
	s_delay_alu instid0(VALU_DEP_3) | instskip(NEXT) | instid1(VALU_DEP_2)
	v_cmp_lt_i32_e64 s15, v21, v7
	s_or_b32 s13, s13, s14
	s_delay_alu instid0(VALU_DEP_1) | instid1(SALU_CYCLE_1)
	s_and_b32 s13, s15, s13
	s_delay_alu instid0(SALU_CYCLE_1) | instskip(NEXT) | instid1(SALU_CYCLE_1)
	s_xor_b32 s14, s13, -1
	s_and_saveexec_b32 s15, s14
	s_delay_alu instid0(SALU_CYCLE_1)
	s_xor_b32 s14, exec_lo, s15
	s_cbranch_execz .LBB130_176
; %bb.175:
	v_add_nc_u32_e32 v0, v5, v1
	v_add_nc_u32_e32 v23, 1, v1
                                        ; implicit-def: $vgpr1
                                        ; implicit-def: $vgpr5
	ds_load_u8 v22, v0 offset:1
.LBB130_176:
	s_or_saveexec_b32 s14, s14
	v_mov_b32_e32 v24, v20
	s_xor_b32 exec_lo, exec_lo, s14
	s_cbranch_execz .LBB130_178
; %bb.177:
	v_add_nc_u32_e32 v0, v5, v21
	s_waitcnt lgkmcnt(0)
	v_dual_mov_b32 v22, v19 :: v_dual_add_nc_u32 v21, 1, v21
	v_mov_b32_e32 v23, v1
	ds_load_u8 v24, v0 offset:1
.LBB130_178:
	s_or_b32 exec_lo, exec_lo, s14
	v_add_co_u32 v0, s14, s18, v2
	s_delay_alu instid0(VALU_DEP_1) | instskip(NEXT) | instid1(VALU_DEP_2)
	v_add_co_ci_u32_e64 v1, null, s19, 0, s14
	v_add_co_u32 v0, s14, v0, v3
	s_delay_alu instid0(VALU_DEP_1)
	v_add_co_ci_u32_e64 v1, s14, 0, v1, s14
	s_and_saveexec_b32 s14, vcc_lo
	s_cbranch_execnz .LBB130_187
; %bb.179:
	s_or_b32 exec_lo, exec_lo, s14
	s_and_saveexec_b32 s7, s0
	s_cbranch_execnz .LBB130_188
.LBB130_180:
	s_or_b32 exec_lo, exec_lo, s7
	s_and_saveexec_b32 s0, s1
	s_cbranch_execnz .LBB130_189
.LBB130_181:
	s_or_b32 exec_lo, exec_lo, s0
	s_and_saveexec_b32 s0, s2
	s_cbranch_execnz .LBB130_190
.LBB130_182:
	s_or_b32 exec_lo, exec_lo, s0
	s_and_saveexec_b32 s0, s3
	s_cbranch_execnz .LBB130_191
.LBB130_183:
	s_or_b32 exec_lo, exec_lo, s0
	s_and_saveexec_b32 s0, s4
	s_cbranch_execnz .LBB130_192
.LBB130_184:
	s_or_b32 exec_lo, exec_lo, s0
	s_and_saveexec_b32 s0, s5
	s_cbranch_execnz .LBB130_193
.LBB130_185:
	s_or_b32 exec_lo, exec_lo, s0
	s_and_saveexec_b32 s0, s6
	s_cbranch_execnz .LBB130_194
.LBB130_186:
	s_nop 0
	s_sendmsg sendmsg(MSG_DEALLOC_VGPRS)
	s_endpgm
.LBB130_187:
	v_cndmask_b32_e64 v2, v4, v8, s7
	global_store_b8 v[0:1], v2, off
	s_or_b32 exec_lo, exec_lo, s14
	s_and_saveexec_b32 s7, s0
	s_cbranch_execz .LBB130_180
.LBB130_188:
	v_cndmask_b32_e64 v2, v10, v9, s8
	global_store_b8 v[0:1], v2, off offset:1
	s_or_b32 exec_lo, exec_lo, s7
	s_and_saveexec_b32 s0, s1
	s_cbranch_execz .LBB130_181
.LBB130_189:
	v_cndmask_b32_e64 v2, v11, v12, s9
	global_store_b8 v[0:1], v2, off offset:2
	s_or_b32 exec_lo, exec_lo, s0
	s_and_saveexec_b32 s0, s2
	s_cbranch_execz .LBB130_182
.LBB130_190:
	v_cndmask_b32_e64 v2, v13, v14, s10
	global_store_b8 v[0:1], v2, off offset:3
	s_or_b32 exec_lo, exec_lo, s0
	s_and_saveexec_b32 s0, s3
	s_cbranch_execz .LBB130_183
.LBB130_191:
	v_cndmask_b32_e64 v2, v15, v16, s11
	global_store_b8 v[0:1], v2, off offset:4
	s_or_b32 exec_lo, exec_lo, s0
	s_and_saveexec_b32 s0, s4
	s_cbranch_execz .LBB130_184
.LBB130_192:
	v_cndmask_b32_e64 v2, v17, v18, s12
	global_store_b8 v[0:1], v2, off offset:5
	s_or_b32 exec_lo, exec_lo, s0
	s_and_saveexec_b32 s0, s5
	s_cbranch_execz .LBB130_185
.LBB130_193:
	v_cndmask_b32_e64 v2, v19, v20, s13
	global_store_b8 v[0:1], v2, off offset:6
	s_or_b32 exec_lo, exec_lo, s0
	s_and_saveexec_b32 s0, s6
	s_cbranch_execz .LBB130_186
.LBB130_194:
	s_waitcnt lgkmcnt(0)
	v_and_b32_e32 v2, 0xff, v22
	v_and_b32_e32 v3, 0xff, v24
	v_cmp_ge_i32_e32 vcc_lo, v23, v6
	v_cmp_lt_i32_e64 s1, v21, v7
	s_delay_alu instid0(VALU_DEP_3) | instskip(NEXT) | instid1(VALU_DEP_1)
	v_cmp_lt_u16_e64 s0, v3, v2
	s_or_b32 s0, vcc_lo, s0
	s_delay_alu instid0(VALU_DEP_2) | instid1(SALU_CYCLE_1)
	s_and_b32 vcc_lo, s1, s0
	v_cndmask_b32_e32 v2, v22, v24, vcc_lo
	global_store_b8 v[0:1], v2, off offset:7
	s_nop 0
	s_sendmsg sendmsg(MSG_DEALLOC_VGPRS)
	s_endpgm
	.section	.rodata,"a",@progbits
	.p2align	6, 0x0
	.amdhsa_kernel _Z19sort_keys_segmentedILj256ELj32ELj8EhN10test_utils4lessEEvPKT2_PS2_PKjT3_
		.amdhsa_group_segment_fixed_size 2056
		.amdhsa_private_segment_fixed_size 0
		.amdhsa_kernarg_size 28
		.amdhsa_user_sgpr_count 15
		.amdhsa_user_sgpr_dispatch_ptr 0
		.amdhsa_user_sgpr_queue_ptr 0
		.amdhsa_user_sgpr_kernarg_segment_ptr 1
		.amdhsa_user_sgpr_dispatch_id 0
		.amdhsa_user_sgpr_private_segment_size 0
		.amdhsa_wavefront_size32 1
		.amdhsa_uses_dynamic_stack 0
		.amdhsa_enable_private_segment 0
		.amdhsa_system_sgpr_workgroup_id_x 1
		.amdhsa_system_sgpr_workgroup_id_y 0
		.amdhsa_system_sgpr_workgroup_id_z 0
		.amdhsa_system_sgpr_workgroup_info 0
		.amdhsa_system_vgpr_workitem_id 0
		.amdhsa_next_free_vgpr 27
		.amdhsa_next_free_sgpr 20
		.amdhsa_reserve_vcc 1
		.amdhsa_float_round_mode_32 0
		.amdhsa_float_round_mode_16_64 0
		.amdhsa_float_denorm_mode_32 3
		.amdhsa_float_denorm_mode_16_64 3
		.amdhsa_dx10_clamp 1
		.amdhsa_ieee_mode 1
		.amdhsa_fp16_overflow 0
		.amdhsa_workgroup_processor_mode 1
		.amdhsa_memory_ordered 1
		.amdhsa_forward_progress 0
		.amdhsa_shared_vgpr_count 0
		.amdhsa_exception_fp_ieee_invalid_op 0
		.amdhsa_exception_fp_denorm_src 0
		.amdhsa_exception_fp_ieee_div_zero 0
		.amdhsa_exception_fp_ieee_overflow 0
		.amdhsa_exception_fp_ieee_underflow 0
		.amdhsa_exception_fp_ieee_inexact 0
		.amdhsa_exception_int_div_zero 0
	.end_amdhsa_kernel
	.section	.text._Z19sort_keys_segmentedILj256ELj32ELj8EhN10test_utils4lessEEvPKT2_PS2_PKjT3_,"axG",@progbits,_Z19sort_keys_segmentedILj256ELj32ELj8EhN10test_utils4lessEEvPKT2_PS2_PKjT3_,comdat
.Lfunc_end130:
	.size	_Z19sort_keys_segmentedILj256ELj32ELj8EhN10test_utils4lessEEvPKT2_PS2_PKjT3_, .Lfunc_end130-_Z19sort_keys_segmentedILj256ELj32ELj8EhN10test_utils4lessEEvPKT2_PS2_PKjT3_
                                        ; -- End function
	.section	.AMDGPU.csdata,"",@progbits
; Kernel info:
; codeLenInByte = 11768
; NumSgprs: 22
; NumVgprs: 27
; ScratchSize: 0
; MemoryBound: 0
; FloatMode: 240
; IeeeMode: 1
; LDSByteSize: 2056 bytes/workgroup (compile time only)
; SGPRBlocks: 2
; VGPRBlocks: 3
; NumSGPRsForWavesPerEU: 22
; NumVGPRsForWavesPerEU: 27
; Occupancy: 16
; WaveLimiterHint : 0
; COMPUTE_PGM_RSRC2:SCRATCH_EN: 0
; COMPUTE_PGM_RSRC2:USER_SGPR: 15
; COMPUTE_PGM_RSRC2:TRAP_HANDLER: 0
; COMPUTE_PGM_RSRC2:TGID_X_EN: 1
; COMPUTE_PGM_RSRC2:TGID_Y_EN: 0
; COMPUTE_PGM_RSRC2:TGID_Z_EN: 0
; COMPUTE_PGM_RSRC2:TIDIG_COMP_CNT: 0
	.section	.text._Z20sort_pairs_segmentedILj256ELj32ELj8EhN10test_utils4lessEEvPKT2_PS2_PKjT3_,"axG",@progbits,_Z20sort_pairs_segmentedILj256ELj32ELj8EhN10test_utils4lessEEvPKT2_PS2_PKjT3_,comdat
	.protected	_Z20sort_pairs_segmentedILj256ELj32ELj8EhN10test_utils4lessEEvPKT2_PS2_PKjT3_ ; -- Begin function _Z20sort_pairs_segmentedILj256ELj32ELj8EhN10test_utils4lessEEvPKT2_PS2_PKjT3_
	.globl	_Z20sort_pairs_segmentedILj256ELj32ELj8EhN10test_utils4lessEEvPKT2_PS2_PKjT3_
	.p2align	8
	.type	_Z20sort_pairs_segmentedILj256ELj32ELj8EhN10test_utils4lessEEvPKT2_PS2_PKjT3_,@function
_Z20sort_pairs_segmentedILj256ELj32ELj8EhN10test_utils4lessEEvPKT2_PS2_PKjT3_: ; @_Z20sort_pairs_segmentedILj256ELj32ELj8EhN10test_utils4lessEEvPKT2_PS2_PKjT3_
; %bb.0:
	s_clause 0x1
	s_load_b64 s[2:3], s[0:1], 0x10
	s_load_b128 s[16:19], s[0:1], 0x0
	v_lshrrev_b32_e32 v7, 5, v0
	v_mov_b32_e32 v1, 0
	s_delay_alu instid0(VALU_DEP_2) | instskip(NEXT) | instid1(VALU_DEP_1)
	v_lshl_or_b32 v0, s15, 3, v7
	v_lshlrev_b64 v[1:2], 2, v[0:1]
	v_lshlrev_b32_e32 v5, 8, v0
	s_waitcnt lgkmcnt(0)
	s_delay_alu instid0(VALU_DEP_2) | instskip(NEXT) | instid1(VALU_DEP_3)
	v_add_co_u32 v1, vcc_lo, s2, v1
	v_add_co_ci_u32_e32 v2, vcc_lo, s3, v2, vcc_lo
	s_delay_alu instid0(VALU_DEP_3) | instskip(SKIP_2) | instid1(VALU_DEP_1)
	v_add_co_u32 v0, s0, s16, v5
	global_load_b32 v6, v[1:2], off
	v_mbcnt_lo_u32_b32 v1, -1, 0
                                        ; implicit-def: $vgpr2
	v_lshlrev_b32_e32 v4, 3, v1
	v_add_co_ci_u32_e64 v1, null, s17, 0, s0
	s_delay_alu instid0(VALU_DEP_2) | instskip(NEXT) | instid1(VALU_DEP_2)
	v_add_co_u32 v0, vcc_lo, v0, v4
	v_add_co_ci_u32_e32 v1, vcc_lo, 0, v1, vcc_lo
	s_waitcnt vmcnt(0)
	v_cmp_lt_u32_e32 vcc_lo, v4, v6
	s_and_saveexec_b32 s0, vcc_lo
	s_cbranch_execz .LBB131_2
; %bb.1:
	global_load_u8 v2, v[0:1], off
.LBB131_2:
	s_or_b32 exec_lo, exec_lo, s0
	v_or_b32_e32 v10, 1, v4
                                        ; implicit-def: $vgpr14
	s_delay_alu instid0(VALU_DEP_1) | instskip(NEXT) | instid1(VALU_DEP_1)
	v_cmp_lt_u32_e64 s0, v10, v6
	s_and_saveexec_b32 s1, s0
	s_cbranch_execz .LBB131_4
; %bb.3:
	global_load_u8 v14, v[0:1], off offset:1
.LBB131_4:
	s_or_b32 exec_lo, exec_lo, s1
	v_or_b32_e32 v8, 2, v4
                                        ; implicit-def: $vgpr3
	s_delay_alu instid0(VALU_DEP_1) | instskip(NEXT) | instid1(VALU_DEP_1)
	v_cmp_lt_u32_e64 s1, v8, v6
	s_and_saveexec_b32 s2, s1
	s_cbranch_execz .LBB131_6
; %bb.5:
	global_load_u8 v3, v[0:1], off offset:2
.LBB131_6:
	s_or_b32 exec_lo, exec_lo, s2
	v_or_b32_e32 v9, 3, v4
                                        ; implicit-def: $vgpr18
	s_delay_alu instid0(VALU_DEP_1) | instskip(NEXT) | instid1(VALU_DEP_1)
	v_cmp_lt_u32_e64 s2, v9, v6
	s_and_saveexec_b32 s3, s2
	s_cbranch_execz .LBB131_8
; %bb.7:
	global_load_u8 v18, v[0:1], off offset:3
.LBB131_8:
	s_or_b32 exec_lo, exec_lo, s3
	v_or_b32_e32 v11, 4, v4
                                        ; implicit-def: $vgpr15
	s_delay_alu instid0(VALU_DEP_1) | instskip(NEXT) | instid1(VALU_DEP_1)
	v_cmp_lt_u32_e64 s3, v11, v6
	s_and_saveexec_b32 s4, s3
	s_cbranch_execz .LBB131_10
; %bb.9:
	global_load_u8 v15, v[0:1], off offset:4
.LBB131_10:
	s_or_b32 exec_lo, exec_lo, s4
	v_or_b32_e32 v12, 5, v4
                                        ; implicit-def: $vgpr19
	s_delay_alu instid0(VALU_DEP_1) | instskip(NEXT) | instid1(VALU_DEP_1)
	v_cmp_lt_u32_e64 s4, v12, v6
	s_and_saveexec_b32 s5, s4
	s_cbranch_execz .LBB131_12
; %bb.11:
	global_load_u8 v19, v[0:1], off offset:5
.LBB131_12:
	s_or_b32 exec_lo, exec_lo, s5
	v_or_b32_e32 v13, 6, v4
                                        ; implicit-def: $vgpr17
	s_delay_alu instid0(VALU_DEP_1) | instskip(NEXT) | instid1(VALU_DEP_1)
	v_cmp_lt_u32_e64 s5, v13, v6
	s_and_saveexec_b32 s6, s5
	s_cbranch_execz .LBB131_14
; %bb.13:
	global_load_u8 v17, v[0:1], off offset:6
.LBB131_14:
	s_or_b32 exec_lo, exec_lo, s6
	v_or_b32_e32 v16, 7, v4
                                        ; implicit-def: $vgpr20
	s_delay_alu instid0(VALU_DEP_1) | instskip(NEXT) | instid1(VALU_DEP_1)
	v_cmp_lt_u32_e64 s6, v16, v6
	s_and_saveexec_b32 s7, s6
	s_cbranch_execz .LBB131_16
; %bb.15:
	global_load_u8 v20, v[0:1], off offset:7
.LBB131_16:
	s_or_b32 exec_lo, exec_lo, s7
	s_waitcnt vmcnt(0)
	v_and_b32_e32 v0, 0xff, v2
	v_lshlrev_b16 v1, 8, v14
	v_and_b32_e32 v14, 0xff, v3
	v_lshlrev_b16 v18, 8, v18
	v_cmp_lt_i32_e64 s7, v10, v6
	v_lshlrev_b16 v19, 8, v19
	v_or_b32_e32 v21, v0, v1
	v_or_b32_e32 v0, 0xffffff00, v0
	v_or_b32_e32 v14, v14, v18
	v_and_b32_e32 v22, 0xff, v17
	v_lshlrev_b16 v20, 8, v20
	v_and_b32_e32 v21, 0xffff, v21
	v_and_b32_e32 v0, 0xffff, v0
	v_lshlrev_b32_e32 v14, 16, v14
	v_add_nc_u16 v2, v2, 1
	v_or_b32_e32 v22, v22, v20
	v_cmp_lt_i32_e64 s8, v9, v6
	v_add_nc_u16 v3, v3, 1
	v_or_b32_e32 v21, v21, v14
	v_or_b32_e32 v0, v0, v14
	v_and_b32_e32 v14, 0xff, v15
	v_add_nc_u16 v15, v15, 1
	v_lshlrev_b32_e32 v22, 16, v22
	v_and_b32_e32 v2, 0xff, v2
	v_cndmask_b32_e64 v0, v0, v21, s7
	v_or_b32_e32 v14, v14, v19
	v_cmp_lt_i32_e64 s7, v8, v6
	v_perm_b32 v8, v15, 0, 0x3020104
	v_or_b32_e32 v1, v1, v2
	v_lshrrev_b32_e32 v10, 16, v0
	v_and_b32_e32 v3, 0xff, v3
	v_and_b32_e32 v2, 0xffff, v2
	v_cndmask_b32_e64 v8, 0, v8, s3
	v_add_nc_u16 v1, v1, 0x100
	v_or_b32_e32 v10, 0xff, v10
	v_lshlrev_b32_e32 v3, 16, v3
	s_mov_b32 s9, exec_lo
	s_delay_alu instid0(VALU_DEP_3) | instskip(NEXT) | instid1(VALU_DEP_3)
	v_and_b32_e32 v1, 0xffff, v1
	v_lshlrev_b32_e32 v10, 16, v10
	s_delay_alu instid0(VALU_DEP_2) | instskip(NEXT) | instid1(VALU_DEP_2)
	v_cndmask_b32_e64 v1, v2, v1, s0
	v_and_or_b32 v0, 0xffff, v0, v10
	v_and_b32_e32 v10, 0xffff, v14
	v_or_b32_e32 v14, 0xff, v14
	s_delay_alu instid0(VALU_DEP_4) | instskip(NEXT) | instid1(VALU_DEP_4)
	v_or_b32_e32 v3, v1, v3
	v_cndmask_b32_e64 v0, v0, v21, s7
	s_delay_alu instid0(VALU_DEP_4) | instskip(NEXT) | instid1(VALU_DEP_4)
	v_or_b32_e32 v10, v10, v22
	v_and_b32_e32 v14, 0xffff, v14
	v_cmp_lt_i32_e64 s7, v11, v6
	v_and_b32_e32 v22, 0xff, v8
	v_lshrrev_b32_e32 v15, 16, v0
	v_cndmask_b32_e64 v1, v1, v3, s1
	v_and_or_b32 v14, 0xffff0000, v10, v14
	s_delay_alu instid0(VALU_DEP_3) | instskip(NEXT) | instid1(VALU_DEP_2)
	v_or_b32_e32 v15, 0xffffff00, v15
	v_cndmask_b32_e64 v11, v14, v10, s7
	s_delay_alu instid0(VALU_DEP_2) | instskip(SKIP_1) | instid1(VALU_DEP_3)
	v_lshlrev_b32_e32 v14, 16, v15
	v_or_b32_e32 v15, v19, v22
	v_or_b32_e32 v19, 0xffffff00, v11
	s_delay_alu instid0(VALU_DEP_3) | instskip(NEXT) | instid1(VALU_DEP_3)
	v_and_or_b32 v0, 0xffff, v0, v14
	v_add_nc_u16 v14, v15, 0x100
	s_delay_alu instid0(VALU_DEP_3) | instskip(NEXT) | instid1(VALU_DEP_3)
	v_and_b32_e32 v15, 0xffff, v19
	v_cndmask_b32_e64 v0, v0, v21, s8
	s_delay_alu instid0(VALU_DEP_3) | instskip(NEXT) | instid1(VALU_DEP_3)
	v_and_b32_e32 v9, 0xffff, v14
	v_and_or_b32 v11, 0xffff0000, v11, v15
	s_delay_alu instid0(VALU_DEP_3) | instskip(SKIP_1) | instid1(VALU_DEP_4)
	v_cndmask_b32_e64 v0, v0, v21, s7
	v_cmp_lt_i32_e64 s7, v12, v6
	v_and_or_b32 v9, 0xffff0000, v8, v9
	v_add_nc_u16 v12, v17, 1
	s_delay_alu instid0(VALU_DEP_3) | instskip(NEXT) | instid1(VALU_DEP_3)
	v_cndmask_b32_e64 v11, v11, v10, s7
	v_cndmask_b32_e64 v2, v8, v9, s4
	v_cndmask_b32_e64 v0, v0, v21, s7
	v_cmp_lt_i32_e64 s7, v13, v6
	s_delay_alu instid0(VALU_DEP_4) | instskip(NEXT) | instid1(VALU_DEP_4)
	v_lshrrev_b32_e32 v8, 16, v11
	v_perm_b32 v9, v2, v12, 0x7000504
	s_delay_alu instid0(VALU_DEP_2) | instskip(NEXT) | instid1(VALU_DEP_2)
	v_or_b32_e32 v8, 0xff, v8
	v_cndmask_b32_e64 v2, v2, v9, s5
	s_delay_alu instid0(VALU_DEP_2) | instskip(SKIP_1) | instid1(VALU_DEP_3)
	v_lshlrev_b32_e32 v3, 16, v8
	v_lshrrev_b32_e32 v8, 16, v1
	v_lshrrev_b32_e32 v9, 16, v2
	s_delay_alu instid0(VALU_DEP_3) | instskip(NEXT) | instid1(VALU_DEP_3)
	v_and_or_b32 v3, 0xffff, v11, v3
	v_and_b32_e32 v8, 0xff, v8
	s_delay_alu instid0(VALU_DEP_3) | instskip(SKIP_1) | instid1(VALU_DEP_4)
	v_and_b32_e32 v9, 0xff, v9
	v_cndmask_b32_e64 v11, v0, v21, s7
	v_cndmask_b32_e64 v0, v3, v10, s7
	s_delay_alu instid0(VALU_DEP_4) | instskip(NEXT) | instid1(VALU_DEP_4)
	v_or_b32_e32 v3, v18, v8
	v_or_b32_e32 v8, v20, v9
	v_cmp_lt_i32_e64 s7, v16, v6
	s_delay_alu instid0(VALU_DEP_4) | instskip(NEXT) | instid1(VALU_DEP_4)
	v_lshrrev_b32_e32 v9, 16, v0
	v_add_nc_u16 v3, v3, 0x100
	s_delay_alu instid0(VALU_DEP_4) | instskip(NEXT) | instid1(VALU_DEP_3)
	v_add_nc_u16 v8, v8, 0x100
	v_or_b32_e32 v9, 0xffffff00, v9
	s_delay_alu instid0(VALU_DEP_3) | instskip(NEXT) | instid1(VALU_DEP_3)
	v_lshlrev_b32_e32 v3, 16, v3
	v_lshlrev_b32_e32 v8, 16, v8
	s_delay_alu instid0(VALU_DEP_3) | instskip(NEXT) | instid1(VALU_DEP_3)
	v_lshlrev_b32_e32 v9, 16, v9
	v_and_or_b32 v3, 0xffff, v1, v3
	s_delay_alu instid0(VALU_DEP_3) | instskip(NEXT) | instid1(VALU_DEP_3)
	v_and_or_b32 v8, 0xffff, v2, v8
	v_and_or_b32 v9, 0xffff, v0, v9
	s_delay_alu instid0(VALU_DEP_3) | instskip(NEXT) | instid1(VALU_DEP_3)
	v_cndmask_b32_e64 v0, v1, v3, s2
	v_cndmask_b32_e64 v1, v2, v8, s6
	;; [unrolled: 1-line block ×3, first 2 shown]
	s_delay_alu instid0(VALU_DEP_4)
	v_cndmask_b32_e64 v3, v9, v10, s7
	v_cmpx_lt_i32_e64 v4, v6
	s_cbranch_execz .LBB131_18
; %bb.17:
	s_delay_alu instid0(VALU_DEP_3)
	v_lshrrev_b32_e32 v8, 8, v2
	v_perm_b32 v10, 0, v2, 0xc0c0001
	v_and_b32_e32 v11, 0xff, v2
	v_perm_b32 v9, 0, v0, 0xc0c0001
	v_and_b32_e32 v13, 0xff, v3
	v_and_b32_e32 v8, 0xff, v8
	v_and_or_b32 v10, 0xffff0000, v2, v10
	s_delay_alu instid0(VALU_DEP_4) | instskip(NEXT) | instid1(VALU_DEP_3)
	v_and_or_b32 v9, 0xffff0000, v0, v9
	v_cmp_lt_u16_e64 s7, v8, v11
	v_lshrrev_b32_e32 v11, 8, v3
	s_delay_alu instid0(VALU_DEP_2) | instskip(NEXT) | instid1(VALU_DEP_4)
	v_cndmask_b32_e64 v2, v2, v10, s7
	v_cndmask_b32_e64 v0, v0, v9, s7
	s_delay_alu instid0(VALU_DEP_3) | instskip(NEXT) | instid1(VALU_DEP_3)
	v_and_b32_e32 v11, 0xff, v11
	v_lshrrev_b32_e32 v9, 16, v2
	s_delay_alu instid0(VALU_DEP_3) | instskip(SKIP_1) | instid1(VALU_DEP_4)
	v_lshrrev_b32_e32 v8, 16, v0
	v_lshrrev_b32_e32 v12, 24, v2
	v_cmp_lt_u16_e64 s8, v11, v13
	s_delay_alu instid0(VALU_DEP_4) | instskip(NEXT) | instid1(VALU_DEP_4)
	v_perm_b32 v10, 0, v9, 0xc0c0001
	v_perm_b32 v8, 0, v8, 0xc0c0001
	v_and_b32_e32 v9, 0xff, v9
	s_delay_alu instid0(VALU_DEP_3) | instskip(NEXT) | instid1(VALU_DEP_3)
	v_lshlrev_b32_e32 v10, 16, v10
	v_lshlrev_b32_e32 v8, 16, v8
	s_delay_alu instid0(VALU_DEP_3) | instskip(SKIP_4) | instid1(VALU_DEP_4)
	v_cmp_lt_u16_e64 s7, v12, v9
	v_perm_b32 v9, v1, v1, 0x7060405
	v_perm_b32 v12, v3, v3, 0x7060405
	v_and_or_b32 v10, 0xffff, v2, v10
	v_and_or_b32 v8, 0xffff, v0, v8
	v_cndmask_b32_e64 v1, v1, v9, s8
	s_delay_alu instid0(VALU_DEP_4) | instskip(NEXT) | instid1(VALU_DEP_4)
	v_cndmask_b32_e64 v3, v3, v12, s8
	v_cndmask_b32_e64 v2, v2, v10, s7
	s_delay_alu instid0(VALU_DEP_4) | instskip(NEXT) | instid1(VALU_DEP_3)
	v_cndmask_b32_e64 v0, v0, v8, s7
	v_lshrrev_b32_e32 v10, 16, v3
	s_delay_alu instid0(VALU_DEP_3)
	v_lshrrev_b32_e32 v8, 16, v2
	v_lshrrev_b32_e32 v9, 8, v2
	;; [unrolled: 1-line block ×3, first 2 shown]
	v_perm_b32 v12, v0, v0, 0x7050604
	v_and_b32_e32 v10, 0xff, v10
	v_and_b32_e32 v8, 0xff, v8
	;; [unrolled: 1-line block ×3, first 2 shown]
	v_perm_b32 v13, v2, v2, 0x7050604
	s_delay_alu instid0(VALU_DEP_4) | instskip(NEXT) | instid1(VALU_DEP_3)
	v_cmp_lt_u16_e64 s8, v11, v10
	v_cmp_lt_u16_e64 s7, v8, v9
	v_perm_b32 v8, v1, v1, 0x6070504
	v_perm_b32 v9, v3, v3, 0x6070504
	s_delay_alu instid0(VALU_DEP_3) | instskip(SKIP_1) | instid1(VALU_DEP_4)
	v_cndmask_b32_e64 v0, v0, v12, s7
	v_cndmask_b32_e64 v2, v2, v13, s7
	;; [unrolled: 1-line block ×3, first 2 shown]
	s_delay_alu instid0(VALU_DEP_4) | instskip(NEXT) | instid1(VALU_DEP_4)
	v_cndmask_b32_e64 v3, v3, v9, s8
	v_lshrrev_b32_e32 v8, 16, v0
	s_delay_alu instid0(VALU_DEP_4) | instskip(NEXT) | instid1(VALU_DEP_4)
	v_lshrrev_b32_e32 v9, 16, v2
	v_lshlrev_b16 v10, 8, v1
	s_delay_alu instid0(VALU_DEP_4) | instskip(NEXT) | instid1(VALU_DEP_4)
	v_lshlrev_b16 v11, 8, v3
	v_and_b32_e32 v8, 0xff, v8
	s_delay_alu instid0(VALU_DEP_4) | instskip(NEXT) | instid1(VALU_DEP_2)
	v_and_b32_e32 v9, 0xff, v9
	v_or_b32_e32 v8, v8, v10
	s_delay_alu instid0(VALU_DEP_2) | instskip(SKIP_2) | instid1(VALU_DEP_4)
	v_or_b32_e32 v9, v9, v11
	v_and_b32_e32 v10, 0xff, v3
	v_lshrrev_b32_e32 v11, 24, v2
	v_lshlrev_b32_e32 v8, 16, v8
	s_delay_alu instid0(VALU_DEP_4) | instskip(NEXT) | instid1(VALU_DEP_3)
	v_lshlrev_b32_e32 v9, 16, v9
	v_cmp_lt_u16_e64 s7, v10, v11
	v_perm_b32 v10, v0, v1, 0x3020107
	s_delay_alu instid0(VALU_DEP_4) | instskip(NEXT) | instid1(VALU_DEP_4)
	v_and_or_b32 v8, 0xffff, v0, v8
	v_and_or_b32 v9, 0xffff, v2, v9
	s_delay_alu instid0(VALU_DEP_3) | instskip(NEXT) | instid1(VALU_DEP_3)
	v_cndmask_b32_e64 v1, v1, v10, s7
	v_cndmask_b32_e64 v0, v0, v8, s7
	s_delay_alu instid0(VALU_DEP_3) | instskip(SKIP_1) | instid1(VALU_DEP_2)
	v_cndmask_b32_e64 v8, v2, v9, s7
	v_perm_b32 v2, v2, v3, 0x3020107
	v_lshrrev_b32_e32 v9, 8, v8
	s_delay_alu instid0(VALU_DEP_2)
	v_cndmask_b32_e64 v2, v3, v2, s7
	v_perm_b32 v3, 0, v0, 0xc0c0001
	v_perm_b32 v10, 0, v8, 0xc0c0001
	v_and_b32_e32 v11, 0xff, v8
	v_and_b32_e32 v9, 0xff, v9
	v_lshrrev_b32_e32 v12, 16, v2
	v_lshrrev_b32_e32 v13, 8, v2
	v_and_or_b32 v3, 0xffff0000, v0, v3
	v_and_or_b32 v10, 0xffff0000, v8, v10
	v_cmp_lt_u16_e64 s7, v9, v11
	v_and_b32_e32 v9, 0xff, v12
	v_and_b32_e32 v11, 0xff, v13
	v_perm_b32 v12, v2, v2, 0x7050604
	s_delay_alu instid0(VALU_DEP_4) | instskip(SKIP_3) | instid1(VALU_DEP_4)
	v_cndmask_b32_e64 v0, v0, v3, s7
	v_cndmask_b32_e64 v3, v8, v10, s7
	v_perm_b32 v8, v1, v1, 0x7050604
	v_cmp_lt_u16_e64 s7, v9, v11
	v_lshrrev_b32_e32 v9, 16, v0
	s_delay_alu instid0(VALU_DEP_4) | instskip(NEXT) | instid1(VALU_DEP_3)
	v_lshrrev_b32_e32 v10, 16, v3
	v_cndmask_b32_e64 v1, v1, v8, s7
	v_cndmask_b32_e64 v2, v2, v12, s7
	s_delay_alu instid0(VALU_DEP_4) | instskip(NEXT) | instid1(VALU_DEP_4)
	v_perm_b32 v8, 0, v9, 0xc0c0001
	v_perm_b32 v9, 0, v10, 0xc0c0001
	v_lshrrev_b32_e32 v12, 24, v3
	v_and_b32_e32 v10, 0xff, v10
	v_lshrrev_b32_e32 v11, 8, v2
	v_lshlrev_b32_e32 v8, 16, v8
	v_lshlrev_b32_e32 v9, 16, v9
	v_and_b32_e32 v13, 0xff, v2
	v_cmp_lt_u16_e64 s7, v12, v10
	v_and_b32_e32 v11, 0xff, v11
	v_and_or_b32 v8, 0xffff, v0, v8
	v_and_or_b32 v9, 0xffff, v3, v9
	v_perm_b32 v12, v2, v2, 0x7060405
	v_perm_b32 v10, v1, v1, 0x7060405
	v_cmp_lt_u16_e64 s8, v11, v13
	v_cndmask_b32_e64 v0, v0, v8, s7
	v_cndmask_b32_e64 v3, v3, v9, s7
	s_delay_alu instid0(VALU_DEP_3) | instskip(SKIP_1) | instid1(VALU_DEP_3)
	v_cndmask_b32_e64 v2, v2, v12, s8
	v_cndmask_b32_e64 v1, v1, v10, s8
	v_lshrrev_b32_e32 v8, 16, v3
	v_lshrrev_b32_e32 v9, 8, v3
	v_perm_b32 v12, v0, v0, 0x7050604
	v_lshrrev_b32_e32 v10, 16, v2
	v_lshrrev_b32_e32 v11, 24, v2
	v_and_b32_e32 v8, 0xff, v8
	v_and_b32_e32 v9, 0xff, v9
	v_perm_b32 v13, v3, v3, 0x7050604
	v_and_b32_e32 v10, 0xff, v10
	s_delay_alu instid0(VALU_DEP_3) | instskip(SKIP_2) | instid1(VALU_DEP_4)
	v_cmp_lt_u16_e64 s7, v8, v9
	v_perm_b32 v8, v1, v1, 0x6070504
	v_perm_b32 v9, v2, v2, 0x6070504
	v_cmp_lt_u16_e64 s8, v11, v10
	s_delay_alu instid0(VALU_DEP_4) | instskip(SKIP_1) | instid1(VALU_DEP_3)
	v_cndmask_b32_e64 v0, v0, v12, s7
	v_cndmask_b32_e64 v3, v3, v13, s7
	v_cndmask_b32_e64 v1, v1, v8, s8
	v_cndmask_b32_e64 v2, v2, v9, s8
	s_delay_alu instid0(VALU_DEP_4) | instskip(NEXT) | instid1(VALU_DEP_4)
	v_lshrrev_b32_e32 v8, 16, v0
	v_lshrrev_b32_e32 v9, 16, v3
	s_delay_alu instid0(VALU_DEP_4) | instskip(NEXT) | instid1(VALU_DEP_4)
	v_lshlrev_b16 v10, 8, v1
	v_lshlrev_b16 v11, 8, v2
	s_delay_alu instid0(VALU_DEP_4) | instskip(NEXT) | instid1(VALU_DEP_4)
	v_and_b32_e32 v8, 0xff, v8
	v_and_b32_e32 v9, 0xff, v9
	s_delay_alu instid0(VALU_DEP_2) | instskip(NEXT) | instid1(VALU_DEP_2)
	v_or_b32_e32 v8, v8, v10
	v_or_b32_e32 v9, v9, v11
	v_and_b32_e32 v10, 0xff, v2
	v_lshrrev_b32_e32 v11, 24, v3
	s_delay_alu instid0(VALU_DEP_4) | instskip(NEXT) | instid1(VALU_DEP_4)
	v_lshlrev_b32_e32 v8, 16, v8
	v_lshlrev_b32_e32 v9, 16, v9
	s_delay_alu instid0(VALU_DEP_3) | instskip(SKIP_1) | instid1(VALU_DEP_4)
	v_cmp_lt_u16_e64 s7, v10, v11
	v_perm_b32 v10, v0, v1, 0x3020107
	v_and_or_b32 v8, 0xffff, v0, v8
	s_delay_alu instid0(VALU_DEP_4) | instskip(NEXT) | instid1(VALU_DEP_3)
	v_and_or_b32 v9, 0xffff, v3, v9
	v_cndmask_b32_e64 v1, v1, v10, s7
	s_delay_alu instid0(VALU_DEP_3) | instskip(NEXT) | instid1(VALU_DEP_3)
	v_cndmask_b32_e64 v0, v0, v8, s7
	v_cndmask_b32_e64 v8, v3, v9, s7
	v_perm_b32 v3, v3, v2, 0x3020107
	s_delay_alu instid0(VALU_DEP_2) | instskip(NEXT) | instid1(VALU_DEP_2)
	v_lshrrev_b32_e32 v9, 8, v8
	v_cndmask_b32_e64 v2, v2, v3, s7
	v_perm_b32 v3, 0, v0, 0xc0c0001
	v_perm_b32 v10, 0, v8, 0xc0c0001
	v_and_b32_e32 v11, 0xff, v8
	v_and_b32_e32 v9, 0xff, v9
	v_lshrrev_b32_e32 v12, 16, v2
	v_lshrrev_b32_e32 v13, 8, v2
	v_and_or_b32 v3, 0xffff0000, v0, v3
	v_and_or_b32 v10, 0xffff0000, v8, v10
	v_cmp_lt_u16_e64 s7, v9, v11
	v_and_b32_e32 v9, 0xff, v12
	v_and_b32_e32 v11, 0xff, v13
	v_perm_b32 v12, v2, v2, 0x7050604
	s_delay_alu instid0(VALU_DEP_4) | instskip(SKIP_3) | instid1(VALU_DEP_4)
	v_cndmask_b32_e64 v0, v0, v3, s7
	v_cndmask_b32_e64 v3, v8, v10, s7
	v_perm_b32 v8, v1, v1, 0x7050604
	v_cmp_lt_u16_e64 s7, v9, v11
	v_lshrrev_b32_e32 v9, 16, v0
	s_delay_alu instid0(VALU_DEP_4) | instskip(NEXT) | instid1(VALU_DEP_3)
	v_lshrrev_b32_e32 v10, 16, v3
	v_cndmask_b32_e64 v1, v1, v8, s7
	v_cndmask_b32_e64 v2, v2, v12, s7
	s_delay_alu instid0(VALU_DEP_4) | instskip(NEXT) | instid1(VALU_DEP_4)
	v_perm_b32 v8, 0, v9, 0xc0c0001
	v_perm_b32 v9, 0, v10, 0xc0c0001
	v_lshrrev_b32_e32 v12, 24, v3
	v_and_b32_e32 v10, 0xff, v10
	v_lshrrev_b32_e32 v11, 8, v2
	v_lshlrev_b32_e32 v8, 16, v8
	v_lshlrev_b32_e32 v9, 16, v9
	v_and_b32_e32 v13, 0xff, v2
	v_cmp_lt_u16_e64 s7, v12, v10
	v_and_b32_e32 v11, 0xff, v11
	v_and_or_b32 v8, 0xffff, v0, v8
	v_and_or_b32 v9, 0xffff, v3, v9
	v_perm_b32 v12, v2, v2, 0x7060405
	v_perm_b32 v10, v1, v1, 0x7060405
	v_cmp_lt_u16_e64 s8, v11, v13
	v_cndmask_b32_e64 v0, v0, v8, s7
	v_cndmask_b32_e64 v3, v3, v9, s7
	s_delay_alu instid0(VALU_DEP_3) | instskip(SKIP_1) | instid1(VALU_DEP_3)
	v_cndmask_b32_e64 v2, v2, v12, s8
	v_cndmask_b32_e64 v1, v1, v10, s8
	v_lshrrev_b32_e32 v8, 16, v3
	v_lshrrev_b32_e32 v9, 8, v3
	v_perm_b32 v12, v0, v0, 0x7050604
	v_lshrrev_b32_e32 v10, 16, v2
	v_lshrrev_b32_e32 v11, 24, v2
	v_and_b32_e32 v8, 0xff, v8
	v_and_b32_e32 v9, 0xff, v9
	v_perm_b32 v13, v3, v3, 0x7050604
	v_and_b32_e32 v10, 0xff, v10
	s_delay_alu instid0(VALU_DEP_3) | instskip(SKIP_2) | instid1(VALU_DEP_4)
	v_cmp_lt_u16_e64 s7, v8, v9
	v_perm_b32 v8, v1, v1, 0x6070504
	v_perm_b32 v9, v2, v2, 0x6070504
	v_cmp_lt_u16_e64 s8, v11, v10
	s_delay_alu instid0(VALU_DEP_4) | instskip(SKIP_1) | instid1(VALU_DEP_3)
	v_cndmask_b32_e64 v0, v0, v12, s7
	v_cndmask_b32_e64 v3, v3, v13, s7
	;; [unrolled: 1-line block ×4, first 2 shown]
	s_delay_alu instid0(VALU_DEP_4) | instskip(NEXT) | instid1(VALU_DEP_4)
	v_lshrrev_b32_e32 v8, 16, v0
	v_lshrrev_b32_e32 v9, 16, v3
	s_delay_alu instid0(VALU_DEP_4) | instskip(NEXT) | instid1(VALU_DEP_4)
	v_lshlrev_b16 v10, 8, v1
	v_lshlrev_b16 v11, 8, v2
	s_delay_alu instid0(VALU_DEP_4) | instskip(NEXT) | instid1(VALU_DEP_4)
	v_and_b32_e32 v8, 0xff, v8
	v_and_b32_e32 v9, 0xff, v9
	s_delay_alu instid0(VALU_DEP_2) | instskip(NEXT) | instid1(VALU_DEP_2)
	v_or_b32_e32 v8, v8, v10
	v_or_b32_e32 v9, v9, v11
	v_and_b32_e32 v10, 0xff, v2
	v_lshrrev_b32_e32 v11, 24, v3
	s_delay_alu instid0(VALU_DEP_4) | instskip(NEXT) | instid1(VALU_DEP_4)
	v_lshlrev_b32_e32 v8, 16, v8
	v_lshlrev_b32_e32 v9, 16, v9
	s_delay_alu instid0(VALU_DEP_3) | instskip(SKIP_1) | instid1(VALU_DEP_4)
	v_cmp_lt_u16_e64 s7, v10, v11
	v_perm_b32 v10, v0, v1, 0x3020107
	v_and_or_b32 v8, 0xffff, v0, v8
	s_delay_alu instid0(VALU_DEP_4) | instskip(NEXT) | instid1(VALU_DEP_3)
	v_and_or_b32 v9, 0xffff, v3, v9
	v_cndmask_b32_e64 v1, v1, v10, s7
	s_delay_alu instid0(VALU_DEP_3) | instskip(NEXT) | instid1(VALU_DEP_3)
	v_cndmask_b32_e64 v0, v0, v8, s7
	v_cndmask_b32_e64 v8, v3, v9, s7
	v_perm_b32 v3, v3, v2, 0x3020107
	s_delay_alu instid0(VALU_DEP_2) | instskip(NEXT) | instid1(VALU_DEP_2)
	v_lshrrev_b32_e32 v9, 8, v8
	v_cndmask_b32_e64 v2, v2, v3, s7
	v_perm_b32 v3, 0, v0, 0xc0c0001
	v_perm_b32 v10, 0, v8, 0xc0c0001
	v_and_b32_e32 v11, 0xff, v8
	v_and_b32_e32 v9, 0xff, v9
	v_lshrrev_b32_e32 v12, 16, v2
	v_lshrrev_b32_e32 v13, 8, v2
	v_and_or_b32 v3, 0xffff0000, v0, v3
	v_and_or_b32 v10, 0xffff0000, v8, v10
	v_cmp_lt_u16_e64 s7, v9, v11
	v_and_b32_e32 v9, 0xff, v12
	v_and_b32_e32 v11, 0xff, v13
	v_perm_b32 v12, v2, v2, 0x7050604
	s_delay_alu instid0(VALU_DEP_4) | instskip(SKIP_3) | instid1(VALU_DEP_4)
	v_cndmask_b32_e64 v0, v0, v3, s7
	v_cndmask_b32_e64 v3, v8, v10, s7
	v_perm_b32 v8, v1, v1, 0x7050604
	v_cmp_lt_u16_e64 s7, v9, v11
	v_lshrrev_b32_e32 v9, 16, v0
	s_delay_alu instid0(VALU_DEP_4) | instskip(NEXT) | instid1(VALU_DEP_3)
	v_lshrrev_b32_e32 v10, 16, v3
	v_cndmask_b32_e64 v1, v1, v8, s7
	v_cndmask_b32_e64 v2, v2, v12, s7
	s_delay_alu instid0(VALU_DEP_4) | instskip(NEXT) | instid1(VALU_DEP_4)
	v_perm_b32 v8, 0, v9, 0xc0c0001
	v_perm_b32 v9, 0, v10, 0xc0c0001
	v_lshrrev_b32_e32 v12, 24, v3
	v_and_b32_e32 v10, 0xff, v10
	v_lshrrev_b32_e32 v11, 8, v2
	v_lshlrev_b32_e32 v8, 16, v8
	v_lshlrev_b32_e32 v9, 16, v9
	v_and_b32_e32 v13, 0xff, v2
	v_cmp_lt_u16_e64 s7, v12, v10
	v_and_b32_e32 v11, 0xff, v11
	v_and_or_b32 v8, 0xffff, v0, v8
	v_and_or_b32 v9, 0xffff, v3, v9
	v_perm_b32 v12, v2, v2, 0x7060405
	v_perm_b32 v10, v1, v1, 0x7060405
	v_cmp_lt_u16_e64 s8, v11, v13
	v_cndmask_b32_e64 v0, v0, v8, s7
	v_cndmask_b32_e64 v3, v3, v9, s7
	s_delay_alu instid0(VALU_DEP_3) | instskip(SKIP_1) | instid1(VALU_DEP_3)
	v_cndmask_b32_e64 v2, v2, v12, s8
	v_cndmask_b32_e64 v1, v1, v10, s8
	v_lshrrev_b32_e32 v8, 16, v3
	v_lshrrev_b32_e32 v9, 8, v3
	v_perm_b32 v11, v0, v0, 0x7050604
	v_lshrrev_b32_e32 v10, 16, v2
	v_lshrrev_b32_e32 v13, 24, v2
	v_and_b32_e32 v8, 0xff, v8
	v_and_b32_e32 v9, 0xff, v9
	v_perm_b32 v12, v1, v1, 0x6070504
	v_and_b32_e32 v10, 0xff, v10
	s_delay_alu instid0(VALU_DEP_3) | instskip(SKIP_1) | instid1(VALU_DEP_3)
	v_cmp_lt_u16_e64 s7, v8, v9
	v_perm_b32 v9, v2, v2, 0x6070504
	v_cmp_lt_u16_e64 s8, v13, v10
	s_delay_alu instid0(VALU_DEP_3) | instskip(SKIP_1) | instid1(VALU_DEP_3)
	v_cndmask_b32_e64 v8, v0, v11, s7
	v_perm_b32 v11, v3, v3, 0x7050604
	v_cndmask_b32_e64 v1, v1, v12, s8
	v_cndmask_b32_e64 v2, v2, v9, s8
	s_delay_alu instid0(VALU_DEP_4) | instskip(NEXT) | instid1(VALU_DEP_4)
	v_lshrrev_b32_e32 v0, 16, v8
	v_cndmask_b32_e64 v3, v3, v11, s7
	s_delay_alu instid0(VALU_DEP_4) | instskip(NEXT) | instid1(VALU_DEP_4)
	v_lshlrev_b16 v10, 8, v1
	v_and_b32_e32 v9, 0xff, v2
	s_delay_alu instid0(VALU_DEP_4) | instskip(NEXT) | instid1(VALU_DEP_4)
	v_and_b32_e32 v0, 0xff, v0
	v_perm_b32 v11, v3, v2, 0x3020107
	v_lshrrev_b32_e32 v12, 16, v3
	s_delay_alu instid0(VALU_DEP_3) | instskip(SKIP_1) | instid1(VALU_DEP_2)
	v_or_b32_e32 v0, v0, v10
	v_lshrrev_b32_e32 v10, 24, v3
	v_lshlrev_b32_e32 v0, 16, v0
	s_delay_alu instid0(VALU_DEP_2) | instskip(SKIP_2) | instid1(VALU_DEP_4)
	v_cmp_lt_u16_e64 s7, v9, v10
	v_lshlrev_b16 v9, 8, v2
	v_and_b32_e32 v10, 0xff, v12
	v_and_or_b32 v0, 0xffff, v8, v0
	s_delay_alu instid0(VALU_DEP_4) | instskip(NEXT) | instid1(VALU_DEP_3)
	v_cndmask_b32_e64 v11, v2, v11, s7
	v_or_b32_e32 v2, v10, v9
	s_delay_alu instid0(VALU_DEP_3) | instskip(SKIP_1) | instid1(VALU_DEP_4)
	v_cndmask_b32_e64 v0, v8, v0, s7
	v_perm_b32 v8, v8, v1, 0x3020107
	v_lshrrev_b32_e32 v9, 16, v11
	v_lshrrev_b32_e32 v10, 8, v11
	v_lshlrev_b32_e32 v2, 16, v2
	s_delay_alu instid0(VALU_DEP_4) | instskip(NEXT) | instid1(VALU_DEP_4)
	v_cndmask_b32_e64 v1, v1, v8, s7
	v_and_b32_e32 v8, 0xff, v9
	s_delay_alu instid0(VALU_DEP_4) | instskip(NEXT) | instid1(VALU_DEP_4)
	v_and_b32_e32 v9, 0xff, v10
	v_and_or_b32 v2, 0xffff, v3, v2
	v_perm_b32 v10, v11, v11, 0x7050604
	v_perm_b32 v12, v1, v1, 0x7050604
	s_delay_alu instid0(VALU_DEP_4) | instskip(NEXT) | instid1(VALU_DEP_4)
	v_cmp_lt_u16_e64 s8, v8, v9
	v_cndmask_b32_e64 v2, v3, v2, s7
	s_delay_alu instid0(VALU_DEP_2)
	v_cndmask_b32_e64 v1, v1, v12, s8
	v_cndmask_b32_e64 v3, v11, v10, s8
.LBB131_18:
	s_or_b32 exec_lo, exec_lo, s9
	v_and_b32_e32 v8, 0xf0, v4
	v_and_b32_e32 v11, 8, v4
	s_mov_b32 s8, exec_lo
	; wave barrier
	s_delay_alu instid0(VALU_DEP_2) | instskip(NEXT) | instid1(VALU_DEP_2)
	v_min_i32_e32 v10, v6, v8
	v_min_i32_e32 v11, v6, v11
	s_delay_alu instid0(VALU_DEP_2) | instskip(NEXT) | instid1(VALU_DEP_1)
	v_add_nc_u32_e32 v8, 8, v10
	v_min_i32_e32 v8, v6, v8
	s_delay_alu instid0(VALU_DEP_1) | instskip(SKIP_1) | instid1(VALU_DEP_2)
	v_add_nc_u32_e32 v9, 8, v8
	v_sub_nc_u32_e32 v14, v8, v10
	v_min_i32_e32 v9, v6, v9
	s_delay_alu instid0(VALU_DEP_1) | instskip(NEXT) | instid1(VALU_DEP_1)
	v_sub_nc_u32_e32 v12, v9, v8
	v_sub_nc_u32_e32 v13, v11, v12
	v_cmp_ge_i32_e64 s7, v11, v12
	s_delay_alu instid0(VALU_DEP_1)
	v_cndmask_b32_e64 v12, 0, v13, s7
	v_min_i32_e32 v13, v11, v14
	v_mad_u32_u24 v14, 0x101, v7, v4
	v_mul_u32_u24_e32 v7, 0x101, v7
	ds_store_b64 v14, v[2:3]
	; wave barrier
	v_cmpx_lt_i32_e64 v12, v13
	s_cbranch_execz .LBB131_22
; %bb.19:
	v_add_nc_u32_e32 v2, v7, v10
	v_add3_u32 v3, v7, v8, v11
	s_mov_b32 s9, 0
	.p2align	6
.LBB131_20:                             ; =>This Inner Loop Header: Depth=1
	v_sub_nc_u32_e32 v14, v13, v12
	s_delay_alu instid0(VALU_DEP_1) | instskip(NEXT) | instid1(VALU_DEP_1)
	v_lshrrev_b32_e32 v15, 31, v14
	v_add_nc_u32_e32 v14, v14, v15
	s_delay_alu instid0(VALU_DEP_1) | instskip(NEXT) | instid1(VALU_DEP_1)
	v_ashrrev_i32_e32 v14, 1, v14
	v_add_nc_u32_e32 v14, v14, v12
	s_delay_alu instid0(VALU_DEP_1)
	v_add_nc_u32_e32 v15, v2, v14
	v_xad_u32 v16, v14, -1, v3
	v_add_nc_u32_e32 v17, 1, v14
	ds_load_u8 v15, v15
	ds_load_u8 v16, v16
	s_waitcnt lgkmcnt(0)
	v_cmp_lt_u16_e64 s7, v16, v15
	s_delay_alu instid0(VALU_DEP_1) | instskip(SKIP_1) | instid1(VALU_DEP_1)
	v_cndmask_b32_e64 v13, v13, v14, s7
	v_cndmask_b32_e64 v12, v17, v12, s7
	v_cmp_ge_i32_e64 s7, v12, v13
	s_delay_alu instid0(VALU_DEP_1) | instskip(NEXT) | instid1(SALU_CYCLE_1)
	s_or_b32 s9, s7, s9
	s_and_not1_b32 exec_lo, exec_lo, s9
	s_cbranch_execnz .LBB131_20
; %bb.21:
	s_or_b32 exec_lo, exec_lo, s9
.LBB131_22:
	s_delay_alu instid0(SALU_CYCLE_1) | instskip(SKIP_2) | instid1(VALU_DEP_2)
	s_or_b32 exec_lo, exec_lo, s8
	v_add_nc_u32_e32 v3, v8, v11
	v_add_nc_u32_e32 v2, v12, v10
	v_sub_nc_u32_e32 v3, v3, v12
	s_delay_alu instid0(VALU_DEP_2) | instskip(SKIP_1) | instid1(VALU_DEP_3)
	v_add_nc_u32_e32 v15, v7, v2
	v_cmp_le_i32_e64 s7, v8, v2
	v_add_nc_u32_e32 v14, v7, v3
	v_cmp_gt_i32_e64 s9, v9, v3
	ds_load_u8 v10, v15
	ds_load_u8 v11, v14
	s_waitcnt lgkmcnt(1)
	v_and_b32_e32 v12, 0xff, v10
	s_waitcnt lgkmcnt(0)
	v_and_b32_e32 v13, 0xff, v11
	s_delay_alu instid0(VALU_DEP_1) | instskip(NEXT) | instid1(VALU_DEP_1)
	v_cmp_lt_u16_e64 s8, v13, v12
                                        ; implicit-def: $vgpr12
                                        ; implicit-def: $vgpr13
	s_or_b32 s7, s7, s8
	s_delay_alu instid0(SALU_CYCLE_1) | instskip(NEXT) | instid1(SALU_CYCLE_1)
	s_and_b32 s7, s9, s7
	s_xor_b32 s8, s7, -1
	s_delay_alu instid0(SALU_CYCLE_1) | instskip(NEXT) | instid1(SALU_CYCLE_1)
	s_and_saveexec_b32 s9, s8
	s_xor_b32 s8, exec_lo, s9
	s_cbranch_execz .LBB131_24
; %bb.23:
	ds_load_u8 v13, v15 offset:1
	v_mov_b32_e32 v12, v11
                                        ; implicit-def: $vgpr14
.LBB131_24:
	s_and_not1_saveexec_b32 s8, s8
	s_cbranch_execz .LBB131_26
; %bb.25:
	ds_load_u8 v12, v14 offset:1
	s_waitcnt lgkmcnt(1)
	v_mov_b32_e32 v13, v10
.LBB131_26:
	s_or_b32 exec_lo, exec_lo, s8
	v_add_nc_u32_e32 v14, 1, v2
	v_add_nc_u32_e32 v15, 1, v3
	s_waitcnt lgkmcnt(0)
	v_and_b32_e32 v16, 0xff, v13
	v_and_b32_e32 v17, 0xff, v12
	v_cndmask_b32_e64 v14, v14, v2, s7
	v_cndmask_b32_e64 v15, v3, v15, s7
	s_delay_alu instid0(VALU_DEP_3) | instskip(NEXT) | instid1(VALU_DEP_3)
	v_cmp_lt_u16_e64 s9, v17, v16
                                        ; implicit-def: $vgpr16
	v_cmp_ge_i32_e64 s8, v14, v8
	s_delay_alu instid0(VALU_DEP_3) | instskip(NEXT) | instid1(VALU_DEP_2)
	v_cmp_lt_i32_e64 s10, v15, v9
	s_or_b32 s8, s8, s9
	s_delay_alu instid0(VALU_DEP_1) | instid1(SALU_CYCLE_1)
	s_and_b32 s8, s10, s8
	s_delay_alu instid0(SALU_CYCLE_1) | instskip(NEXT) | instid1(SALU_CYCLE_1)
	s_xor_b32 s9, s8, -1
	s_and_saveexec_b32 s10, s9
	s_delay_alu instid0(SALU_CYCLE_1)
	s_xor_b32 s9, exec_lo, s10
	s_cbranch_execz .LBB131_28
; %bb.27:
	v_add_nc_u32_e32 v16, v7, v14
	ds_load_u8 v16, v16 offset:1
.LBB131_28:
	s_or_saveexec_b32 s9, s9
	v_mov_b32_e32 v17, v12
	s_xor_b32 exec_lo, exec_lo, s9
	s_cbranch_execz .LBB131_30
; %bb.29:
	s_waitcnt lgkmcnt(0)
	v_add_nc_u32_e32 v16, v7, v15
	ds_load_u8 v17, v16 offset:1
	v_mov_b32_e32 v16, v13
.LBB131_30:
	s_or_b32 exec_lo, exec_lo, s9
	v_add_nc_u32_e32 v18, 1, v14
	v_add_nc_u32_e32 v19, 1, v15
	s_waitcnt lgkmcnt(0)
	v_and_b32_e32 v20, 0xff, v16
	v_and_b32_e32 v21, 0xff, v17
	v_cndmask_b32_e64 v18, v18, v14, s8
	v_cndmask_b32_e64 v19, v15, v19, s8
	s_delay_alu instid0(VALU_DEP_3) | instskip(NEXT) | instid1(VALU_DEP_3)
	v_cmp_lt_u16_e64 s10, v21, v20
                                        ; implicit-def: $vgpr20
	v_cmp_ge_i32_e64 s9, v18, v8
	s_delay_alu instid0(VALU_DEP_3) | instskip(NEXT) | instid1(VALU_DEP_2)
	v_cmp_lt_i32_e64 s11, v19, v9
	s_or_b32 s9, s9, s10
	s_delay_alu instid0(VALU_DEP_1) | instid1(SALU_CYCLE_1)
	s_and_b32 s9, s11, s9
	s_delay_alu instid0(SALU_CYCLE_1) | instskip(NEXT) | instid1(SALU_CYCLE_1)
	s_xor_b32 s10, s9, -1
	s_and_saveexec_b32 s11, s10
	s_delay_alu instid0(SALU_CYCLE_1)
	s_xor_b32 s10, exec_lo, s11
	s_cbranch_execz .LBB131_32
; %bb.31:
	v_add_nc_u32_e32 v20, v7, v18
	ds_load_u8 v20, v20 offset:1
.LBB131_32:
	s_or_saveexec_b32 s10, s10
	v_mov_b32_e32 v21, v17
	s_xor_b32 exec_lo, exec_lo, s10
	s_cbranch_execz .LBB131_34
; %bb.33:
	s_waitcnt lgkmcnt(0)
	v_add_nc_u32_e32 v20, v7, v19
	ds_load_u8 v21, v20 offset:1
	v_mov_b32_e32 v20, v16
.LBB131_34:
	s_or_b32 exec_lo, exec_lo, s10
	v_add_nc_u32_e32 v22, 1, v18
	v_add_nc_u32_e32 v23, 1, v19
	s_waitcnt lgkmcnt(0)
	v_and_b32_e32 v24, 0xff, v20
	v_and_b32_e32 v25, 0xff, v21
	v_cndmask_b32_e64 v22, v22, v18, s9
	v_cndmask_b32_e64 v23, v19, v23, s9
	s_delay_alu instid0(VALU_DEP_3) | instskip(NEXT) | instid1(VALU_DEP_3)
	v_cmp_lt_u16_e64 s11, v25, v24
                                        ; implicit-def: $vgpr24
	v_cmp_ge_i32_e64 s10, v22, v8
	s_delay_alu instid0(VALU_DEP_3) | instskip(NEXT) | instid1(VALU_DEP_2)
	v_cmp_lt_i32_e64 s12, v23, v9
	s_or_b32 s10, s10, s11
	s_delay_alu instid0(VALU_DEP_1) | instid1(SALU_CYCLE_1)
	s_and_b32 s10, s12, s10
	s_delay_alu instid0(SALU_CYCLE_1) | instskip(NEXT) | instid1(SALU_CYCLE_1)
	s_xor_b32 s11, s10, -1
	s_and_saveexec_b32 s12, s11
	s_delay_alu instid0(SALU_CYCLE_1)
	s_xor_b32 s11, exec_lo, s12
	s_cbranch_execz .LBB131_36
; %bb.35:
	v_add_nc_u32_e32 v24, v7, v22
	ds_load_u8 v24, v24 offset:1
.LBB131_36:
	s_or_saveexec_b32 s11, s11
	v_mov_b32_e32 v25, v21
	s_xor_b32 exec_lo, exec_lo, s11
	s_cbranch_execz .LBB131_38
; %bb.37:
	s_waitcnt lgkmcnt(0)
	v_add_nc_u32_e32 v24, v7, v23
	ds_load_u8 v25, v24 offset:1
	v_mov_b32_e32 v24, v20
.LBB131_38:
	s_or_b32 exec_lo, exec_lo, s11
	v_add_nc_u32_e32 v26, 1, v22
	v_add_nc_u32_e32 v27, 1, v23
	s_waitcnt lgkmcnt(0)
	v_and_b32_e32 v28, 0xff, v24
	v_and_b32_e32 v29, 0xff, v25
	v_cndmask_b32_e64 v26, v26, v22, s10
	v_cndmask_b32_e64 v27, v23, v27, s10
	s_delay_alu instid0(VALU_DEP_3) | instskip(NEXT) | instid1(VALU_DEP_3)
	v_cmp_lt_u16_e64 s12, v29, v28
                                        ; implicit-def: $vgpr28
	v_cmp_ge_i32_e64 s11, v26, v8
	s_delay_alu instid0(VALU_DEP_3) | instskip(NEXT) | instid1(VALU_DEP_2)
	v_cmp_lt_i32_e64 s13, v27, v9
	s_or_b32 s11, s11, s12
	s_delay_alu instid0(VALU_DEP_1) | instid1(SALU_CYCLE_1)
	s_and_b32 s11, s13, s11
	s_delay_alu instid0(SALU_CYCLE_1) | instskip(NEXT) | instid1(SALU_CYCLE_1)
	s_xor_b32 s12, s11, -1
	s_and_saveexec_b32 s13, s12
	s_delay_alu instid0(SALU_CYCLE_1)
	s_xor_b32 s12, exec_lo, s13
	s_cbranch_execz .LBB131_40
; %bb.39:
	v_add_nc_u32_e32 v28, v7, v26
	ds_load_u8 v28, v28 offset:1
.LBB131_40:
	s_or_saveexec_b32 s12, s12
	v_mov_b32_e32 v29, v25
	s_xor_b32 exec_lo, exec_lo, s12
	s_cbranch_execz .LBB131_42
; %bb.41:
	s_waitcnt lgkmcnt(0)
	v_add_nc_u32_e32 v28, v7, v27
	ds_load_u8 v29, v28 offset:1
	v_mov_b32_e32 v28, v24
.LBB131_42:
	s_or_b32 exec_lo, exec_lo, s12
	v_add_nc_u32_e32 v30, 1, v26
	v_add_nc_u32_e32 v31, 1, v27
	s_waitcnt lgkmcnt(0)
	v_and_b32_e32 v32, 0xff, v28
	v_and_b32_e32 v33, 0xff, v29
	v_cndmask_b32_e64 v30, v30, v26, s11
	v_cndmask_b32_e64 v31, v27, v31, s11
	s_delay_alu instid0(VALU_DEP_3) | instskip(NEXT) | instid1(VALU_DEP_3)
	v_cmp_lt_u16_e64 s13, v33, v32
                                        ; implicit-def: $vgpr32
	v_cmp_ge_i32_e64 s12, v30, v8
	s_delay_alu instid0(VALU_DEP_3) | instskip(NEXT) | instid1(VALU_DEP_2)
	v_cmp_lt_i32_e64 s14, v31, v9
	s_or_b32 s12, s12, s13
	s_delay_alu instid0(VALU_DEP_1) | instid1(SALU_CYCLE_1)
	s_and_b32 s12, s14, s12
	s_delay_alu instid0(SALU_CYCLE_1) | instskip(NEXT) | instid1(SALU_CYCLE_1)
	s_xor_b32 s13, s12, -1
	s_and_saveexec_b32 s14, s13
	s_delay_alu instid0(SALU_CYCLE_1)
	s_xor_b32 s13, exec_lo, s14
	s_cbranch_execz .LBB131_44
; %bb.43:
	v_add_nc_u32_e32 v32, v7, v30
	ds_load_u8 v32, v32 offset:1
.LBB131_44:
	s_or_saveexec_b32 s13, s13
	v_mov_b32_e32 v34, v29
	s_xor_b32 exec_lo, exec_lo, s13
	s_cbranch_execz .LBB131_46
; %bb.45:
	s_waitcnt lgkmcnt(0)
	v_add_nc_u32_e32 v32, v7, v31
	ds_load_u8 v34, v32 offset:1
	v_mov_b32_e32 v32, v28
.LBB131_46:
	s_or_b32 exec_lo, exec_lo, s13
	v_add_nc_u32_e32 v33, 1, v30
	v_add_nc_u32_e32 v35, 1, v31
	s_waitcnt lgkmcnt(0)
	v_and_b32_e32 v38, 0xff, v32
	s_delay_alu instid0(VALU_DEP_3) | instskip(SKIP_2) | instid1(VALU_DEP_3)
	v_cndmask_b32_e64 v36, v33, v30, s12
	v_and_b32_e32 v33, 0xff, v34
	v_cndmask_b32_e64 v37, v31, v35, s12
	v_cmp_ge_i32_e64 s13, v36, v8
	s_delay_alu instid0(VALU_DEP_3) | instskip(NEXT) | instid1(VALU_DEP_3)
	v_cmp_lt_u16_e64 s14, v33, v38
	v_cmp_lt_i32_e64 s15, v37, v9
                                        ; implicit-def: $vgpr33
	s_delay_alu instid0(VALU_DEP_2)
	s_or_b32 s13, s13, s14
	s_delay_alu instid0(VALU_DEP_1) | instid1(SALU_CYCLE_1)
	s_and_b32 s13, s15, s13
	s_delay_alu instid0(SALU_CYCLE_1) | instskip(NEXT) | instid1(SALU_CYCLE_1)
	s_xor_b32 s14, s13, -1
	s_and_saveexec_b32 s15, s14
	s_delay_alu instid0(SALU_CYCLE_1)
	s_xor_b32 s14, exec_lo, s15
	s_cbranch_execz .LBB131_48
; %bb.47:
	v_add_nc_u32_e32 v33, v7, v36
	ds_load_u8 v33, v33 offset:1
.LBB131_48:
	s_or_saveexec_b32 s14, s14
	v_mov_b32_e32 v35, v34
	s_xor_b32 exec_lo, exec_lo, s14
	s_cbranch_execz .LBB131_50
; %bb.49:
	s_waitcnt lgkmcnt(0)
	v_add_nc_u32_e32 v33, v7, v37
	ds_load_u8 v35, v33 offset:1
	v_mov_b32_e32 v33, v32
.LBB131_50:
	s_or_b32 exec_lo, exec_lo, s14
	v_add_nc_u32_e32 v39, 1, v36
	v_cndmask_b32_e64 v3, v2, v3, s7
	v_add_nc_u32_e32 v2, v7, v4
	v_add_nc_u32_e32 v38, 1, v37
	v_cndmask_b32_e64 v32, v32, v34, s13
	v_cndmask_b32_e64 v34, v36, v37, s13
	;; [unrolled: 1-line block ×5, first 2 shown]
	s_waitcnt lgkmcnt(0)
	v_and_b32_e32 v22, 0xff, v33
	v_and_b32_e32 v23, 0xff, v35
	; wave barrier
	ds_store_b64 v2, v[0:1]
	v_and_b32_e32 v0, 0xe0, v4
	v_cndmask_b32_e64 v37, v37, v38, s13
	v_cndmask_b32_e64 v16, v16, v17, s9
	v_cndmask_b32_e64 v17, v18, v19, s9
	v_cmp_ge_i32_e64 s9, v36, v8
	v_cmp_lt_u16_e64 s10, v23, v22
	v_cndmask_b32_e64 v8, v14, v15, s8
	v_min_i32_e32 v15, v6, v0
	v_cndmask_b32_e64 v12, v13, v12, s8
	v_cmp_lt_i32_e64 s8, v37, v9
	v_cndmask_b32_e64 v9, v10, v11, s7
	s_or_b32 s7, s9, s10
	v_add_nc_u32_e32 v0, 16, v15
	v_cndmask_b32_e64 v24, v24, v25, s11
	s_and_b32 s7, s8, s7
	v_cndmask_b32_e64 v25, v26, v27, s11
	v_cndmask_b32_e64 v28, v28, v29, s12
	;; [unrolled: 1-line block ×4, first 2 shown]
	v_add_nc_u32_e32 v1, v7, v3
	v_add_nc_u32_e32 v8, v7, v8
	v_min_i32_e32 v14, v6, v0
	v_add_nc_u32_e32 v11, v7, v17
	v_add_nc_u32_e32 v13, v7, v21
	v_add_nc_u32_e32 v17, v7, v25
	; wave barrier
	v_add_nc_u32_e32 v19, v7, v29
	v_add_nc_u32_e32 v21, v7, v34
	;; [unrolled: 1-line block ×3, first 2 shown]
	v_lshlrev_b16 v23, 8, v12
	v_and_b32_e32 v25, 0xff, v9
	ds_load_u8 v3, v1
	ds_load_u8 v9, v8
	;; [unrolled: 1-line block ×8, first 2 shown]
	v_cndmask_b32_e64 v18, v33, v35, s7
	v_lshlrev_b16 v20, 8, v20
	v_and_b32_e32 v16, 0xff, v16
	v_add_nc_u32_e32 v1, 16, v14
	v_and_b32_e32 v21, 24, v4
	v_and_b32_e32 v22, 0xff, v32
	v_lshlrev_b16 v18, 8, v18
	v_or_b32_e32 v19, v16, v20
	v_lshlrev_b16 v16, 8, v28
	v_and_b32_e32 v20, 0xff, v24
	v_min_i32_e32 v1, v6, v1
	v_or_b32_e32 v17, v25, v23
	v_or_b32_e32 v18, v22, v18
	v_lshlrev_b32_e32 v19, 16, v19
	v_or_b32_e32 v20, v20, v16
	v_min_i32_e32 v16, v6, v21
	v_sub_nc_u32_e32 v21, v1, v14
	v_and_b32_e32 v17, 0xffff, v17
	v_sub_nc_u32_e32 v23, v14, v15
	v_and_b32_e32 v20, 0xffff, v20
	v_lshlrev_b32_e32 v24, 16, v18
	v_sub_nc_u32_e32 v22, v16, v21
	v_cmp_ge_i32_e64 s7, v16, v21
	v_or_b32_e32 v19, v17, v19
	v_min_i32_e32 v18, v16, v23
	v_or_b32_e32 v20, v20, v24
	s_mov_b32 s9, 0
	v_cndmask_b32_e64 v17, 0, v22, s7
	s_mov_b32 s8, exec_lo
	; wave barrier
	ds_store_b64 v2, v[19:20]
	; wave barrier
	v_cmpx_lt_i32_e64 v17, v18
	s_cbranch_execz .LBB131_54
; %bb.51:
	v_add_nc_u32_e32 v19, v7, v15
	v_add3_u32 v20, v7, v14, v16
	.p2align	6
.LBB131_52:                             ; =>This Inner Loop Header: Depth=1
	v_sub_nc_u32_e32 v21, v18, v17
	s_delay_alu instid0(VALU_DEP_1) | instskip(NEXT) | instid1(VALU_DEP_1)
	v_lshrrev_b32_e32 v22, 31, v21
	v_add_nc_u32_e32 v21, v21, v22
	s_delay_alu instid0(VALU_DEP_1) | instskip(NEXT) | instid1(VALU_DEP_1)
	v_ashrrev_i32_e32 v21, 1, v21
	v_add_nc_u32_e32 v21, v21, v17
	s_delay_alu instid0(VALU_DEP_1)
	v_add_nc_u32_e32 v22, v19, v21
	v_xad_u32 v23, v21, -1, v20
	v_add_nc_u32_e32 v24, 1, v21
	ds_load_u8 v22, v22
	ds_load_u8 v23, v23
	s_waitcnt lgkmcnt(0)
	v_cmp_lt_u16_e64 s7, v23, v22
	s_delay_alu instid0(VALU_DEP_1) | instskip(SKIP_1) | instid1(VALU_DEP_1)
	v_cndmask_b32_e64 v18, v18, v21, s7
	v_cndmask_b32_e64 v17, v24, v17, s7
	v_cmp_ge_i32_e64 s7, v17, v18
	s_delay_alu instid0(VALU_DEP_1) | instskip(NEXT) | instid1(SALU_CYCLE_1)
	s_or_b32 s9, s7, s9
	s_and_not1_b32 exec_lo, exec_lo, s9
	s_cbranch_execnz .LBB131_52
; %bb.53:
	s_or_b32 exec_lo, exec_lo, s9
.LBB131_54:
	s_delay_alu instid0(SALU_CYCLE_1) | instskip(SKIP_2) | instid1(VALU_DEP_2)
	s_or_b32 exec_lo, exec_lo, s8
	v_add_nc_u32_e32 v16, v14, v16
	v_add_nc_u32_e32 v15, v17, v15
	v_sub_nc_u32_e32 v16, v16, v17
	s_delay_alu instid0(VALU_DEP_2) | instskip(SKIP_1) | instid1(VALU_DEP_3)
	v_add_nc_u32_e32 v22, v7, v15
	v_cmp_le_i32_e64 s7, v14, v15
	v_add_nc_u32_e32 v21, v7, v16
	v_cmp_gt_i32_e64 s9, v1, v16
	ds_load_u8 v17, v22
	ds_load_u8 v18, v21
	s_waitcnt lgkmcnt(1)
	v_and_b32_e32 v19, 0xff, v17
	s_waitcnt lgkmcnt(0)
	v_and_b32_e32 v20, 0xff, v18
	s_delay_alu instid0(VALU_DEP_1) | instskip(NEXT) | instid1(VALU_DEP_1)
	v_cmp_lt_u16_e64 s8, v20, v19
                                        ; implicit-def: $vgpr19
                                        ; implicit-def: $vgpr20
	s_or_b32 s7, s7, s8
	s_delay_alu instid0(SALU_CYCLE_1) | instskip(NEXT) | instid1(SALU_CYCLE_1)
	s_and_b32 s7, s9, s7
	s_xor_b32 s8, s7, -1
	s_delay_alu instid0(SALU_CYCLE_1) | instskip(NEXT) | instid1(SALU_CYCLE_1)
	s_and_saveexec_b32 s9, s8
	s_xor_b32 s8, exec_lo, s9
	s_cbranch_execz .LBB131_56
; %bb.55:
	ds_load_u8 v20, v22 offset:1
	v_mov_b32_e32 v19, v18
                                        ; implicit-def: $vgpr21
.LBB131_56:
	s_and_not1_saveexec_b32 s8, s8
	s_cbranch_execz .LBB131_58
; %bb.57:
	ds_load_u8 v19, v21 offset:1
	s_waitcnt lgkmcnt(1)
	v_mov_b32_e32 v20, v17
.LBB131_58:
	s_or_b32 exec_lo, exec_lo, s8
	v_add_nc_u32_e32 v21, 1, v15
	v_add_nc_u32_e32 v22, 1, v16
	s_waitcnt lgkmcnt(0)
	v_and_b32_e32 v23, 0xff, v20
	v_and_b32_e32 v24, 0xff, v19
	v_cndmask_b32_e64 v21, v21, v15, s7
	v_cndmask_b32_e64 v22, v16, v22, s7
	s_delay_alu instid0(VALU_DEP_3) | instskip(NEXT) | instid1(VALU_DEP_3)
	v_cmp_lt_u16_e64 s9, v24, v23
                                        ; implicit-def: $vgpr23
	v_cmp_ge_i32_e64 s8, v21, v14
	s_delay_alu instid0(VALU_DEP_3) | instskip(NEXT) | instid1(VALU_DEP_2)
	v_cmp_lt_i32_e64 s10, v22, v1
	s_or_b32 s8, s8, s9
	s_delay_alu instid0(VALU_DEP_1) | instid1(SALU_CYCLE_1)
	s_and_b32 s8, s10, s8
	s_delay_alu instid0(SALU_CYCLE_1) | instskip(NEXT) | instid1(SALU_CYCLE_1)
	s_xor_b32 s9, s8, -1
	s_and_saveexec_b32 s10, s9
	s_delay_alu instid0(SALU_CYCLE_1)
	s_xor_b32 s9, exec_lo, s10
	s_cbranch_execz .LBB131_60
; %bb.59:
	v_add_nc_u32_e32 v23, v7, v21
	ds_load_u8 v23, v23 offset:1
.LBB131_60:
	s_or_saveexec_b32 s9, s9
	v_mov_b32_e32 v24, v19
	s_xor_b32 exec_lo, exec_lo, s9
	s_cbranch_execz .LBB131_62
; %bb.61:
	s_waitcnt lgkmcnt(0)
	v_add_nc_u32_e32 v23, v7, v22
	ds_load_u8 v24, v23 offset:1
	v_mov_b32_e32 v23, v20
.LBB131_62:
	s_or_b32 exec_lo, exec_lo, s9
	v_add_nc_u32_e32 v25, 1, v21
	v_add_nc_u32_e32 v26, 1, v22
	s_waitcnt lgkmcnt(0)
	v_and_b32_e32 v27, 0xff, v23
	v_and_b32_e32 v28, 0xff, v24
	v_cndmask_b32_e64 v25, v25, v21, s8
	v_cndmask_b32_e64 v26, v22, v26, s8
	s_delay_alu instid0(VALU_DEP_3) | instskip(NEXT) | instid1(VALU_DEP_3)
	v_cmp_lt_u16_e64 s10, v28, v27
                                        ; implicit-def: $vgpr27
	v_cmp_ge_i32_e64 s9, v25, v14
	s_delay_alu instid0(VALU_DEP_3) | instskip(NEXT) | instid1(VALU_DEP_2)
	v_cmp_lt_i32_e64 s11, v26, v1
	s_or_b32 s9, s9, s10
	s_delay_alu instid0(VALU_DEP_1) | instid1(SALU_CYCLE_1)
	s_and_b32 s9, s11, s9
	s_delay_alu instid0(SALU_CYCLE_1) | instskip(NEXT) | instid1(SALU_CYCLE_1)
	s_xor_b32 s10, s9, -1
	s_and_saveexec_b32 s11, s10
	s_delay_alu instid0(SALU_CYCLE_1)
	s_xor_b32 s10, exec_lo, s11
	s_cbranch_execz .LBB131_64
; %bb.63:
	v_add_nc_u32_e32 v27, v7, v25
	ds_load_u8 v27, v27 offset:1
.LBB131_64:
	s_or_saveexec_b32 s10, s10
	v_mov_b32_e32 v28, v24
	s_xor_b32 exec_lo, exec_lo, s10
	s_cbranch_execz .LBB131_66
; %bb.65:
	s_waitcnt lgkmcnt(0)
	v_add_nc_u32_e32 v27, v7, v26
	ds_load_u8 v28, v27 offset:1
	v_mov_b32_e32 v27, v23
.LBB131_66:
	s_or_b32 exec_lo, exec_lo, s10
	v_add_nc_u32_e32 v29, 1, v25
	v_add_nc_u32_e32 v30, 1, v26
	s_waitcnt lgkmcnt(0)
	v_and_b32_e32 v31, 0xff, v27
	v_and_b32_e32 v32, 0xff, v28
	v_cndmask_b32_e64 v29, v29, v25, s9
	v_cndmask_b32_e64 v30, v26, v30, s9
	s_delay_alu instid0(VALU_DEP_3) | instskip(NEXT) | instid1(VALU_DEP_3)
	v_cmp_lt_u16_e64 s11, v32, v31
                                        ; implicit-def: $vgpr31
	v_cmp_ge_i32_e64 s10, v29, v14
	s_delay_alu instid0(VALU_DEP_3) | instskip(NEXT) | instid1(VALU_DEP_2)
	v_cmp_lt_i32_e64 s12, v30, v1
	s_or_b32 s10, s10, s11
	s_delay_alu instid0(VALU_DEP_1) | instid1(SALU_CYCLE_1)
	s_and_b32 s10, s12, s10
	s_delay_alu instid0(SALU_CYCLE_1) | instskip(NEXT) | instid1(SALU_CYCLE_1)
	s_xor_b32 s11, s10, -1
	s_and_saveexec_b32 s12, s11
	s_delay_alu instid0(SALU_CYCLE_1)
	s_xor_b32 s11, exec_lo, s12
	s_cbranch_execz .LBB131_68
; %bb.67:
	v_add_nc_u32_e32 v31, v7, v29
	ds_load_u8 v31, v31 offset:1
.LBB131_68:
	s_or_saveexec_b32 s11, s11
	v_mov_b32_e32 v32, v28
	s_xor_b32 exec_lo, exec_lo, s11
	s_cbranch_execz .LBB131_70
; %bb.69:
	s_waitcnt lgkmcnt(0)
	v_add_nc_u32_e32 v31, v7, v30
	ds_load_u8 v32, v31 offset:1
	v_mov_b32_e32 v31, v27
.LBB131_70:
	s_or_b32 exec_lo, exec_lo, s11
	v_add_nc_u32_e32 v33, 1, v29
	v_add_nc_u32_e32 v34, 1, v30
	s_waitcnt lgkmcnt(0)
	v_and_b32_e32 v35, 0xff, v31
	v_and_b32_e32 v36, 0xff, v32
	v_cndmask_b32_e64 v33, v33, v29, s10
	v_cndmask_b32_e64 v34, v30, v34, s10
	s_delay_alu instid0(VALU_DEP_3) | instskip(NEXT) | instid1(VALU_DEP_3)
	v_cmp_lt_u16_e64 s12, v36, v35
                                        ; implicit-def: $vgpr35
	v_cmp_ge_i32_e64 s11, v33, v14
	s_delay_alu instid0(VALU_DEP_3) | instskip(NEXT) | instid1(VALU_DEP_2)
	v_cmp_lt_i32_e64 s13, v34, v1
	s_or_b32 s11, s11, s12
	s_delay_alu instid0(VALU_DEP_1) | instid1(SALU_CYCLE_1)
	s_and_b32 s11, s13, s11
	s_delay_alu instid0(SALU_CYCLE_1) | instskip(NEXT) | instid1(SALU_CYCLE_1)
	s_xor_b32 s12, s11, -1
	s_and_saveexec_b32 s13, s12
	s_delay_alu instid0(SALU_CYCLE_1)
	s_xor_b32 s12, exec_lo, s13
	s_cbranch_execz .LBB131_72
; %bb.71:
	v_add_nc_u32_e32 v35, v7, v33
	ds_load_u8 v35, v35 offset:1
.LBB131_72:
	s_or_saveexec_b32 s12, s12
	v_mov_b32_e32 v36, v32
	s_xor_b32 exec_lo, exec_lo, s12
	s_cbranch_execz .LBB131_74
; %bb.73:
	s_waitcnt lgkmcnt(0)
	v_add_nc_u32_e32 v35, v7, v34
	ds_load_u8 v36, v35 offset:1
	v_mov_b32_e32 v35, v31
.LBB131_74:
	s_or_b32 exec_lo, exec_lo, s12
	v_add_nc_u32_e32 v37, 1, v33
	v_add_nc_u32_e32 v38, 1, v34
	s_waitcnt lgkmcnt(0)
	v_and_b32_e32 v39, 0xff, v35
	v_and_b32_e32 v40, 0xff, v36
	v_cndmask_b32_e64 v37, v37, v33, s11
	v_cndmask_b32_e64 v38, v34, v38, s11
	s_delay_alu instid0(VALU_DEP_3) | instskip(NEXT) | instid1(VALU_DEP_3)
	v_cmp_lt_u16_e64 s13, v40, v39
                                        ; implicit-def: $vgpr40
	v_cmp_ge_i32_e64 s12, v37, v14
	s_delay_alu instid0(VALU_DEP_3) | instskip(NEXT) | instid1(VALU_DEP_2)
	v_cmp_lt_i32_e64 s14, v38, v1
	s_or_b32 s12, s12, s13
	s_delay_alu instid0(VALU_DEP_1) | instid1(SALU_CYCLE_1)
	s_and_b32 s12, s14, s12
	s_delay_alu instid0(SALU_CYCLE_1) | instskip(NEXT) | instid1(SALU_CYCLE_1)
	s_xor_b32 s13, s12, -1
	s_and_saveexec_b32 s14, s13
	s_delay_alu instid0(SALU_CYCLE_1)
	s_xor_b32 s13, exec_lo, s14
	s_cbranch_execz .LBB131_76
; %bb.75:
	v_add_nc_u32_e32 v39, v7, v37
	ds_load_u8 v40, v39 offset:1
.LBB131_76:
	s_or_saveexec_b32 s13, s13
	v_mov_b32_e32 v42, v36
	s_xor_b32 exec_lo, exec_lo, s13
	s_cbranch_execz .LBB131_78
; %bb.77:
	v_add_nc_u32_e32 v39, v7, v38
	s_waitcnt lgkmcnt(0)
	v_mov_b32_e32 v40, v35
	ds_load_u8 v42, v39 offset:1
.LBB131_78:
	s_or_b32 exec_lo, exec_lo, s13
	v_add_nc_u32_e32 v39, 1, v37
	v_add_nc_u32_e32 v41, 1, v38
	s_waitcnt lgkmcnt(0)
	v_and_b32_e32 v45, 0xff, v40
	s_delay_alu instid0(VALU_DEP_3) | instskip(SKIP_2) | instid1(VALU_DEP_3)
	v_cndmask_b32_e64 v43, v39, v37, s12
	v_and_b32_e32 v39, 0xff, v42
	v_cndmask_b32_e64 v44, v38, v41, s12
	v_cmp_ge_i32_e64 s13, v43, v14
	s_delay_alu instid0(VALU_DEP_3) | instskip(NEXT) | instid1(VALU_DEP_3)
	v_cmp_lt_u16_e64 s14, v39, v45
	v_cmp_lt_i32_e64 s15, v44, v1
                                        ; implicit-def: $vgpr39
	s_delay_alu instid0(VALU_DEP_2)
	s_or_b32 s13, s13, s14
	s_delay_alu instid0(VALU_DEP_1) | instid1(SALU_CYCLE_1)
	s_and_b32 s13, s15, s13
	s_delay_alu instid0(SALU_CYCLE_1) | instskip(NEXT) | instid1(SALU_CYCLE_1)
	s_xor_b32 s14, s13, -1
	s_and_saveexec_b32 s15, s14
	s_delay_alu instid0(SALU_CYCLE_1)
	s_xor_b32 s14, exec_lo, s15
	s_cbranch_execz .LBB131_80
; %bb.79:
	v_add_nc_u32_e32 v39, v7, v43
	ds_load_u8 v39, v39 offset:1
.LBB131_80:
	s_or_saveexec_b32 s14, s14
	v_mov_b32_e32 v41, v42
	s_xor_b32 exec_lo, exec_lo, s14
	s_cbranch_execz .LBB131_82
; %bb.81:
	s_waitcnt lgkmcnt(0)
	v_add_nc_u32_e32 v39, v7, v44
	ds_load_u8 v41, v39 offset:1
	v_mov_b32_e32 v39, v40
.LBB131_82:
	s_or_b32 exec_lo, exec_lo, s14
	v_lshlrev_b16 v13, 8, v13
	v_and_b32_e32 v11, 0xff, v11
	v_lshlrev_b16 v12, 8, v12
	v_and_b32_e32 v10, 0xff, v10
	;; [unrolled: 2-line block ×4, first 2 shown]
	v_add_nc_u32_e32 v45, 1, v44
	v_or_b32_e32 v11, v11, v13
	v_or_b32_e32 v10, v10, v12
	;; [unrolled: 1-line block ×4, first 2 shown]
	v_add_nc_u32_e32 v46, 1, v43
	v_cndmask_b32_e64 v40, v40, v42, s13
	v_cndmask_b32_e64 v42, v43, v44, s13
	;; [unrolled: 1-line block ×3, first 2 shown]
	v_and_b32_e32 v8, 0xffff, v11
	v_lshlrev_b32_e32 v9, 16, v10
	v_and_b32_e32 v3, 0xffff, v3
	v_lshlrev_b32_e32 v0, 16, v0
	v_cndmask_b32_e64 v43, v46, v43, s13
	v_cndmask_b32_e64 v27, v27, v28, s10
	;; [unrolled: 1-line block ×3, first 2 shown]
	v_cmp_lt_i32_e64 s10, v44, v1
	v_or_b32_e32 v1, v8, v9
	v_or_b32_e32 v0, v3, v0
	v_cndmask_b32_e64 v19, v20, v19, s8
	v_cndmask_b32_e64 v20, v21, v22, s8
	;; [unrolled: 1-line block ×3, first 2 shown]
	v_cmp_ge_i32_e64 s8, v43, v14
	s_waitcnt lgkmcnt(0)
	v_and_b32_e32 v14, 0xff, v39
	v_and_b32_e32 v18, 0xff, v41
	; wave barrier
	ds_store_b64 v2, v[0:1]
	v_and_b32_e32 v0, 0xc0, v4
	v_cndmask_b32_e64 v23, v23, v24, s9
	v_cndmask_b32_e64 v24, v25, v26, s9
	v_cmp_lt_u16_e64 s9, v18, v14
	v_cndmask_b32_e64 v10, v15, v16, s7
	v_min_i32_e32 v15, v6, v0
	v_cndmask_b32_e64 v35, v35, v36, s12
	v_cndmask_b32_e64 v36, v37, v38, s12
	s_or_b32 s7, s8, s9
	v_cndmask_b32_e64 v31, v31, v32, s11
	v_add_nc_u32_e32 v0, 32, v15
	s_and_b32 s7, s10, s7
	v_cndmask_b32_e64 v32, v33, v34, s11
	v_cndmask_b32_e64 v3, v43, v44, s7
	v_add_nc_u32_e32 v1, v7, v10
	v_add_nc_u32_e32 v8, v7, v20
	v_min_i32_e32 v14, v6, v0
	v_add_nc_u32_e32 v10, v7, v24
	v_add_nc_u32_e32 v11, v7, v28
	;; [unrolled: 1-line block ×4, first 2 shown]
	; wave barrier
	v_add_nc_u32_e32 v18, v7, v42
	v_add_nc_u32_e32 v20, v7, v3
	ds_load_u8 v3, v1
	ds_load_u8 v9, v8
	ds_load_u8 v0, v10
	ds_load_u8 v8, v11
	ds_load_u8 v11, v12
	ds_load_u8 v13, v13
	ds_load_u8 v10, v18
	ds_load_u8 v12, v20
	v_cndmask_b32_e64 v16, v39, v41, s7
	v_lshlrev_b16 v19, 8, v19
	v_and_b32_e32 v17, 0xff, v17
	v_lshlrev_b16 v21, 8, v27
	v_and_b32_e32 v22, 0xff, v23
	v_add_nc_u32_e32 v1, 32, v14
	v_and_b32_e32 v20, 0xff, v31
	v_or_b32_e32 v17, v17, v19
	v_lshlrev_b16 v19, 8, v35
	v_or_b32_e32 v18, v22, v21
	v_and_b32_e32 v21, 56, v4
	v_min_i32_e32 v1, v6, v1
	v_and_b32_e32 v22, 0xff, v40
	v_lshlrev_b16 v23, 8, v16
	v_or_b32_e32 v19, v20, v19
	v_min_i32_e32 v16, v6, v21
	v_sub_nc_u32_e32 v20, v1, v14
	v_and_b32_e32 v17, 0xffff, v17
	v_or_b32_e32 v21, v22, v23
	v_lshlrev_b32_e32 v18, 16, v18
	v_and_b32_e32 v22, 0xffff, v19
	v_sub_nc_u32_e32 v23, v16, v20
	v_sub_nc_u32_e32 v24, v14, v15
	v_lshlrev_b32_e32 v21, 16, v21
	v_cmp_ge_i32_e64 s7, v16, v20
	v_or_b32_e32 v19, v17, v18
	s_mov_b32 s9, 0
	v_min_i32_e32 v18, v16, v24
	v_or_b32_e32 v20, v22, v21
	v_cndmask_b32_e64 v17, 0, v23, s7
	s_mov_b32 s8, exec_lo
	; wave barrier
	ds_store_b64 v2, v[19:20]
	; wave barrier
	v_cmpx_lt_i32_e64 v17, v18
	s_cbranch_execz .LBB131_86
; %bb.83:
	v_add_nc_u32_e32 v19, v7, v15
	v_add3_u32 v20, v7, v14, v16
	.p2align	6
.LBB131_84:                             ; =>This Inner Loop Header: Depth=1
	v_sub_nc_u32_e32 v21, v18, v17
	s_delay_alu instid0(VALU_DEP_1) | instskip(NEXT) | instid1(VALU_DEP_1)
	v_lshrrev_b32_e32 v22, 31, v21
	v_add_nc_u32_e32 v21, v21, v22
	s_delay_alu instid0(VALU_DEP_1) | instskip(NEXT) | instid1(VALU_DEP_1)
	v_ashrrev_i32_e32 v21, 1, v21
	v_add_nc_u32_e32 v21, v21, v17
	s_delay_alu instid0(VALU_DEP_1)
	v_add_nc_u32_e32 v22, v19, v21
	v_xad_u32 v23, v21, -1, v20
	v_add_nc_u32_e32 v24, 1, v21
	ds_load_u8 v22, v22
	ds_load_u8 v23, v23
	s_waitcnt lgkmcnt(0)
	v_cmp_lt_u16_e64 s7, v23, v22
	s_delay_alu instid0(VALU_DEP_1) | instskip(SKIP_1) | instid1(VALU_DEP_1)
	v_cndmask_b32_e64 v18, v18, v21, s7
	v_cndmask_b32_e64 v17, v24, v17, s7
	v_cmp_ge_i32_e64 s7, v17, v18
	s_delay_alu instid0(VALU_DEP_1) | instskip(NEXT) | instid1(SALU_CYCLE_1)
	s_or_b32 s9, s7, s9
	s_and_not1_b32 exec_lo, exec_lo, s9
	s_cbranch_execnz .LBB131_84
; %bb.85:
	s_or_b32 exec_lo, exec_lo, s9
.LBB131_86:
	s_delay_alu instid0(SALU_CYCLE_1) | instskip(SKIP_2) | instid1(VALU_DEP_2)
	s_or_b32 exec_lo, exec_lo, s8
	v_add_nc_u32_e32 v16, v14, v16
	v_add_nc_u32_e32 v15, v17, v15
	v_sub_nc_u32_e32 v16, v16, v17
	s_delay_alu instid0(VALU_DEP_2) | instskip(SKIP_1) | instid1(VALU_DEP_3)
	v_add_nc_u32_e32 v22, v7, v15
	v_cmp_le_i32_e64 s7, v14, v15
	v_add_nc_u32_e32 v21, v7, v16
	v_cmp_gt_i32_e64 s9, v1, v16
	ds_load_u8 v17, v22
	ds_load_u8 v18, v21
	s_waitcnt lgkmcnt(1)
	v_and_b32_e32 v19, 0xff, v17
	s_waitcnt lgkmcnt(0)
	v_and_b32_e32 v20, 0xff, v18
	s_delay_alu instid0(VALU_DEP_1) | instskip(NEXT) | instid1(VALU_DEP_1)
	v_cmp_lt_u16_e64 s8, v20, v19
                                        ; implicit-def: $vgpr19
                                        ; implicit-def: $vgpr20
	s_or_b32 s7, s7, s8
	s_delay_alu instid0(SALU_CYCLE_1) | instskip(NEXT) | instid1(SALU_CYCLE_1)
	s_and_b32 s7, s9, s7
	s_xor_b32 s8, s7, -1
	s_delay_alu instid0(SALU_CYCLE_1) | instskip(NEXT) | instid1(SALU_CYCLE_1)
	s_and_saveexec_b32 s9, s8
	s_xor_b32 s8, exec_lo, s9
	s_cbranch_execz .LBB131_88
; %bb.87:
	ds_load_u8 v20, v22 offset:1
	v_mov_b32_e32 v19, v18
                                        ; implicit-def: $vgpr21
.LBB131_88:
	s_and_not1_saveexec_b32 s8, s8
	s_cbranch_execz .LBB131_90
; %bb.89:
	ds_load_u8 v19, v21 offset:1
	s_waitcnt lgkmcnt(1)
	v_mov_b32_e32 v20, v17
.LBB131_90:
	s_or_b32 exec_lo, exec_lo, s8
	v_add_nc_u32_e32 v21, 1, v15
	v_add_nc_u32_e32 v22, 1, v16
	s_waitcnt lgkmcnt(0)
	v_and_b32_e32 v23, 0xff, v20
	v_and_b32_e32 v24, 0xff, v19
	v_cndmask_b32_e64 v21, v21, v15, s7
	v_cndmask_b32_e64 v22, v16, v22, s7
	s_delay_alu instid0(VALU_DEP_3) | instskip(NEXT) | instid1(VALU_DEP_3)
	v_cmp_lt_u16_e64 s9, v24, v23
                                        ; implicit-def: $vgpr23
	v_cmp_ge_i32_e64 s8, v21, v14
	s_delay_alu instid0(VALU_DEP_3) | instskip(NEXT) | instid1(VALU_DEP_2)
	v_cmp_lt_i32_e64 s10, v22, v1
	s_or_b32 s8, s8, s9
	s_delay_alu instid0(VALU_DEP_1) | instid1(SALU_CYCLE_1)
	s_and_b32 s8, s10, s8
	s_delay_alu instid0(SALU_CYCLE_1) | instskip(NEXT) | instid1(SALU_CYCLE_1)
	s_xor_b32 s9, s8, -1
	s_and_saveexec_b32 s10, s9
	s_delay_alu instid0(SALU_CYCLE_1)
	s_xor_b32 s9, exec_lo, s10
	s_cbranch_execz .LBB131_92
; %bb.91:
	v_add_nc_u32_e32 v23, v7, v21
	ds_load_u8 v23, v23 offset:1
.LBB131_92:
	s_or_saveexec_b32 s9, s9
	v_mov_b32_e32 v24, v19
	s_xor_b32 exec_lo, exec_lo, s9
	s_cbranch_execz .LBB131_94
; %bb.93:
	s_waitcnt lgkmcnt(0)
	v_add_nc_u32_e32 v23, v7, v22
	ds_load_u8 v24, v23 offset:1
	v_mov_b32_e32 v23, v20
.LBB131_94:
	s_or_b32 exec_lo, exec_lo, s9
	v_add_nc_u32_e32 v25, 1, v21
	v_add_nc_u32_e32 v26, 1, v22
	s_waitcnt lgkmcnt(0)
	v_and_b32_e32 v27, 0xff, v23
	v_and_b32_e32 v28, 0xff, v24
	v_cndmask_b32_e64 v25, v25, v21, s8
	v_cndmask_b32_e64 v26, v22, v26, s8
	s_delay_alu instid0(VALU_DEP_3) | instskip(NEXT) | instid1(VALU_DEP_3)
	v_cmp_lt_u16_e64 s10, v28, v27
                                        ; implicit-def: $vgpr27
	v_cmp_ge_i32_e64 s9, v25, v14
	s_delay_alu instid0(VALU_DEP_3) | instskip(NEXT) | instid1(VALU_DEP_2)
	v_cmp_lt_i32_e64 s11, v26, v1
	s_or_b32 s9, s9, s10
	s_delay_alu instid0(VALU_DEP_1) | instid1(SALU_CYCLE_1)
	s_and_b32 s9, s11, s9
	s_delay_alu instid0(SALU_CYCLE_1) | instskip(NEXT) | instid1(SALU_CYCLE_1)
	s_xor_b32 s10, s9, -1
	s_and_saveexec_b32 s11, s10
	s_delay_alu instid0(SALU_CYCLE_1)
	s_xor_b32 s10, exec_lo, s11
	s_cbranch_execz .LBB131_96
; %bb.95:
	v_add_nc_u32_e32 v27, v7, v25
	ds_load_u8 v27, v27 offset:1
.LBB131_96:
	s_or_saveexec_b32 s10, s10
	v_mov_b32_e32 v28, v24
	s_xor_b32 exec_lo, exec_lo, s10
	s_cbranch_execz .LBB131_98
; %bb.97:
	s_waitcnt lgkmcnt(0)
	v_add_nc_u32_e32 v27, v7, v26
	ds_load_u8 v28, v27 offset:1
	v_mov_b32_e32 v27, v23
.LBB131_98:
	s_or_b32 exec_lo, exec_lo, s10
	v_add_nc_u32_e32 v29, 1, v25
	v_add_nc_u32_e32 v30, 1, v26
	s_waitcnt lgkmcnt(0)
	v_and_b32_e32 v31, 0xff, v27
	v_and_b32_e32 v32, 0xff, v28
	v_cndmask_b32_e64 v29, v29, v25, s9
	v_cndmask_b32_e64 v30, v26, v30, s9
	s_delay_alu instid0(VALU_DEP_3) | instskip(NEXT) | instid1(VALU_DEP_3)
	v_cmp_lt_u16_e64 s11, v32, v31
                                        ; implicit-def: $vgpr31
	v_cmp_ge_i32_e64 s10, v29, v14
	s_delay_alu instid0(VALU_DEP_3) | instskip(NEXT) | instid1(VALU_DEP_2)
	v_cmp_lt_i32_e64 s12, v30, v1
	s_or_b32 s10, s10, s11
	s_delay_alu instid0(VALU_DEP_1) | instid1(SALU_CYCLE_1)
	s_and_b32 s10, s12, s10
	s_delay_alu instid0(SALU_CYCLE_1) | instskip(NEXT) | instid1(SALU_CYCLE_1)
	s_xor_b32 s11, s10, -1
	s_and_saveexec_b32 s12, s11
	s_delay_alu instid0(SALU_CYCLE_1)
	s_xor_b32 s11, exec_lo, s12
	s_cbranch_execz .LBB131_100
; %bb.99:
	v_add_nc_u32_e32 v31, v7, v29
	ds_load_u8 v31, v31 offset:1
.LBB131_100:
	s_or_saveexec_b32 s11, s11
	v_mov_b32_e32 v32, v28
	s_xor_b32 exec_lo, exec_lo, s11
	s_cbranch_execz .LBB131_102
; %bb.101:
	s_waitcnt lgkmcnt(0)
	v_add_nc_u32_e32 v31, v7, v30
	ds_load_u8 v32, v31 offset:1
	v_mov_b32_e32 v31, v27
.LBB131_102:
	s_or_b32 exec_lo, exec_lo, s11
	v_add_nc_u32_e32 v33, 1, v29
	v_add_nc_u32_e32 v34, 1, v30
	s_waitcnt lgkmcnt(0)
	v_and_b32_e32 v35, 0xff, v31
	v_and_b32_e32 v36, 0xff, v32
	v_cndmask_b32_e64 v33, v33, v29, s10
	v_cndmask_b32_e64 v34, v30, v34, s10
	s_delay_alu instid0(VALU_DEP_3) | instskip(NEXT) | instid1(VALU_DEP_3)
	v_cmp_lt_u16_e64 s12, v36, v35
                                        ; implicit-def: $vgpr35
	v_cmp_ge_i32_e64 s11, v33, v14
	s_delay_alu instid0(VALU_DEP_3) | instskip(NEXT) | instid1(VALU_DEP_2)
	v_cmp_lt_i32_e64 s13, v34, v1
	s_or_b32 s11, s11, s12
	s_delay_alu instid0(VALU_DEP_1) | instid1(SALU_CYCLE_1)
	s_and_b32 s11, s13, s11
	s_delay_alu instid0(SALU_CYCLE_1) | instskip(NEXT) | instid1(SALU_CYCLE_1)
	s_xor_b32 s12, s11, -1
	s_and_saveexec_b32 s13, s12
	s_delay_alu instid0(SALU_CYCLE_1)
	s_xor_b32 s12, exec_lo, s13
	s_cbranch_execz .LBB131_104
; %bb.103:
	v_add_nc_u32_e32 v35, v7, v33
	ds_load_u8 v35, v35 offset:1
.LBB131_104:
	s_or_saveexec_b32 s12, s12
	v_mov_b32_e32 v36, v32
	s_xor_b32 exec_lo, exec_lo, s12
	s_cbranch_execz .LBB131_106
; %bb.105:
	s_waitcnt lgkmcnt(0)
	v_add_nc_u32_e32 v35, v7, v34
	ds_load_u8 v36, v35 offset:1
	v_mov_b32_e32 v35, v31
.LBB131_106:
	s_or_b32 exec_lo, exec_lo, s12
	v_add_nc_u32_e32 v37, 1, v33
	v_add_nc_u32_e32 v38, 1, v34
	s_waitcnt lgkmcnt(0)
	v_and_b32_e32 v39, 0xff, v35
	v_and_b32_e32 v40, 0xff, v36
	v_cndmask_b32_e64 v37, v37, v33, s11
	v_cndmask_b32_e64 v38, v34, v38, s11
	s_delay_alu instid0(VALU_DEP_3) | instskip(NEXT) | instid1(VALU_DEP_3)
	v_cmp_lt_u16_e64 s13, v40, v39
                                        ; implicit-def: $vgpr40
	v_cmp_ge_i32_e64 s12, v37, v14
	s_delay_alu instid0(VALU_DEP_3) | instskip(NEXT) | instid1(VALU_DEP_2)
	v_cmp_lt_i32_e64 s14, v38, v1
	s_or_b32 s12, s12, s13
	s_delay_alu instid0(VALU_DEP_1) | instid1(SALU_CYCLE_1)
	s_and_b32 s12, s14, s12
	s_delay_alu instid0(SALU_CYCLE_1) | instskip(NEXT) | instid1(SALU_CYCLE_1)
	s_xor_b32 s13, s12, -1
	s_and_saveexec_b32 s14, s13
	s_delay_alu instid0(SALU_CYCLE_1)
	s_xor_b32 s13, exec_lo, s14
	s_cbranch_execz .LBB131_108
; %bb.107:
	v_add_nc_u32_e32 v39, v7, v37
	ds_load_u8 v40, v39 offset:1
.LBB131_108:
	s_or_saveexec_b32 s13, s13
	v_mov_b32_e32 v42, v36
	s_xor_b32 exec_lo, exec_lo, s13
	s_cbranch_execz .LBB131_110
; %bb.109:
	v_add_nc_u32_e32 v39, v7, v38
	s_waitcnt lgkmcnt(0)
	v_mov_b32_e32 v40, v35
	ds_load_u8 v42, v39 offset:1
.LBB131_110:
	s_or_b32 exec_lo, exec_lo, s13
	v_add_nc_u32_e32 v39, 1, v37
	v_add_nc_u32_e32 v41, 1, v38
	s_waitcnt lgkmcnt(0)
	v_and_b32_e32 v45, 0xff, v40
	s_delay_alu instid0(VALU_DEP_3) | instskip(SKIP_2) | instid1(VALU_DEP_3)
	v_cndmask_b32_e64 v43, v39, v37, s12
	v_and_b32_e32 v39, 0xff, v42
	v_cndmask_b32_e64 v44, v38, v41, s12
	v_cmp_ge_i32_e64 s13, v43, v14
	s_delay_alu instid0(VALU_DEP_3) | instskip(NEXT) | instid1(VALU_DEP_3)
	v_cmp_lt_u16_e64 s14, v39, v45
	v_cmp_lt_i32_e64 s15, v44, v1
                                        ; implicit-def: $vgpr39
	s_delay_alu instid0(VALU_DEP_2)
	s_or_b32 s13, s13, s14
	s_delay_alu instid0(VALU_DEP_1) | instid1(SALU_CYCLE_1)
	s_and_b32 s13, s15, s13
	s_delay_alu instid0(SALU_CYCLE_1) | instskip(NEXT) | instid1(SALU_CYCLE_1)
	s_xor_b32 s14, s13, -1
	s_and_saveexec_b32 s15, s14
	s_delay_alu instid0(SALU_CYCLE_1)
	s_xor_b32 s14, exec_lo, s15
	s_cbranch_execz .LBB131_112
; %bb.111:
	v_add_nc_u32_e32 v39, v7, v43
	ds_load_u8 v39, v39 offset:1
.LBB131_112:
	s_or_saveexec_b32 s14, s14
	v_mov_b32_e32 v41, v42
	s_xor_b32 exec_lo, exec_lo, s14
	s_cbranch_execz .LBB131_114
; %bb.113:
	s_waitcnt lgkmcnt(0)
	v_add_nc_u32_e32 v39, v7, v44
	ds_load_u8 v41, v39 offset:1
	v_mov_b32_e32 v39, v40
.LBB131_114:
	s_or_b32 exec_lo, exec_lo, s14
	v_lshlrev_b16 v13, 8, v13
	v_and_b32_e32 v11, 0xff, v11
	v_lshlrev_b16 v12, 8, v12
	v_and_b32_e32 v10, 0xff, v10
	;; [unrolled: 2-line block ×4, first 2 shown]
	v_add_nc_u32_e32 v45, 1, v44
	v_or_b32_e32 v11, v11, v13
	v_or_b32_e32 v10, v10, v12
	;; [unrolled: 1-line block ×4, first 2 shown]
	v_add_nc_u32_e32 v46, 1, v43
	v_cndmask_b32_e64 v40, v40, v42, s13
	v_cndmask_b32_e64 v42, v43, v44, s13
	;; [unrolled: 1-line block ×3, first 2 shown]
	v_and_b32_e32 v8, 0xffff, v11
	v_lshlrev_b32_e32 v9, 16, v10
	v_and_b32_e32 v3, 0xffff, v3
	v_lshlrev_b32_e32 v0, 16, v0
	v_cndmask_b32_e64 v43, v46, v43, s13
	v_cndmask_b32_e64 v27, v27, v28, s10
	;; [unrolled: 1-line block ×3, first 2 shown]
	v_cmp_lt_i32_e64 s10, v44, v1
	v_or_b32_e32 v1, v8, v9
	v_or_b32_e32 v0, v3, v0
	v_cndmask_b32_e64 v19, v20, v19, s8
	v_cndmask_b32_e64 v20, v21, v22, s8
	;; [unrolled: 1-line block ×3, first 2 shown]
	v_cmp_ge_i32_e64 s8, v43, v14
	s_waitcnt lgkmcnt(0)
	v_and_b32_e32 v14, 0xff, v39
	v_and_b32_e32 v18, 0xff, v41
	; wave barrier
	ds_store_b64 v2, v[0:1]
	v_and_b32_e32 v0, 0x80, v4
	v_cndmask_b32_e64 v23, v23, v24, s9
	v_cndmask_b32_e64 v24, v25, v26, s9
	v_cmp_lt_u16_e64 s9, v18, v14
	v_cndmask_b32_e64 v10, v15, v16, s7
	v_min_i32_e32 v15, v6, v0
	v_cndmask_b32_e64 v35, v35, v36, s12
	v_cndmask_b32_e64 v36, v37, v38, s12
	s_or_b32 s7, s8, s9
	v_cndmask_b32_e64 v31, v31, v32, s11
	v_add_nc_u32_e32 v0, 64, v15
	s_and_b32 s7, s10, s7
	v_cndmask_b32_e64 v32, v33, v34, s11
	v_cndmask_b32_e64 v3, v43, v44, s7
	v_add_nc_u32_e32 v1, v7, v10
	v_add_nc_u32_e32 v8, v7, v20
	v_min_i32_e32 v14, v6, v0
	v_add_nc_u32_e32 v10, v7, v24
	v_add_nc_u32_e32 v11, v7, v28
	;; [unrolled: 1-line block ×4, first 2 shown]
	; wave barrier
	v_add_nc_u32_e32 v18, v7, v42
	v_add_nc_u32_e32 v20, v7, v3
	ds_load_u8 v3, v1
	ds_load_u8 v9, v8
	;; [unrolled: 1-line block ×8, first 2 shown]
	v_cndmask_b32_e64 v16, v39, v41, s7
	v_lshlrev_b16 v19, 8, v19
	v_and_b32_e32 v17, 0xff, v17
	v_lshlrev_b16 v21, 8, v27
	v_and_b32_e32 v22, 0xff, v23
	v_add_nc_u32_e32 v1, 64, v14
	v_and_b32_e32 v20, 0xff, v31
	v_or_b32_e32 v17, v17, v19
	v_lshlrev_b16 v19, 8, v35
	v_or_b32_e32 v18, v22, v21
	v_and_b32_e32 v21, 0x78, v4
	v_min_i32_e32 v1, v6, v1
	v_and_b32_e32 v22, 0xff, v40
	v_lshlrev_b16 v23, 8, v16
	v_or_b32_e32 v19, v20, v19
	v_min_i32_e32 v16, v6, v21
	v_sub_nc_u32_e32 v20, v1, v14
	v_and_b32_e32 v17, 0xffff, v17
	v_or_b32_e32 v21, v22, v23
	v_lshlrev_b32_e32 v18, 16, v18
	v_and_b32_e32 v22, 0xffff, v19
	v_sub_nc_u32_e32 v23, v16, v20
	v_sub_nc_u32_e32 v24, v14, v15
	v_lshlrev_b32_e32 v21, 16, v21
	v_cmp_ge_i32_e64 s7, v16, v20
	v_or_b32_e32 v19, v17, v18
	s_mov_b32 s9, 0
	v_min_i32_e32 v18, v16, v24
	v_or_b32_e32 v20, v22, v21
	v_cndmask_b32_e64 v17, 0, v23, s7
	s_mov_b32 s8, exec_lo
	; wave barrier
	ds_store_b64 v2, v[19:20]
	; wave barrier
	v_cmpx_lt_i32_e64 v17, v18
	s_cbranch_execz .LBB131_118
; %bb.115:
	v_add_nc_u32_e32 v19, v7, v15
	v_add3_u32 v20, v7, v14, v16
	.p2align	6
.LBB131_116:                            ; =>This Inner Loop Header: Depth=1
	v_sub_nc_u32_e32 v21, v18, v17
	s_delay_alu instid0(VALU_DEP_1) | instskip(NEXT) | instid1(VALU_DEP_1)
	v_lshrrev_b32_e32 v22, 31, v21
	v_add_nc_u32_e32 v21, v21, v22
	s_delay_alu instid0(VALU_DEP_1) | instskip(NEXT) | instid1(VALU_DEP_1)
	v_ashrrev_i32_e32 v21, 1, v21
	v_add_nc_u32_e32 v21, v21, v17
	s_delay_alu instid0(VALU_DEP_1)
	v_add_nc_u32_e32 v22, v19, v21
	v_xad_u32 v23, v21, -1, v20
	v_add_nc_u32_e32 v24, 1, v21
	ds_load_u8 v22, v22
	ds_load_u8 v23, v23
	s_waitcnt lgkmcnt(0)
	v_cmp_lt_u16_e64 s7, v23, v22
	s_delay_alu instid0(VALU_DEP_1) | instskip(SKIP_1) | instid1(VALU_DEP_1)
	v_cndmask_b32_e64 v18, v18, v21, s7
	v_cndmask_b32_e64 v17, v24, v17, s7
	v_cmp_ge_i32_e64 s7, v17, v18
	s_delay_alu instid0(VALU_DEP_1) | instskip(NEXT) | instid1(SALU_CYCLE_1)
	s_or_b32 s9, s7, s9
	s_and_not1_b32 exec_lo, exec_lo, s9
	s_cbranch_execnz .LBB131_116
; %bb.117:
	s_or_b32 exec_lo, exec_lo, s9
.LBB131_118:
	s_delay_alu instid0(SALU_CYCLE_1) | instskip(SKIP_2) | instid1(VALU_DEP_2)
	s_or_b32 exec_lo, exec_lo, s8
	v_add_nc_u32_e32 v16, v14, v16
	v_add_nc_u32_e32 v15, v17, v15
	v_sub_nc_u32_e32 v16, v16, v17
	s_delay_alu instid0(VALU_DEP_2) | instskip(SKIP_1) | instid1(VALU_DEP_3)
	v_add_nc_u32_e32 v22, v7, v15
	v_cmp_le_i32_e64 s7, v14, v15
	v_add_nc_u32_e32 v21, v7, v16
	v_cmp_gt_i32_e64 s9, v1, v16
	ds_load_u8 v17, v22
	ds_load_u8 v18, v21
	s_waitcnt lgkmcnt(1)
	v_and_b32_e32 v19, 0xff, v17
	s_waitcnt lgkmcnt(0)
	v_and_b32_e32 v20, 0xff, v18
	s_delay_alu instid0(VALU_DEP_1) | instskip(NEXT) | instid1(VALU_DEP_1)
	v_cmp_lt_u16_e64 s8, v20, v19
                                        ; implicit-def: $vgpr19
                                        ; implicit-def: $vgpr20
	s_or_b32 s7, s7, s8
	s_delay_alu instid0(SALU_CYCLE_1) | instskip(NEXT) | instid1(SALU_CYCLE_1)
	s_and_b32 s7, s9, s7
	s_xor_b32 s8, s7, -1
	s_delay_alu instid0(SALU_CYCLE_1) | instskip(NEXT) | instid1(SALU_CYCLE_1)
	s_and_saveexec_b32 s9, s8
	s_xor_b32 s8, exec_lo, s9
	s_cbranch_execz .LBB131_120
; %bb.119:
	ds_load_u8 v20, v22 offset:1
	v_mov_b32_e32 v19, v18
                                        ; implicit-def: $vgpr21
.LBB131_120:
	s_and_not1_saveexec_b32 s8, s8
	s_cbranch_execz .LBB131_122
; %bb.121:
	ds_load_u8 v19, v21 offset:1
	s_waitcnt lgkmcnt(1)
	v_mov_b32_e32 v20, v17
.LBB131_122:
	s_or_b32 exec_lo, exec_lo, s8
	v_add_nc_u32_e32 v21, 1, v15
	v_add_nc_u32_e32 v22, 1, v16
	s_waitcnt lgkmcnt(0)
	v_and_b32_e32 v23, 0xff, v20
	v_and_b32_e32 v24, 0xff, v19
	v_cndmask_b32_e64 v21, v21, v15, s7
	v_cndmask_b32_e64 v22, v16, v22, s7
	s_delay_alu instid0(VALU_DEP_3) | instskip(NEXT) | instid1(VALU_DEP_3)
	v_cmp_lt_u16_e64 s9, v24, v23
                                        ; implicit-def: $vgpr23
	v_cmp_ge_i32_e64 s8, v21, v14
	s_delay_alu instid0(VALU_DEP_3) | instskip(NEXT) | instid1(VALU_DEP_2)
	v_cmp_lt_i32_e64 s10, v22, v1
	s_or_b32 s8, s8, s9
	s_delay_alu instid0(VALU_DEP_1) | instid1(SALU_CYCLE_1)
	s_and_b32 s8, s10, s8
	s_delay_alu instid0(SALU_CYCLE_1) | instskip(NEXT) | instid1(SALU_CYCLE_1)
	s_xor_b32 s9, s8, -1
	s_and_saveexec_b32 s10, s9
	s_delay_alu instid0(SALU_CYCLE_1)
	s_xor_b32 s9, exec_lo, s10
	s_cbranch_execz .LBB131_124
; %bb.123:
	v_add_nc_u32_e32 v23, v7, v21
	ds_load_u8 v23, v23 offset:1
.LBB131_124:
	s_or_saveexec_b32 s9, s9
	v_mov_b32_e32 v24, v19
	s_xor_b32 exec_lo, exec_lo, s9
	s_cbranch_execz .LBB131_126
; %bb.125:
	s_waitcnt lgkmcnt(0)
	v_add_nc_u32_e32 v23, v7, v22
	ds_load_u8 v24, v23 offset:1
	v_mov_b32_e32 v23, v20
.LBB131_126:
	s_or_b32 exec_lo, exec_lo, s9
	v_add_nc_u32_e32 v25, 1, v21
	v_add_nc_u32_e32 v26, 1, v22
	s_waitcnt lgkmcnt(0)
	v_and_b32_e32 v27, 0xff, v23
	v_and_b32_e32 v28, 0xff, v24
	v_cndmask_b32_e64 v25, v25, v21, s8
	v_cndmask_b32_e64 v26, v22, v26, s8
	s_delay_alu instid0(VALU_DEP_3) | instskip(NEXT) | instid1(VALU_DEP_3)
	v_cmp_lt_u16_e64 s10, v28, v27
                                        ; implicit-def: $vgpr27
	v_cmp_ge_i32_e64 s9, v25, v14
	s_delay_alu instid0(VALU_DEP_3) | instskip(NEXT) | instid1(VALU_DEP_2)
	v_cmp_lt_i32_e64 s11, v26, v1
	s_or_b32 s9, s9, s10
	s_delay_alu instid0(VALU_DEP_1) | instid1(SALU_CYCLE_1)
	s_and_b32 s9, s11, s9
	s_delay_alu instid0(SALU_CYCLE_1) | instskip(NEXT) | instid1(SALU_CYCLE_1)
	s_xor_b32 s10, s9, -1
	s_and_saveexec_b32 s11, s10
	s_delay_alu instid0(SALU_CYCLE_1)
	s_xor_b32 s10, exec_lo, s11
	s_cbranch_execz .LBB131_128
; %bb.127:
	v_add_nc_u32_e32 v27, v7, v25
	ds_load_u8 v27, v27 offset:1
.LBB131_128:
	s_or_saveexec_b32 s10, s10
	v_mov_b32_e32 v28, v24
	s_xor_b32 exec_lo, exec_lo, s10
	s_cbranch_execz .LBB131_130
; %bb.129:
	s_waitcnt lgkmcnt(0)
	v_add_nc_u32_e32 v27, v7, v26
	ds_load_u8 v28, v27 offset:1
	v_mov_b32_e32 v27, v23
.LBB131_130:
	s_or_b32 exec_lo, exec_lo, s10
	v_add_nc_u32_e32 v29, 1, v25
	v_add_nc_u32_e32 v30, 1, v26
	s_waitcnt lgkmcnt(0)
	v_and_b32_e32 v31, 0xff, v27
	v_and_b32_e32 v32, 0xff, v28
	v_cndmask_b32_e64 v29, v29, v25, s9
	v_cndmask_b32_e64 v30, v26, v30, s9
	s_delay_alu instid0(VALU_DEP_3) | instskip(NEXT) | instid1(VALU_DEP_3)
	v_cmp_lt_u16_e64 s11, v32, v31
                                        ; implicit-def: $vgpr31
	v_cmp_ge_i32_e64 s10, v29, v14
	s_delay_alu instid0(VALU_DEP_3) | instskip(NEXT) | instid1(VALU_DEP_2)
	v_cmp_lt_i32_e64 s12, v30, v1
	s_or_b32 s10, s10, s11
	s_delay_alu instid0(VALU_DEP_1) | instid1(SALU_CYCLE_1)
	s_and_b32 s10, s12, s10
	s_delay_alu instid0(SALU_CYCLE_1) | instskip(NEXT) | instid1(SALU_CYCLE_1)
	s_xor_b32 s11, s10, -1
	s_and_saveexec_b32 s12, s11
	s_delay_alu instid0(SALU_CYCLE_1)
	s_xor_b32 s11, exec_lo, s12
	s_cbranch_execz .LBB131_132
; %bb.131:
	v_add_nc_u32_e32 v31, v7, v29
	ds_load_u8 v31, v31 offset:1
.LBB131_132:
	s_or_saveexec_b32 s11, s11
	v_mov_b32_e32 v32, v28
	s_xor_b32 exec_lo, exec_lo, s11
	s_cbranch_execz .LBB131_134
; %bb.133:
	s_waitcnt lgkmcnt(0)
	v_add_nc_u32_e32 v31, v7, v30
	ds_load_u8 v32, v31 offset:1
	v_mov_b32_e32 v31, v27
.LBB131_134:
	s_or_b32 exec_lo, exec_lo, s11
	v_add_nc_u32_e32 v33, 1, v29
	v_add_nc_u32_e32 v34, 1, v30
	s_waitcnt lgkmcnt(0)
	v_and_b32_e32 v35, 0xff, v31
	v_and_b32_e32 v36, 0xff, v32
	v_cndmask_b32_e64 v33, v33, v29, s10
	v_cndmask_b32_e64 v34, v30, v34, s10
	s_delay_alu instid0(VALU_DEP_3) | instskip(NEXT) | instid1(VALU_DEP_3)
	v_cmp_lt_u16_e64 s12, v36, v35
                                        ; implicit-def: $vgpr35
	v_cmp_ge_i32_e64 s11, v33, v14
	s_delay_alu instid0(VALU_DEP_3) | instskip(NEXT) | instid1(VALU_DEP_2)
	v_cmp_lt_i32_e64 s13, v34, v1
	s_or_b32 s11, s11, s12
	s_delay_alu instid0(VALU_DEP_1) | instid1(SALU_CYCLE_1)
	s_and_b32 s11, s13, s11
	s_delay_alu instid0(SALU_CYCLE_1) | instskip(NEXT) | instid1(SALU_CYCLE_1)
	s_xor_b32 s12, s11, -1
	s_and_saveexec_b32 s13, s12
	s_delay_alu instid0(SALU_CYCLE_1)
	s_xor_b32 s12, exec_lo, s13
	s_cbranch_execz .LBB131_136
; %bb.135:
	v_add_nc_u32_e32 v35, v7, v33
	ds_load_u8 v35, v35 offset:1
.LBB131_136:
	s_or_saveexec_b32 s12, s12
	v_mov_b32_e32 v36, v32
	s_xor_b32 exec_lo, exec_lo, s12
	s_cbranch_execz .LBB131_138
; %bb.137:
	s_waitcnt lgkmcnt(0)
	v_add_nc_u32_e32 v35, v7, v34
	ds_load_u8 v36, v35 offset:1
	v_mov_b32_e32 v35, v31
.LBB131_138:
	s_or_b32 exec_lo, exec_lo, s12
	v_add_nc_u32_e32 v37, 1, v33
	v_add_nc_u32_e32 v38, 1, v34
	s_waitcnt lgkmcnt(0)
	v_and_b32_e32 v39, 0xff, v35
	v_and_b32_e32 v40, 0xff, v36
	v_cndmask_b32_e64 v37, v37, v33, s11
	v_cndmask_b32_e64 v38, v34, v38, s11
	s_delay_alu instid0(VALU_DEP_3) | instskip(NEXT) | instid1(VALU_DEP_3)
	v_cmp_lt_u16_e64 s13, v40, v39
                                        ; implicit-def: $vgpr40
	v_cmp_ge_i32_e64 s12, v37, v14
	s_delay_alu instid0(VALU_DEP_3) | instskip(NEXT) | instid1(VALU_DEP_2)
	v_cmp_lt_i32_e64 s14, v38, v1
	s_or_b32 s12, s12, s13
	s_delay_alu instid0(VALU_DEP_1) | instid1(SALU_CYCLE_1)
	s_and_b32 s12, s14, s12
	s_delay_alu instid0(SALU_CYCLE_1) | instskip(NEXT) | instid1(SALU_CYCLE_1)
	s_xor_b32 s13, s12, -1
	s_and_saveexec_b32 s14, s13
	s_delay_alu instid0(SALU_CYCLE_1)
	s_xor_b32 s13, exec_lo, s14
	s_cbranch_execz .LBB131_140
; %bb.139:
	v_add_nc_u32_e32 v39, v7, v37
	ds_load_u8 v40, v39 offset:1
.LBB131_140:
	s_or_saveexec_b32 s13, s13
	v_mov_b32_e32 v42, v36
	s_xor_b32 exec_lo, exec_lo, s13
	s_cbranch_execz .LBB131_142
; %bb.141:
	v_add_nc_u32_e32 v39, v7, v38
	s_waitcnt lgkmcnt(0)
	v_mov_b32_e32 v40, v35
	ds_load_u8 v42, v39 offset:1
.LBB131_142:
	s_or_b32 exec_lo, exec_lo, s13
	v_add_nc_u32_e32 v39, 1, v37
	v_add_nc_u32_e32 v41, 1, v38
	s_waitcnt lgkmcnt(0)
	v_and_b32_e32 v45, 0xff, v40
	s_delay_alu instid0(VALU_DEP_3) | instskip(SKIP_2) | instid1(VALU_DEP_3)
	v_cndmask_b32_e64 v43, v39, v37, s12
	v_and_b32_e32 v39, 0xff, v42
	v_cndmask_b32_e64 v44, v38, v41, s12
	v_cmp_ge_i32_e64 s13, v43, v14
	s_delay_alu instid0(VALU_DEP_3) | instskip(NEXT) | instid1(VALU_DEP_3)
	v_cmp_lt_u16_e64 s14, v39, v45
	v_cmp_lt_i32_e64 s15, v44, v1
                                        ; implicit-def: $vgpr39
	s_delay_alu instid0(VALU_DEP_2)
	s_or_b32 s13, s13, s14
	s_delay_alu instid0(VALU_DEP_1) | instid1(SALU_CYCLE_1)
	s_and_b32 s13, s15, s13
	s_delay_alu instid0(SALU_CYCLE_1) | instskip(NEXT) | instid1(SALU_CYCLE_1)
	s_xor_b32 s14, s13, -1
	s_and_saveexec_b32 s15, s14
	s_delay_alu instid0(SALU_CYCLE_1)
	s_xor_b32 s14, exec_lo, s15
	s_cbranch_execz .LBB131_144
; %bb.143:
	v_add_nc_u32_e32 v39, v7, v43
	ds_load_u8 v39, v39 offset:1
.LBB131_144:
	s_or_saveexec_b32 s14, s14
	v_mov_b32_e32 v41, v42
	s_xor_b32 exec_lo, exec_lo, s14
	s_cbranch_execz .LBB131_146
; %bb.145:
	s_waitcnt lgkmcnt(0)
	v_add_nc_u32_e32 v39, v7, v44
	ds_load_u8 v41, v39 offset:1
	v_mov_b32_e32 v39, v40
.LBB131_146:
	s_or_b32 exec_lo, exec_lo, s14
	v_add_nc_u32_e32 v46, 1, v43
	v_lshlrev_b16 v13, 8, v13
	v_and_b32_e32 v11, 0xff, v11
	v_lshlrev_b16 v12, 8, v12
	v_and_b32_e32 v10, 0xff, v10
	;; [unrolled: 2-line block ×4, first 2 shown]
	v_add_nc_u32_e32 v45, 1, v44
	v_cndmask_b32_e64 v40, v40, v42, s13
	v_cndmask_b32_e64 v42, v43, v44, s13
	;; [unrolled: 1-line block ×3, first 2 shown]
	v_or_b32_e32 v11, v11, v13
	v_or_b32_e32 v10, v10, v12
	;; [unrolled: 1-line block ×4, first 2 shown]
	v_cndmask_b32_e64 v44, v44, v45, s13
	v_cndmask_b32_e64 v19, v20, v19, s8
	;; [unrolled: 1-line block ×4, first 2 shown]
	v_cmp_ge_i32_e64 s8, v43, v14
	s_waitcnt lgkmcnt(0)
	v_and_b32_e32 v14, 0xff, v39
	v_and_b32_e32 v18, 0xff, v41
	;; [unrolled: 1-line block ×3, first 2 shown]
	v_lshlrev_b32_e32 v9, 16, v10
	v_and_b32_e32 v3, 0xffff, v3
	v_lshlrev_b32_e32 v0, 16, v0
	v_cndmask_b32_e64 v27, v27, v28, s10
	v_cndmask_b32_e64 v28, v29, v30, s10
	;; [unrolled: 1-line block ×4, first 2 shown]
	v_cmp_lt_u16_e64 s9, v18, v14
	v_cmp_lt_i32_e64 s10, v44, v1
	v_cndmask_b32_e64 v10, v15, v16, s7
	v_or_b32_e32 v1, v8, v9
	v_or_b32_e32 v0, v3, v0
	v_min_i32_e32 v15, 0, v6
	s_or_b32 s7, s8, s9
	; wave barrier
	ds_store_b64 v2, v[0:1]
	v_add_nc_u32_e32 v0, 0x80, v15
	s_and_b32 s7, s10, s7
	v_cndmask_b32_e64 v35, v35, v36, s12
	v_cndmask_b32_e64 v36, v37, v38, s12
	;; [unrolled: 1-line block ×5, first 2 shown]
	v_add_nc_u32_e32 v1, v7, v10
	v_add_nc_u32_e32 v9, v7, v20
	v_min_i32_e32 v0, v6, v0
	v_add_nc_u32_e32 v11, v7, v24
	v_add_nc_u32_e32 v12, v7, v28
	v_add_nc_u32_e32 v13, v7, v32
	v_add_nc_u32_e32 v14, v7, v36
	; wave barrier
	v_add_nc_u32_e32 v18, v7, v42
	v_add_nc_u32_e32 v3, v7, v3
	ds_load_u8 v8, v1
	ds_load_u8 v10, v9
	;; [unrolled: 1-line block ×8, first 2 shown]
	v_cndmask_b32_e64 v16, v39, v41, s7
	v_lshlrev_b16 v19, 8, v19
	v_and_b32_e32 v17, 0xff, v17
	v_lshlrev_b16 v20, 8, v27
	v_and_b32_e32 v21, 0xff, v23
	v_add_nc_u32_e32 v3, 0x80, v0
	v_and_b32_e32 v22, 0xff, v40
	v_or_b32_e32 v17, v17, v19
	v_lshlrev_b16 v19, 8, v35
	v_or_b32_e32 v18, v21, v20
	v_and_b32_e32 v20, 0xff, v31
	v_and_b32_e32 v21, 0xf8, v4
	v_min_i32_e32 v3, v6, v3
	v_lshlrev_b16 v16, 8, v16
	v_and_b32_e32 v17, 0xffff, v17
	v_or_b32_e32 v19, v20, v19
	v_min_i32_e32 v6, v6, v21
	v_sub_nc_u32_e32 v20, v3, v0
	v_or_b32_e32 v16, v22, v16
	v_lshlrev_b32_e32 v18, 16, v18
	v_and_b32_e32 v19, 0xffff, v19
	v_sub_nc_u32_e32 v22, v0, v15
	v_sub_nc_u32_e32 v21, v6, v20
	v_lshlrev_b32_e32 v23, 16, v16
	v_cmp_ge_i32_e64 s7, v6, v20
	v_or_b32_e32 v18, v17, v18
	v_min_i32_e32 v17, v6, v22
	s_mov_b32 s9, 0
	v_or_b32_e32 v19, v19, v23
	v_cndmask_b32_e64 v16, 0, v21, s7
	s_mov_b32 s8, exec_lo
	; wave barrier
	ds_store_b64 v2, v[18:19]
	; wave barrier
	v_cmpx_lt_i32_e64 v16, v17
	s_cbranch_execz .LBB131_150
; %bb.147:
	v_add_nc_u32_e32 v18, v7, v15
	v_add3_u32 v19, v7, v0, v6
	.p2align	6
.LBB131_148:                            ; =>This Inner Loop Header: Depth=1
	v_sub_nc_u32_e32 v20, v17, v16
	s_delay_alu instid0(VALU_DEP_1) | instskip(NEXT) | instid1(VALU_DEP_1)
	v_lshrrev_b32_e32 v21, 31, v20
	v_add_nc_u32_e32 v20, v20, v21
	s_delay_alu instid0(VALU_DEP_1) | instskip(NEXT) | instid1(VALU_DEP_1)
	v_ashrrev_i32_e32 v20, 1, v20
	v_add_nc_u32_e32 v20, v20, v16
	s_delay_alu instid0(VALU_DEP_1)
	v_add_nc_u32_e32 v21, v18, v20
	v_xad_u32 v22, v20, -1, v19
	v_add_nc_u32_e32 v23, 1, v20
	ds_load_u8 v21, v21
	ds_load_u8 v22, v22
	s_waitcnt lgkmcnt(0)
	v_cmp_lt_u16_e64 s7, v22, v21
	s_delay_alu instid0(VALU_DEP_1) | instskip(SKIP_1) | instid1(VALU_DEP_1)
	v_cndmask_b32_e64 v17, v17, v20, s7
	v_cndmask_b32_e64 v16, v23, v16, s7
	v_cmp_ge_i32_e64 s7, v16, v17
	s_delay_alu instid0(VALU_DEP_1) | instskip(NEXT) | instid1(SALU_CYCLE_1)
	s_or_b32 s9, s7, s9
	s_and_not1_b32 exec_lo, exec_lo, s9
	s_cbranch_execnz .LBB131_148
; %bb.149:
	s_or_b32 exec_lo, exec_lo, s9
.LBB131_150:
	s_delay_alu instid0(SALU_CYCLE_1) | instskip(SKIP_2) | instid1(VALU_DEP_2)
	s_or_b32 exec_lo, exec_lo, s8
	v_add_nc_u32_e32 v17, v0, v6
	v_add_nc_u32_e32 v6, v16, v15
	v_sub_nc_u32_e32 v15, v17, v16
	s_delay_alu instid0(VALU_DEP_2) | instskip(SKIP_1) | instid1(VALU_DEP_3)
	v_add_nc_u32_e32 v20, v7, v6
	v_cmp_le_i32_e64 s7, v0, v6
	v_add_nc_u32_e32 v18, v7, v15
	v_cmp_gt_i32_e64 s9, v3, v15
	ds_load_u8 v16, v20
	ds_load_u8 v17, v18
	s_waitcnt lgkmcnt(1)
	v_and_b32_e32 v19, 0xff, v16
	s_waitcnt lgkmcnt(0)
	v_and_b32_e32 v21, 0xff, v17
	s_delay_alu instid0(VALU_DEP_1) | instskip(NEXT) | instid1(VALU_DEP_1)
	v_cmp_lt_u16_e64 s8, v21, v19
                                        ; implicit-def: $vgpr19
                                        ; implicit-def: $vgpr21
	s_or_b32 s7, s7, s8
	s_delay_alu instid0(SALU_CYCLE_1) | instskip(NEXT) | instid1(SALU_CYCLE_1)
	s_and_b32 s7, s9, s7
	s_xor_b32 s8, s7, -1
	s_delay_alu instid0(SALU_CYCLE_1) | instskip(NEXT) | instid1(SALU_CYCLE_1)
	s_and_saveexec_b32 s9, s8
	s_xor_b32 s8, exec_lo, s9
	s_cbranch_execz .LBB131_152
; %bb.151:
	ds_load_u8 v21, v20 offset:1
	v_mov_b32_e32 v19, v17
                                        ; implicit-def: $vgpr18
.LBB131_152:
	s_and_not1_saveexec_b32 s8, s8
	s_cbranch_execz .LBB131_154
; %bb.153:
	ds_load_u8 v19, v18 offset:1
	s_waitcnt lgkmcnt(1)
	v_mov_b32_e32 v21, v16
.LBB131_154:
	s_or_b32 exec_lo, exec_lo, s8
	v_add_nc_u32_e32 v18, 1, v6
	v_add_nc_u32_e32 v20, 1, v15
	s_waitcnt lgkmcnt(0)
	v_and_b32_e32 v24, 0xff, v21
	s_delay_alu instid0(VALU_DEP_3) | instskip(SKIP_2) | instid1(VALU_DEP_3)
	v_cndmask_b32_e64 v22, v18, v6, s7
	v_and_b32_e32 v18, 0xff, v19
	v_cndmask_b32_e64 v23, v15, v20, s7
	v_cmp_ge_i32_e64 s8, v22, v0
	s_delay_alu instid0(VALU_DEP_3) | instskip(NEXT) | instid1(VALU_DEP_3)
	v_cmp_lt_u16_e64 s9, v18, v24
	v_cmp_lt_i32_e64 s10, v23, v3
                                        ; implicit-def: $vgpr24
	s_delay_alu instid0(VALU_DEP_2)
	s_or_b32 s8, s8, s9
	s_delay_alu instid0(VALU_DEP_1) | instid1(SALU_CYCLE_1)
	s_and_b32 s9, s10, s8
	s_delay_alu instid0(SALU_CYCLE_1) | instskip(NEXT) | instid1(SALU_CYCLE_1)
	s_xor_b32 s8, s9, -1
	s_and_saveexec_b32 s10, s8
	s_delay_alu instid0(SALU_CYCLE_1)
	s_xor_b32 s8, exec_lo, s10
	s_cbranch_execz .LBB131_156
; %bb.155:
	v_add_nc_u32_e32 v18, v7, v22
	ds_load_u8 v24, v18 offset:1
.LBB131_156:
	s_or_saveexec_b32 s8, s8
	v_mov_b32_e32 v25, v19
	s_xor_b32 exec_lo, exec_lo, s8
	s_cbranch_execz .LBB131_158
; %bb.157:
	v_add_nc_u32_e32 v18, v7, v23
	s_waitcnt lgkmcnt(0)
	v_mov_b32_e32 v24, v21
	ds_load_u8 v25, v18 offset:1
.LBB131_158:
	s_or_b32 exec_lo, exec_lo, s8
	v_add_nc_u32_e32 v18, 1, v22
	v_add_nc_u32_e32 v20, 1, v23
	s_waitcnt lgkmcnt(0)
	v_and_b32_e32 v26, 0xff, v24
	v_and_b32_e32 v27, 0xff, v25
	v_cndmask_b32_e64 v18, v18, v22, s9
	v_cndmask_b32_e64 v20, v23, v20, s9
	s_delay_alu instid0(VALU_DEP_3) | instskip(NEXT) | instid1(VALU_DEP_3)
	v_cmp_lt_u16_e64 s10, v27, v26
                                        ; implicit-def: $vgpr26
	v_cmp_ge_i32_e64 s8, v18, v0
	s_delay_alu instid0(VALU_DEP_3) | instskip(NEXT) | instid1(VALU_DEP_2)
	v_cmp_lt_i32_e64 s11, v20, v3
	s_or_b32 s8, s8, s10
	s_delay_alu instid0(VALU_DEP_1) | instid1(SALU_CYCLE_1)
	s_and_b32 s8, s11, s8
	s_delay_alu instid0(SALU_CYCLE_1) | instskip(NEXT) | instid1(SALU_CYCLE_1)
	s_xor_b32 s10, s8, -1
	s_and_saveexec_b32 s11, s10
	s_delay_alu instid0(SALU_CYCLE_1)
	s_xor_b32 s10, exec_lo, s11
	s_cbranch_execz .LBB131_160
; %bb.159:
	v_add_nc_u32_e32 v26, v7, v18
	ds_load_u8 v26, v26 offset:1
.LBB131_160:
	s_or_saveexec_b32 s10, s10
	v_mov_b32_e32 v27, v25
	s_xor_b32 exec_lo, exec_lo, s10
	s_cbranch_execz .LBB131_162
; %bb.161:
	s_waitcnt lgkmcnt(0)
	v_add_nc_u32_e32 v26, v7, v20
	ds_load_u8 v27, v26 offset:1
	v_mov_b32_e32 v26, v24
.LBB131_162:
	s_or_b32 exec_lo, exec_lo, s10
	v_add_nc_u32_e32 v28, 1, v18
	v_add_nc_u32_e32 v29, 1, v20
	s_waitcnt lgkmcnt(0)
	v_and_b32_e32 v30, 0xff, v26
	v_and_b32_e32 v31, 0xff, v27
	v_cndmask_b32_e64 v28, v28, v18, s8
	v_cndmask_b32_e64 v29, v20, v29, s8
	s_delay_alu instid0(VALU_DEP_3) | instskip(NEXT) | instid1(VALU_DEP_3)
	v_cmp_lt_u16_e64 s11, v31, v30
                                        ; implicit-def: $vgpr30
	v_cmp_ge_i32_e64 s10, v28, v0
	s_delay_alu instid0(VALU_DEP_3) | instskip(NEXT) | instid1(VALU_DEP_2)
	v_cmp_lt_i32_e64 s12, v29, v3
	s_or_b32 s10, s10, s11
	s_delay_alu instid0(VALU_DEP_1) | instid1(SALU_CYCLE_1)
	s_and_b32 s10, s12, s10
	s_delay_alu instid0(SALU_CYCLE_1) | instskip(NEXT) | instid1(SALU_CYCLE_1)
	s_xor_b32 s11, s10, -1
	s_and_saveexec_b32 s12, s11
	s_delay_alu instid0(SALU_CYCLE_1)
	s_xor_b32 s11, exec_lo, s12
	s_cbranch_execz .LBB131_164
; %bb.163:
	v_add_nc_u32_e32 v30, v7, v28
	ds_load_u8 v30, v30 offset:1
.LBB131_164:
	s_or_saveexec_b32 s11, s11
	v_mov_b32_e32 v31, v27
	s_xor_b32 exec_lo, exec_lo, s11
	s_cbranch_execz .LBB131_166
; %bb.165:
	s_waitcnt lgkmcnt(0)
	v_add_nc_u32_e32 v30, v7, v29
	ds_load_u8 v31, v30 offset:1
	v_mov_b32_e32 v30, v26
.LBB131_166:
	s_or_b32 exec_lo, exec_lo, s11
	v_add_nc_u32_e32 v32, 1, v28
	v_add_nc_u32_e32 v33, 1, v29
	s_waitcnt lgkmcnt(0)
	v_and_b32_e32 v34, 0xff, v30
	v_and_b32_e32 v35, 0xff, v31
	v_cndmask_b32_e64 v32, v32, v28, s10
	v_cndmask_b32_e64 v33, v29, v33, s10
	s_delay_alu instid0(VALU_DEP_3) | instskip(NEXT) | instid1(VALU_DEP_3)
	v_cmp_lt_u16_e64 s12, v35, v34
                                        ; implicit-def: $vgpr35
	v_cmp_ge_i32_e64 s11, v32, v0
	s_delay_alu instid0(VALU_DEP_3) | instskip(NEXT) | instid1(VALU_DEP_2)
	v_cmp_lt_i32_e64 s13, v33, v3
	s_or_b32 s11, s11, s12
	s_delay_alu instid0(VALU_DEP_1) | instid1(SALU_CYCLE_1)
	s_and_b32 s11, s13, s11
	s_delay_alu instid0(SALU_CYCLE_1) | instskip(NEXT) | instid1(SALU_CYCLE_1)
	s_xor_b32 s12, s11, -1
	s_and_saveexec_b32 s13, s12
	s_delay_alu instid0(SALU_CYCLE_1)
	s_xor_b32 s12, exec_lo, s13
	s_cbranch_execz .LBB131_168
; %bb.167:
	v_add_nc_u32_e32 v34, v7, v32
	ds_load_u8 v35, v34 offset:1
.LBB131_168:
	s_or_saveexec_b32 s12, s12
	v_mov_b32_e32 v36, v31
	s_xor_b32 exec_lo, exec_lo, s12
	s_cbranch_execz .LBB131_170
; %bb.169:
	s_waitcnt lgkmcnt(0)
	v_dual_mov_b32 v35, v30 :: v_dual_add_nc_u32 v34, v7, v33
	ds_load_u8 v36, v34 offset:1
.LBB131_170:
	s_or_b32 exec_lo, exec_lo, s12
	v_add_nc_u32_e32 v34, 1, v32
	v_add_nc_u32_e32 v37, 1, v33
	s_waitcnt lgkmcnt(0)
	v_and_b32_e32 v38, 0xff, v35
                                        ; implicit-def: $vgpr43
	s_delay_alu instid0(VALU_DEP_3) | instskip(SKIP_2) | instid1(VALU_DEP_3)
	v_cndmask_b32_e64 v40, v34, v32, s11
	v_and_b32_e32 v34, 0xff, v36
	v_cndmask_b32_e64 v41, v33, v37, s11
	v_cmp_ge_i32_e64 s12, v40, v0
	s_delay_alu instid0(VALU_DEP_3) | instskip(NEXT) | instid1(VALU_DEP_3)
	v_cmp_lt_u16_e64 s13, v34, v38
	v_cmp_lt_i32_e64 s14, v41, v3
	s_delay_alu instid0(VALU_DEP_2)
	s_or_b32 s12, s12, s13
	s_delay_alu instid0(VALU_DEP_1) | instid1(SALU_CYCLE_1)
	s_and_b32 s12, s14, s12
	s_delay_alu instid0(SALU_CYCLE_1) | instskip(NEXT) | instid1(SALU_CYCLE_1)
	s_xor_b32 s13, s12, -1
	s_and_saveexec_b32 s14, s13
	s_delay_alu instid0(SALU_CYCLE_1)
	s_xor_b32 s13, exec_lo, s14
	s_cbranch_execz .LBB131_172
; %bb.171:
	v_add_nc_u32_e32 v34, v7, v40
	ds_load_u8 v43, v34 offset:1
.LBB131_172:
	s_or_saveexec_b32 s13, s13
	v_mov_b32_e32 v44, v36
	s_xor_b32 exec_lo, exec_lo, s13
	s_cbranch_execz .LBB131_174
; %bb.173:
	v_add_nc_u32_e32 v34, v7, v41
	s_waitcnt lgkmcnt(0)
	v_mov_b32_e32 v43, v35
	ds_load_u8 v44, v34 offset:1
.LBB131_174:
	s_or_b32 exec_lo, exec_lo, s13
	v_add_nc_u32_e32 v34, 1, v40
	v_add_nc_u32_e32 v37, 1, v41
	s_waitcnt lgkmcnt(0)
	v_and_b32_e32 v38, 0xff, v43
	v_and_b32_e32 v39, 0xff, v44
	v_cndmask_b32_e64 v45, v34, v40, s12
	v_cndmask_b32_e64 v34, v41, v37, s12
                                        ; implicit-def: $vgpr37
	s_delay_alu instid0(VALU_DEP_3) | instskip(NEXT) | instid1(VALU_DEP_3)
	v_cmp_lt_u16_e64 s14, v39, v38
                                        ; implicit-def: $vgpr38
	v_cmp_ge_i32_e64 s13, v45, v0
	s_delay_alu instid0(VALU_DEP_3) | instskip(NEXT) | instid1(VALU_DEP_2)
	v_cmp_lt_i32_e64 s15, v34, v3
	s_or_b32 s13, s13, s14
	s_delay_alu instid0(VALU_DEP_1) | instid1(SALU_CYCLE_1)
	s_and_b32 s13, s15, s13
	s_delay_alu instid0(SALU_CYCLE_1) | instskip(NEXT) | instid1(SALU_CYCLE_1)
	s_xor_b32 s14, s13, -1
	s_and_saveexec_b32 s15, s14
	s_delay_alu instid0(SALU_CYCLE_1)
	s_xor_b32 s14, exec_lo, s15
	s_cbranch_execz .LBB131_176
; %bb.175:
	v_add_nc_u32_e32 v37, v7, v45
	ds_load_u8 v38, v37 offset:1
	v_add_nc_u32_e32 v37, 1, v45
.LBB131_176:
	s_or_saveexec_b32 s14, s14
	v_dual_mov_b32 v39, v45 :: v_dual_mov_b32 v42, v44
	s_xor_b32 exec_lo, exec_lo, s14
	s_cbranch_execz .LBB131_178
; %bb.177:
	s_waitcnt lgkmcnt(0)
	v_dual_mov_b32 v39, v34 :: v_dual_add_nc_u32 v38, 1, v34
	s_delay_alu instid0(VALU_DEP_1)
	v_dual_mov_b32 v34, v38 :: v_dual_add_nc_u32 v37, v7, v34
	v_mov_b32_e32 v38, v43
	ds_load_u8 v42, v37 offset:1
	v_mov_b32_e32 v37, v45
.LBB131_178:
	s_or_b32 exec_lo, exec_lo, s14
	v_lshlrev_b16 v14, 8, v14
	v_and_b32_e32 v12, 0xff, v12
	v_lshlrev_b16 v13, 8, v13
	v_and_b32_e32 v11, 0xff, v11
	;; [unrolled: 2-line block ×4, first 2 shown]
	v_or_b32_e32 v12, v12, v14
	v_or_b32_e32 v11, v11, v13
	;; [unrolled: 1-line block ×3, first 2 shown]
	v_cndmask_b32_e64 v6, v6, v15, s7
	v_or_b32_e32 v1, v1, v9
	v_and_b32_e32 v10, 0xffff, v12
	v_lshlrev_b32_e32 v11, 16, v11
	v_and_b32_e32 v8, 0xffff, v8
	v_cndmask_b32_e64 v16, v16, v17, s7
	v_lshlrev_b32_e32 v12, 16, v1
	v_cndmask_b32_e64 v17, v21, v19, s9
	v_cndmask_b32_e64 v22, v22, v23, s9
	v_cmp_lt_i32_e64 s7, v34, v3
	v_cmp_ge_i32_e64 s9, v37, v0
	v_or_b32_e32 v1, v10, v11
	v_or_b32_e32 v0, v8, v12
	v_add_nc_u32_e32 v3, v7, v6
	; wave barrier
	s_waitcnt lgkmcnt(0)
	v_and_b32_e32 v9, 0xff, v38
	ds_store_b64 v2, v[0:1]
	; wave barrier
	ds_load_u8 v0, v3
	v_and_b32_e32 v13, 0xff, v42
	v_cndmask_b32_e64 v21, v26, v27, s10
	v_cndmask_b32_e64 v28, v28, v29, s10
	v_cndmask_b32_e64 v1, v18, v20, s8
	v_cndmask_b32_e64 v19, v24, v25, s8
	v_cmp_lt_u16_e64 s10, v13, v9
	v_cndmask_b32_e64 v24, v30, v31, s11
	v_cndmask_b32_e64 v30, v32, v33, s11
	;; [unrolled: 1-line block ×3, first 2 shown]
	v_add_nc_u32_e32 v6, v7, v22
	s_or_b32 s9, s9, s10
	v_add_nc_u32_e32 v1, v7, v1
	s_and_b32 s7, s7, s9
	v_add_nc_u32_e32 v8, v7, v28
	v_cndmask_b32_e64 v3, v37, v34, s7
	v_add_nc_u32_e32 v9, v7, v30
	v_add_nc_u32_e32 v10, v7, v27
	;; [unrolled: 1-line block ×3, first 2 shown]
	v_and_b32_e32 v12, 0xff, v16
	s_waitcnt lgkmcnt(0)
	v_add_nc_u16 v0, v0, v16
	v_add_nc_u32_e32 v3, v7, v3
	ds_load_u8 v6, v6
	ds_load_u8 v1, v1
	;; [unrolled: 1-line block ×7, first 2 shown]
	v_lshlrev_b16 v11, 8, v17
	v_lshlrev_b16 v13, 8, v21
	v_and_b32_e32 v14, 0xff, v19
	v_and_b32_e32 v0, 0xff, v0
	v_cndmask_b32_e64 v25, v35, v36, s12
	v_cndmask_b32_e64 v26, v43, v44, s13
	;; [unrolled: 1-line block ×3, first 2 shown]
	v_or_b32_e32 v12, v12, v11
	v_or_b32_e32 v13, v14, v13
	;; [unrolled: 1-line block ×3, first 2 shown]
	v_lshlrev_b16 v15, 8, v25
	v_and_b32_e32 v16, 0xff, v24
	v_and_b32_e32 v11, 0xff, v26
	v_lshlrev_b16 v2, 8, v2
	v_and_b32_e32 v12, 0xffff, v12
	v_lshlrev_b32_e32 v13, 16, v13
	v_and_b32_e32 v0, 0xffff, v0
	v_or_b32_e32 v14, v16, v15
	v_or_b32_e32 v2, v11, v2
	v_add_co_u32 v5, s7, s18, v5
	v_or_b32_e32 v11, v12, v13
	v_or_b32_e32 v0, v0, v13
	v_and_b32_e32 v12, 0xffff, v14
	v_lshlrev_b32_e32 v2, 16, v2
	s_waitcnt lgkmcnt(3)
	v_add_nc_u16 v8, v14, v8
	v_cndmask_b32_e32 v0, v11, v0, vcc_lo
	s_delay_alu instid0(VALU_DEP_3) | instskip(NEXT) | instid1(VALU_DEP_2)
	v_or_b32_e32 v2, v12, v2
	v_lshrrev_b32_e32 v11, 8, v0
	s_delay_alu instid0(VALU_DEP_2) | instskip(NEXT) | instid1(VALU_DEP_2)
	v_perm_b32 v8, v8, v2, 0x3020104
	v_add_nc_u16 v6, v11, v6
	s_delay_alu instid0(VALU_DEP_2) | instskip(SKIP_1) | instid1(VALU_DEP_3)
	v_cndmask_b32_e64 v2, v2, v8, s3
	v_and_b32_e32 v8, 0xff, v0
	v_lshlrev_b16 v6, 8, v6
	s_delay_alu instid0(VALU_DEP_3) | instskip(NEXT) | instid1(VALU_DEP_2)
	v_lshrrev_b32_e32 v11, 8, v2
	v_or_b32_e32 v6, v8, v6
	s_waitcnt lgkmcnt(2)
	s_delay_alu instid0(VALU_DEP_2) | instskip(SKIP_1) | instid1(VALU_DEP_3)
	v_add_nc_u16 v8, v11, v9
	v_and_b32_e32 v9, 0xff, v2
	v_and_b32_e32 v6, 0xffff, v6
	s_delay_alu instid0(VALU_DEP_3) | instskip(NEXT) | instid1(VALU_DEP_2)
	v_lshlrev_b16 v8, 8, v8
	v_and_or_b32 v6, 0xffff0000, v0, v6
	s_delay_alu instid0(VALU_DEP_2) | instskip(NEXT) | instid1(VALU_DEP_2)
	v_or_b32_e32 v8, v9, v8
	v_cndmask_b32_e64 v0, v0, v6, s0
	s_delay_alu instid0(VALU_DEP_2) | instskip(NEXT) | instid1(VALU_DEP_2)
	v_and_b32_e32 v6, 0xffff, v8
	v_lshrrev_b32_e32 v8, 16, v0
	s_delay_alu instid0(VALU_DEP_2) | instskip(NEXT) | instid1(VALU_DEP_2)
	v_and_or_b32 v6, 0xffff0000, v2, v6
	v_add_nc_u16 v1, v8, v1
	s_delay_alu instid0(VALU_DEP_2) | instskip(SKIP_1) | instid1(VALU_DEP_3)
	v_cndmask_b32_e64 v2, v2, v6, s4
	v_and_b32_e32 v6, 0xffffff00, v8
	v_and_b32_e32 v1, 0xff, v1
	s_delay_alu instid0(VALU_DEP_3) | instskip(NEXT) | instid1(VALU_DEP_2)
	v_lshrrev_b32_e32 v8, 16, v2
	v_or_b32_e32 v1, v1, v6
	s_waitcnt lgkmcnt(1)
	s_delay_alu instid0(VALU_DEP_2) | instskip(NEXT) | instid1(VALU_DEP_2)
	v_add_nc_u16 v6, v8, v10
	v_lshlrev_b32_e32 v1, 16, v1
	s_delay_alu instid0(VALU_DEP_2) | instskip(NEXT) | instid1(VALU_DEP_2)
	v_perm_b32 v6, v2, v6, 0x7000504
	v_and_or_b32 v1, 0xffff, v0, v1
	s_delay_alu instid0(VALU_DEP_2) | instskip(NEXT) | instid1(VALU_DEP_2)
	v_cndmask_b32_e64 v2, v2, v6, s5
	v_cndmask_b32_e64 v0, v0, v1, s1
	s_delay_alu instid0(VALU_DEP_2) | instskip(SKIP_1) | instid1(VALU_DEP_3)
	v_lshrrev_b32_e32 v1, 24, v2
	v_lshrrev_b32_e32 v8, 16, v2
	v_lshrrev_b32_e32 v6, 24, v0
	s_waitcnt lgkmcnt(0)
	s_delay_alu instid0(VALU_DEP_3) | instskip(SKIP_1) | instid1(VALU_DEP_3)
	v_add_nc_u16 v1, v1, v3
	v_lshrrev_b32_e32 v3, 16, v0
	v_add_nc_u16 v6, v6, v7
	v_and_b32_e32 v7, 0xff, v8
	s_delay_alu instid0(VALU_DEP_4) | instskip(NEXT) | instid1(VALU_DEP_4)
	v_lshlrev_b16 v1, 8, v1
	v_and_b32_e32 v3, 0xff, v3
	s_delay_alu instid0(VALU_DEP_4) | instskip(NEXT) | instid1(VALU_DEP_3)
	v_lshlrev_b16 v6, 8, v6
	v_or_b32_e32 v1, v7, v1
	s_delay_alu instid0(VALU_DEP_2) | instskip(SKIP_1) | instid1(VALU_DEP_3)
	v_or_b32_e32 v3, v3, v6
	v_add_co_ci_u32_e64 v6, null, s19, 0, s7
	v_lshlrev_b32_e32 v1, 16, v1
	s_delay_alu instid0(VALU_DEP_3) | instskip(NEXT) | instid1(VALU_DEP_2)
	v_lshlrev_b32_e32 v3, 16, v3
	v_and_or_b32 v1, 0xffff, v2, v1
	s_delay_alu instid0(VALU_DEP_2) | instskip(NEXT) | instid1(VALU_DEP_2)
	v_and_or_b32 v3, 0xffff, v0, v3
	v_cndmask_b32_e64 v2, v2, v1, s6
	s_delay_alu instid0(VALU_DEP_2) | instskip(SKIP_1) | instid1(VALU_DEP_1)
	v_cndmask_b32_e64 v3, v0, v3, s2
	v_add_co_u32 v0, s7, v5, v4
	v_add_co_ci_u32_e64 v1, s7, 0, v6, s7
	s_and_saveexec_b32 s7, vcc_lo
	s_cbranch_execnz .LBB131_187
; %bb.179:
	s_or_b32 exec_lo, exec_lo, s7
	s_and_saveexec_b32 s7, s0
	s_cbranch_execnz .LBB131_188
.LBB131_180:
	s_or_b32 exec_lo, exec_lo, s7
	s_and_saveexec_b32 s0, s1
	s_cbranch_execnz .LBB131_189
.LBB131_181:
	s_or_b32 exec_lo, exec_lo, s0
	s_and_saveexec_b32 s0, s2
	s_cbranch_execnz .LBB131_190
.LBB131_182:
	s_or_b32 exec_lo, exec_lo, s0
	s_and_saveexec_b32 s0, s3
	s_cbranch_execnz .LBB131_191
.LBB131_183:
	s_or_b32 exec_lo, exec_lo, s0
	s_and_saveexec_b32 s0, s4
	s_cbranch_execnz .LBB131_192
.LBB131_184:
	s_or_b32 exec_lo, exec_lo, s0
	s_and_saveexec_b32 s0, s5
	s_cbranch_execnz .LBB131_193
.LBB131_185:
	s_or_b32 exec_lo, exec_lo, s0
	s_and_saveexec_b32 s0, s6
	s_cbranch_execnz .LBB131_194
.LBB131_186:
	s_nop 0
	s_sendmsg sendmsg(MSG_DEALLOC_VGPRS)
	s_endpgm
.LBB131_187:
	global_store_b8 v[0:1], v3, off
	s_or_b32 exec_lo, exec_lo, s7
	s_and_saveexec_b32 s7, s0
	s_cbranch_execz .LBB131_180
.LBB131_188:
	v_lshrrev_b32_e32 v4, 8, v3
	global_store_b8 v[0:1], v4, off offset:1
	s_or_b32 exec_lo, exec_lo, s7
	s_and_saveexec_b32 s0, s1
	s_cbranch_execz .LBB131_181
.LBB131_189:
	global_store_d16_hi_b8 v[0:1], v3, off offset:2
	s_or_b32 exec_lo, exec_lo, s0
	s_and_saveexec_b32 s0, s2
	s_cbranch_execz .LBB131_182
.LBB131_190:
	v_lshrrev_b32_e32 v3, 24, v3
	global_store_b8 v[0:1], v3, off offset:3
	s_or_b32 exec_lo, exec_lo, s0
	s_and_saveexec_b32 s0, s3
	s_cbranch_execz .LBB131_183
.LBB131_191:
	global_store_b8 v[0:1], v2, off offset:4
	s_or_b32 exec_lo, exec_lo, s0
	s_and_saveexec_b32 s0, s4
	s_cbranch_execz .LBB131_184
.LBB131_192:
	v_lshrrev_b32_e32 v3, 8, v2
	global_store_b8 v[0:1], v3, off offset:5
	s_or_b32 exec_lo, exec_lo, s0
	s_and_saveexec_b32 s0, s5
	s_cbranch_execz .LBB131_185
.LBB131_193:
	global_store_d16_hi_b8 v[0:1], v2, off offset:6
	s_or_b32 exec_lo, exec_lo, s0
	s_and_saveexec_b32 s0, s6
	s_cbranch_execz .LBB131_186
.LBB131_194:
	v_lshrrev_b32_e32 v2, 24, v2
	global_store_b8 v[0:1], v2, off offset:7
	s_nop 0
	s_sendmsg sendmsg(MSG_DEALLOC_VGPRS)
	s_endpgm
	.section	.rodata,"a",@progbits
	.p2align	6, 0x0
	.amdhsa_kernel _Z20sort_pairs_segmentedILj256ELj32ELj8EhN10test_utils4lessEEvPKT2_PS2_PKjT3_
		.amdhsa_group_segment_fixed_size 2056
		.amdhsa_private_segment_fixed_size 0
		.amdhsa_kernarg_size 28
		.amdhsa_user_sgpr_count 15
		.amdhsa_user_sgpr_dispatch_ptr 0
		.amdhsa_user_sgpr_queue_ptr 0
		.amdhsa_user_sgpr_kernarg_segment_ptr 1
		.amdhsa_user_sgpr_dispatch_id 0
		.amdhsa_user_sgpr_private_segment_size 0
		.amdhsa_wavefront_size32 1
		.amdhsa_uses_dynamic_stack 0
		.amdhsa_enable_private_segment 0
		.amdhsa_system_sgpr_workgroup_id_x 1
		.amdhsa_system_sgpr_workgroup_id_y 0
		.amdhsa_system_sgpr_workgroup_id_z 0
		.amdhsa_system_sgpr_workgroup_info 0
		.amdhsa_system_vgpr_workitem_id 0
		.amdhsa_next_free_vgpr 47
		.amdhsa_next_free_sgpr 20
		.amdhsa_reserve_vcc 1
		.amdhsa_float_round_mode_32 0
		.amdhsa_float_round_mode_16_64 0
		.amdhsa_float_denorm_mode_32 3
		.amdhsa_float_denorm_mode_16_64 3
		.amdhsa_dx10_clamp 1
		.amdhsa_ieee_mode 1
		.amdhsa_fp16_overflow 0
		.amdhsa_workgroup_processor_mode 1
		.amdhsa_memory_ordered 1
		.amdhsa_forward_progress 0
		.amdhsa_shared_vgpr_count 0
		.amdhsa_exception_fp_ieee_invalid_op 0
		.amdhsa_exception_fp_denorm_src 0
		.amdhsa_exception_fp_ieee_div_zero 0
		.amdhsa_exception_fp_ieee_overflow 0
		.amdhsa_exception_fp_ieee_underflow 0
		.amdhsa_exception_fp_ieee_inexact 0
		.amdhsa_exception_int_div_zero 0
	.end_amdhsa_kernel
	.section	.text._Z20sort_pairs_segmentedILj256ELj32ELj8EhN10test_utils4lessEEvPKT2_PS2_PKjT3_,"axG",@progbits,_Z20sort_pairs_segmentedILj256ELj32ELj8EhN10test_utils4lessEEvPKT2_PS2_PKjT3_,comdat
.Lfunc_end131:
	.size	_Z20sort_pairs_segmentedILj256ELj32ELj8EhN10test_utils4lessEEvPKT2_PS2_PKjT3_, .Lfunc_end131-_Z20sort_pairs_segmentedILj256ELj32ELj8EhN10test_utils4lessEEvPKT2_PS2_PKjT3_
                                        ; -- End function
	.section	.AMDGPU.csdata,"",@progbits
; Kernel info:
; codeLenInByte = 14420
; NumSgprs: 22
; NumVgprs: 47
; ScratchSize: 0
; MemoryBound: 0
; FloatMode: 240
; IeeeMode: 1
; LDSByteSize: 2056 bytes/workgroup (compile time only)
; SGPRBlocks: 2
; VGPRBlocks: 5
; NumSGPRsForWavesPerEU: 22
; NumVGPRsForWavesPerEU: 47
; Occupancy: 16
; WaveLimiterHint : 0
; COMPUTE_PGM_RSRC2:SCRATCH_EN: 0
; COMPUTE_PGM_RSRC2:USER_SGPR: 15
; COMPUTE_PGM_RSRC2:TRAP_HANDLER: 0
; COMPUTE_PGM_RSRC2:TGID_X_EN: 1
; COMPUTE_PGM_RSRC2:TGID_Y_EN: 0
; COMPUTE_PGM_RSRC2:TGID_Z_EN: 0
; COMPUTE_PGM_RSRC2:TIDIG_COMP_CNT: 0
	.section	.text._Z9sort_keysILj256ELj64ELj1EhN10test_utils4lessEEvPKT2_PS2_T3_,"axG",@progbits,_Z9sort_keysILj256ELj64ELj1EhN10test_utils4lessEEvPKT2_PS2_T3_,comdat
	.protected	_Z9sort_keysILj256ELj64ELj1EhN10test_utils4lessEEvPKT2_PS2_T3_ ; -- Begin function _Z9sort_keysILj256ELj64ELj1EhN10test_utils4lessEEvPKT2_PS2_T3_
	.globl	_Z9sort_keysILj256ELj64ELj1EhN10test_utils4lessEEvPKT2_PS2_T3_
	.p2align	8
	.type	_Z9sort_keysILj256ELj64ELj1EhN10test_utils4lessEEvPKT2_PS2_T3_,@function
_Z9sort_keysILj256ELj64ELj1EhN10test_utils4lessEEvPKT2_PS2_T3_: ; @_Z9sort_keysILj256ELj64ELj1EhN10test_utils4lessEEvPKT2_PS2_T3_
; %bb.0:
	s_endpgm
	.section	.rodata,"a",@progbits
	.p2align	6, 0x0
	.amdhsa_kernel _Z9sort_keysILj256ELj64ELj1EhN10test_utils4lessEEvPKT2_PS2_T3_
		.amdhsa_group_segment_fixed_size 0
		.amdhsa_private_segment_fixed_size 0
		.amdhsa_kernarg_size 20
		.amdhsa_user_sgpr_count 15
		.amdhsa_user_sgpr_dispatch_ptr 0
		.amdhsa_user_sgpr_queue_ptr 0
		.amdhsa_user_sgpr_kernarg_segment_ptr 1
		.amdhsa_user_sgpr_dispatch_id 0
		.amdhsa_user_sgpr_private_segment_size 0
		.amdhsa_wavefront_size32 1
		.amdhsa_uses_dynamic_stack 0
		.amdhsa_enable_private_segment 0
		.amdhsa_system_sgpr_workgroup_id_x 1
		.amdhsa_system_sgpr_workgroup_id_y 0
		.amdhsa_system_sgpr_workgroup_id_z 0
		.amdhsa_system_sgpr_workgroup_info 0
		.amdhsa_system_vgpr_workitem_id 0
		.amdhsa_next_free_vgpr 1
		.amdhsa_next_free_sgpr 1
		.amdhsa_reserve_vcc 0
		.amdhsa_float_round_mode_32 0
		.amdhsa_float_round_mode_16_64 0
		.amdhsa_float_denorm_mode_32 3
		.amdhsa_float_denorm_mode_16_64 3
		.amdhsa_dx10_clamp 1
		.amdhsa_ieee_mode 1
		.amdhsa_fp16_overflow 0
		.amdhsa_workgroup_processor_mode 1
		.amdhsa_memory_ordered 1
		.amdhsa_forward_progress 0
		.amdhsa_shared_vgpr_count 0
		.amdhsa_exception_fp_ieee_invalid_op 0
		.amdhsa_exception_fp_denorm_src 0
		.amdhsa_exception_fp_ieee_div_zero 0
		.amdhsa_exception_fp_ieee_overflow 0
		.amdhsa_exception_fp_ieee_underflow 0
		.amdhsa_exception_fp_ieee_inexact 0
		.amdhsa_exception_int_div_zero 0
	.end_amdhsa_kernel
	.section	.text._Z9sort_keysILj256ELj64ELj1EhN10test_utils4lessEEvPKT2_PS2_T3_,"axG",@progbits,_Z9sort_keysILj256ELj64ELj1EhN10test_utils4lessEEvPKT2_PS2_T3_,comdat
.Lfunc_end132:
	.size	_Z9sort_keysILj256ELj64ELj1EhN10test_utils4lessEEvPKT2_PS2_T3_, .Lfunc_end132-_Z9sort_keysILj256ELj64ELj1EhN10test_utils4lessEEvPKT2_PS2_T3_
                                        ; -- End function
	.section	.AMDGPU.csdata,"",@progbits
; Kernel info:
; codeLenInByte = 4
; NumSgprs: 0
; NumVgprs: 0
; ScratchSize: 0
; MemoryBound: 0
; FloatMode: 240
; IeeeMode: 1
; LDSByteSize: 0 bytes/workgroup (compile time only)
; SGPRBlocks: 0
; VGPRBlocks: 0
; NumSGPRsForWavesPerEU: 1
; NumVGPRsForWavesPerEU: 1
; Occupancy: 16
; WaveLimiterHint : 0
; COMPUTE_PGM_RSRC2:SCRATCH_EN: 0
; COMPUTE_PGM_RSRC2:USER_SGPR: 15
; COMPUTE_PGM_RSRC2:TRAP_HANDLER: 0
; COMPUTE_PGM_RSRC2:TGID_X_EN: 1
; COMPUTE_PGM_RSRC2:TGID_Y_EN: 0
; COMPUTE_PGM_RSRC2:TGID_Z_EN: 0
; COMPUTE_PGM_RSRC2:TIDIG_COMP_CNT: 0
	.section	.text._Z10sort_pairsILj256ELj64ELj1EhN10test_utils4lessEEvPKT2_PS2_T3_,"axG",@progbits,_Z10sort_pairsILj256ELj64ELj1EhN10test_utils4lessEEvPKT2_PS2_T3_,comdat
	.protected	_Z10sort_pairsILj256ELj64ELj1EhN10test_utils4lessEEvPKT2_PS2_T3_ ; -- Begin function _Z10sort_pairsILj256ELj64ELj1EhN10test_utils4lessEEvPKT2_PS2_T3_
	.globl	_Z10sort_pairsILj256ELj64ELj1EhN10test_utils4lessEEvPKT2_PS2_T3_
	.p2align	8
	.type	_Z10sort_pairsILj256ELj64ELj1EhN10test_utils4lessEEvPKT2_PS2_T3_,@function
_Z10sort_pairsILj256ELj64ELj1EhN10test_utils4lessEEvPKT2_PS2_T3_: ; @_Z10sort_pairsILj256ELj64ELj1EhN10test_utils4lessEEvPKT2_PS2_T3_
; %bb.0:
	s_endpgm
	.section	.rodata,"a",@progbits
	.p2align	6, 0x0
	.amdhsa_kernel _Z10sort_pairsILj256ELj64ELj1EhN10test_utils4lessEEvPKT2_PS2_T3_
		.amdhsa_group_segment_fixed_size 0
		.amdhsa_private_segment_fixed_size 0
		.amdhsa_kernarg_size 20
		.amdhsa_user_sgpr_count 15
		.amdhsa_user_sgpr_dispatch_ptr 0
		.amdhsa_user_sgpr_queue_ptr 0
		.amdhsa_user_sgpr_kernarg_segment_ptr 1
		.amdhsa_user_sgpr_dispatch_id 0
		.amdhsa_user_sgpr_private_segment_size 0
		.amdhsa_wavefront_size32 1
		.amdhsa_uses_dynamic_stack 0
		.amdhsa_enable_private_segment 0
		.amdhsa_system_sgpr_workgroup_id_x 1
		.amdhsa_system_sgpr_workgroup_id_y 0
		.amdhsa_system_sgpr_workgroup_id_z 0
		.amdhsa_system_sgpr_workgroup_info 0
		.amdhsa_system_vgpr_workitem_id 0
		.amdhsa_next_free_vgpr 1
		.amdhsa_next_free_sgpr 1
		.amdhsa_reserve_vcc 0
		.amdhsa_float_round_mode_32 0
		.amdhsa_float_round_mode_16_64 0
		.amdhsa_float_denorm_mode_32 3
		.amdhsa_float_denorm_mode_16_64 3
		.amdhsa_dx10_clamp 1
		.amdhsa_ieee_mode 1
		.amdhsa_fp16_overflow 0
		.amdhsa_workgroup_processor_mode 1
		.amdhsa_memory_ordered 1
		.amdhsa_forward_progress 0
		.amdhsa_shared_vgpr_count 0
		.amdhsa_exception_fp_ieee_invalid_op 0
		.amdhsa_exception_fp_denorm_src 0
		.amdhsa_exception_fp_ieee_div_zero 0
		.amdhsa_exception_fp_ieee_overflow 0
		.amdhsa_exception_fp_ieee_underflow 0
		.amdhsa_exception_fp_ieee_inexact 0
		.amdhsa_exception_int_div_zero 0
	.end_amdhsa_kernel
	.section	.text._Z10sort_pairsILj256ELj64ELj1EhN10test_utils4lessEEvPKT2_PS2_T3_,"axG",@progbits,_Z10sort_pairsILj256ELj64ELj1EhN10test_utils4lessEEvPKT2_PS2_T3_,comdat
.Lfunc_end133:
	.size	_Z10sort_pairsILj256ELj64ELj1EhN10test_utils4lessEEvPKT2_PS2_T3_, .Lfunc_end133-_Z10sort_pairsILj256ELj64ELj1EhN10test_utils4lessEEvPKT2_PS2_T3_
                                        ; -- End function
	.section	.AMDGPU.csdata,"",@progbits
; Kernel info:
; codeLenInByte = 4
; NumSgprs: 0
; NumVgprs: 0
; ScratchSize: 0
; MemoryBound: 0
; FloatMode: 240
; IeeeMode: 1
; LDSByteSize: 0 bytes/workgroup (compile time only)
; SGPRBlocks: 0
; VGPRBlocks: 0
; NumSGPRsForWavesPerEU: 1
; NumVGPRsForWavesPerEU: 1
; Occupancy: 16
; WaveLimiterHint : 0
; COMPUTE_PGM_RSRC2:SCRATCH_EN: 0
; COMPUTE_PGM_RSRC2:USER_SGPR: 15
; COMPUTE_PGM_RSRC2:TRAP_HANDLER: 0
; COMPUTE_PGM_RSRC2:TGID_X_EN: 1
; COMPUTE_PGM_RSRC2:TGID_Y_EN: 0
; COMPUTE_PGM_RSRC2:TGID_Z_EN: 0
; COMPUTE_PGM_RSRC2:TIDIG_COMP_CNT: 0
	.section	.text._Z19sort_keys_segmentedILj256ELj64ELj1EhN10test_utils4lessEEvPKT2_PS2_PKjT3_,"axG",@progbits,_Z19sort_keys_segmentedILj256ELj64ELj1EhN10test_utils4lessEEvPKT2_PS2_PKjT3_,comdat
	.protected	_Z19sort_keys_segmentedILj256ELj64ELj1EhN10test_utils4lessEEvPKT2_PS2_PKjT3_ ; -- Begin function _Z19sort_keys_segmentedILj256ELj64ELj1EhN10test_utils4lessEEvPKT2_PS2_PKjT3_
	.globl	_Z19sort_keys_segmentedILj256ELj64ELj1EhN10test_utils4lessEEvPKT2_PS2_PKjT3_
	.p2align	8
	.type	_Z19sort_keys_segmentedILj256ELj64ELj1EhN10test_utils4lessEEvPKT2_PS2_PKjT3_,@function
_Z19sort_keys_segmentedILj256ELj64ELj1EhN10test_utils4lessEEvPKT2_PS2_PKjT3_: ; @_Z19sort_keys_segmentedILj256ELj64ELj1EhN10test_utils4lessEEvPKT2_PS2_PKjT3_
; %bb.0:
	s_endpgm
	.section	.rodata,"a",@progbits
	.p2align	6, 0x0
	.amdhsa_kernel _Z19sort_keys_segmentedILj256ELj64ELj1EhN10test_utils4lessEEvPKT2_PS2_PKjT3_
		.amdhsa_group_segment_fixed_size 0
		.amdhsa_private_segment_fixed_size 0
		.amdhsa_kernarg_size 28
		.amdhsa_user_sgpr_count 15
		.amdhsa_user_sgpr_dispatch_ptr 0
		.amdhsa_user_sgpr_queue_ptr 0
		.amdhsa_user_sgpr_kernarg_segment_ptr 1
		.amdhsa_user_sgpr_dispatch_id 0
		.amdhsa_user_sgpr_private_segment_size 0
		.amdhsa_wavefront_size32 1
		.amdhsa_uses_dynamic_stack 0
		.amdhsa_enable_private_segment 0
		.amdhsa_system_sgpr_workgroup_id_x 1
		.amdhsa_system_sgpr_workgroup_id_y 0
		.amdhsa_system_sgpr_workgroup_id_z 0
		.amdhsa_system_sgpr_workgroup_info 0
		.amdhsa_system_vgpr_workitem_id 0
		.amdhsa_next_free_vgpr 1
		.amdhsa_next_free_sgpr 1
		.amdhsa_reserve_vcc 0
		.amdhsa_float_round_mode_32 0
		.amdhsa_float_round_mode_16_64 0
		.amdhsa_float_denorm_mode_32 3
		.amdhsa_float_denorm_mode_16_64 3
		.amdhsa_dx10_clamp 1
		.amdhsa_ieee_mode 1
		.amdhsa_fp16_overflow 0
		.amdhsa_workgroup_processor_mode 1
		.amdhsa_memory_ordered 1
		.amdhsa_forward_progress 0
		.amdhsa_shared_vgpr_count 0
		.amdhsa_exception_fp_ieee_invalid_op 0
		.amdhsa_exception_fp_denorm_src 0
		.amdhsa_exception_fp_ieee_div_zero 0
		.amdhsa_exception_fp_ieee_overflow 0
		.amdhsa_exception_fp_ieee_underflow 0
		.amdhsa_exception_fp_ieee_inexact 0
		.amdhsa_exception_int_div_zero 0
	.end_amdhsa_kernel
	.section	.text._Z19sort_keys_segmentedILj256ELj64ELj1EhN10test_utils4lessEEvPKT2_PS2_PKjT3_,"axG",@progbits,_Z19sort_keys_segmentedILj256ELj64ELj1EhN10test_utils4lessEEvPKT2_PS2_PKjT3_,comdat
.Lfunc_end134:
	.size	_Z19sort_keys_segmentedILj256ELj64ELj1EhN10test_utils4lessEEvPKT2_PS2_PKjT3_, .Lfunc_end134-_Z19sort_keys_segmentedILj256ELj64ELj1EhN10test_utils4lessEEvPKT2_PS2_PKjT3_
                                        ; -- End function
	.section	.AMDGPU.csdata,"",@progbits
; Kernel info:
; codeLenInByte = 4
; NumSgprs: 0
; NumVgprs: 0
; ScratchSize: 0
; MemoryBound: 0
; FloatMode: 240
; IeeeMode: 1
; LDSByteSize: 0 bytes/workgroup (compile time only)
; SGPRBlocks: 0
; VGPRBlocks: 0
; NumSGPRsForWavesPerEU: 1
; NumVGPRsForWavesPerEU: 1
; Occupancy: 16
; WaveLimiterHint : 0
; COMPUTE_PGM_RSRC2:SCRATCH_EN: 0
; COMPUTE_PGM_RSRC2:USER_SGPR: 15
; COMPUTE_PGM_RSRC2:TRAP_HANDLER: 0
; COMPUTE_PGM_RSRC2:TGID_X_EN: 1
; COMPUTE_PGM_RSRC2:TGID_Y_EN: 0
; COMPUTE_PGM_RSRC2:TGID_Z_EN: 0
; COMPUTE_PGM_RSRC2:TIDIG_COMP_CNT: 0
	.section	.text._Z20sort_pairs_segmentedILj256ELj64ELj1EhN10test_utils4lessEEvPKT2_PS2_PKjT3_,"axG",@progbits,_Z20sort_pairs_segmentedILj256ELj64ELj1EhN10test_utils4lessEEvPKT2_PS2_PKjT3_,comdat
	.protected	_Z20sort_pairs_segmentedILj256ELj64ELj1EhN10test_utils4lessEEvPKT2_PS2_PKjT3_ ; -- Begin function _Z20sort_pairs_segmentedILj256ELj64ELj1EhN10test_utils4lessEEvPKT2_PS2_PKjT3_
	.globl	_Z20sort_pairs_segmentedILj256ELj64ELj1EhN10test_utils4lessEEvPKT2_PS2_PKjT3_
	.p2align	8
	.type	_Z20sort_pairs_segmentedILj256ELj64ELj1EhN10test_utils4lessEEvPKT2_PS2_PKjT3_,@function
_Z20sort_pairs_segmentedILj256ELj64ELj1EhN10test_utils4lessEEvPKT2_PS2_PKjT3_: ; @_Z20sort_pairs_segmentedILj256ELj64ELj1EhN10test_utils4lessEEvPKT2_PS2_PKjT3_
; %bb.0:
	s_endpgm
	.section	.rodata,"a",@progbits
	.p2align	6, 0x0
	.amdhsa_kernel _Z20sort_pairs_segmentedILj256ELj64ELj1EhN10test_utils4lessEEvPKT2_PS2_PKjT3_
		.amdhsa_group_segment_fixed_size 0
		.amdhsa_private_segment_fixed_size 0
		.amdhsa_kernarg_size 28
		.amdhsa_user_sgpr_count 15
		.amdhsa_user_sgpr_dispatch_ptr 0
		.amdhsa_user_sgpr_queue_ptr 0
		.amdhsa_user_sgpr_kernarg_segment_ptr 1
		.amdhsa_user_sgpr_dispatch_id 0
		.amdhsa_user_sgpr_private_segment_size 0
		.amdhsa_wavefront_size32 1
		.amdhsa_uses_dynamic_stack 0
		.amdhsa_enable_private_segment 0
		.amdhsa_system_sgpr_workgroup_id_x 1
		.amdhsa_system_sgpr_workgroup_id_y 0
		.amdhsa_system_sgpr_workgroup_id_z 0
		.amdhsa_system_sgpr_workgroup_info 0
		.amdhsa_system_vgpr_workitem_id 0
		.amdhsa_next_free_vgpr 1
		.amdhsa_next_free_sgpr 1
		.amdhsa_reserve_vcc 0
		.amdhsa_float_round_mode_32 0
		.amdhsa_float_round_mode_16_64 0
		.amdhsa_float_denorm_mode_32 3
		.amdhsa_float_denorm_mode_16_64 3
		.amdhsa_dx10_clamp 1
		.amdhsa_ieee_mode 1
		.amdhsa_fp16_overflow 0
		.amdhsa_workgroup_processor_mode 1
		.amdhsa_memory_ordered 1
		.amdhsa_forward_progress 0
		.amdhsa_shared_vgpr_count 0
		.amdhsa_exception_fp_ieee_invalid_op 0
		.amdhsa_exception_fp_denorm_src 0
		.amdhsa_exception_fp_ieee_div_zero 0
		.amdhsa_exception_fp_ieee_overflow 0
		.amdhsa_exception_fp_ieee_underflow 0
		.amdhsa_exception_fp_ieee_inexact 0
		.amdhsa_exception_int_div_zero 0
	.end_amdhsa_kernel
	.section	.text._Z20sort_pairs_segmentedILj256ELj64ELj1EhN10test_utils4lessEEvPKT2_PS2_PKjT3_,"axG",@progbits,_Z20sort_pairs_segmentedILj256ELj64ELj1EhN10test_utils4lessEEvPKT2_PS2_PKjT3_,comdat
.Lfunc_end135:
	.size	_Z20sort_pairs_segmentedILj256ELj64ELj1EhN10test_utils4lessEEvPKT2_PS2_PKjT3_, .Lfunc_end135-_Z20sort_pairs_segmentedILj256ELj64ELj1EhN10test_utils4lessEEvPKT2_PS2_PKjT3_
                                        ; -- End function
	.section	.AMDGPU.csdata,"",@progbits
; Kernel info:
; codeLenInByte = 4
; NumSgprs: 0
; NumVgprs: 0
; ScratchSize: 0
; MemoryBound: 0
; FloatMode: 240
; IeeeMode: 1
; LDSByteSize: 0 bytes/workgroup (compile time only)
; SGPRBlocks: 0
; VGPRBlocks: 0
; NumSGPRsForWavesPerEU: 1
; NumVGPRsForWavesPerEU: 1
; Occupancy: 16
; WaveLimiterHint : 0
; COMPUTE_PGM_RSRC2:SCRATCH_EN: 0
; COMPUTE_PGM_RSRC2:USER_SGPR: 15
; COMPUTE_PGM_RSRC2:TRAP_HANDLER: 0
; COMPUTE_PGM_RSRC2:TGID_X_EN: 1
; COMPUTE_PGM_RSRC2:TGID_Y_EN: 0
; COMPUTE_PGM_RSRC2:TGID_Z_EN: 0
; COMPUTE_PGM_RSRC2:TIDIG_COMP_CNT: 0
	.section	.text._Z9sort_keysILj256ELj64ELj4EhN10test_utils4lessEEvPKT2_PS2_T3_,"axG",@progbits,_Z9sort_keysILj256ELj64ELj4EhN10test_utils4lessEEvPKT2_PS2_T3_,comdat
	.protected	_Z9sort_keysILj256ELj64ELj4EhN10test_utils4lessEEvPKT2_PS2_T3_ ; -- Begin function _Z9sort_keysILj256ELj64ELj4EhN10test_utils4lessEEvPKT2_PS2_T3_
	.globl	_Z9sort_keysILj256ELj64ELj4EhN10test_utils4lessEEvPKT2_PS2_T3_
	.p2align	8
	.type	_Z9sort_keysILj256ELj64ELj4EhN10test_utils4lessEEvPKT2_PS2_T3_,@function
_Z9sort_keysILj256ELj64ELj4EhN10test_utils4lessEEvPKT2_PS2_T3_: ; @_Z9sort_keysILj256ELj64ELj4EhN10test_utils4lessEEvPKT2_PS2_T3_
; %bb.0:
	s_endpgm
	.section	.rodata,"a",@progbits
	.p2align	6, 0x0
	.amdhsa_kernel _Z9sort_keysILj256ELj64ELj4EhN10test_utils4lessEEvPKT2_PS2_T3_
		.amdhsa_group_segment_fixed_size 0
		.amdhsa_private_segment_fixed_size 0
		.amdhsa_kernarg_size 20
		.amdhsa_user_sgpr_count 15
		.amdhsa_user_sgpr_dispatch_ptr 0
		.amdhsa_user_sgpr_queue_ptr 0
		.amdhsa_user_sgpr_kernarg_segment_ptr 1
		.amdhsa_user_sgpr_dispatch_id 0
		.amdhsa_user_sgpr_private_segment_size 0
		.amdhsa_wavefront_size32 1
		.amdhsa_uses_dynamic_stack 0
		.amdhsa_enable_private_segment 0
		.amdhsa_system_sgpr_workgroup_id_x 1
		.amdhsa_system_sgpr_workgroup_id_y 0
		.amdhsa_system_sgpr_workgroup_id_z 0
		.amdhsa_system_sgpr_workgroup_info 0
		.amdhsa_system_vgpr_workitem_id 0
		.amdhsa_next_free_vgpr 1
		.amdhsa_next_free_sgpr 1
		.amdhsa_reserve_vcc 0
		.amdhsa_float_round_mode_32 0
		.amdhsa_float_round_mode_16_64 0
		.amdhsa_float_denorm_mode_32 3
		.amdhsa_float_denorm_mode_16_64 3
		.amdhsa_dx10_clamp 1
		.amdhsa_ieee_mode 1
		.amdhsa_fp16_overflow 0
		.amdhsa_workgroup_processor_mode 1
		.amdhsa_memory_ordered 1
		.amdhsa_forward_progress 0
		.amdhsa_shared_vgpr_count 0
		.amdhsa_exception_fp_ieee_invalid_op 0
		.amdhsa_exception_fp_denorm_src 0
		.amdhsa_exception_fp_ieee_div_zero 0
		.amdhsa_exception_fp_ieee_overflow 0
		.amdhsa_exception_fp_ieee_underflow 0
		.amdhsa_exception_fp_ieee_inexact 0
		.amdhsa_exception_int_div_zero 0
	.end_amdhsa_kernel
	.section	.text._Z9sort_keysILj256ELj64ELj4EhN10test_utils4lessEEvPKT2_PS2_T3_,"axG",@progbits,_Z9sort_keysILj256ELj64ELj4EhN10test_utils4lessEEvPKT2_PS2_T3_,comdat
.Lfunc_end136:
	.size	_Z9sort_keysILj256ELj64ELj4EhN10test_utils4lessEEvPKT2_PS2_T3_, .Lfunc_end136-_Z9sort_keysILj256ELj64ELj4EhN10test_utils4lessEEvPKT2_PS2_T3_
                                        ; -- End function
	.section	.AMDGPU.csdata,"",@progbits
; Kernel info:
; codeLenInByte = 4
; NumSgprs: 0
; NumVgprs: 0
; ScratchSize: 0
; MemoryBound: 0
; FloatMode: 240
; IeeeMode: 1
; LDSByteSize: 0 bytes/workgroup (compile time only)
; SGPRBlocks: 0
; VGPRBlocks: 0
; NumSGPRsForWavesPerEU: 1
; NumVGPRsForWavesPerEU: 1
; Occupancy: 16
; WaveLimiterHint : 0
; COMPUTE_PGM_RSRC2:SCRATCH_EN: 0
; COMPUTE_PGM_RSRC2:USER_SGPR: 15
; COMPUTE_PGM_RSRC2:TRAP_HANDLER: 0
; COMPUTE_PGM_RSRC2:TGID_X_EN: 1
; COMPUTE_PGM_RSRC2:TGID_Y_EN: 0
; COMPUTE_PGM_RSRC2:TGID_Z_EN: 0
; COMPUTE_PGM_RSRC2:TIDIG_COMP_CNT: 0
	.section	.text._Z10sort_pairsILj256ELj64ELj4EhN10test_utils4lessEEvPKT2_PS2_T3_,"axG",@progbits,_Z10sort_pairsILj256ELj64ELj4EhN10test_utils4lessEEvPKT2_PS2_T3_,comdat
	.protected	_Z10sort_pairsILj256ELj64ELj4EhN10test_utils4lessEEvPKT2_PS2_T3_ ; -- Begin function _Z10sort_pairsILj256ELj64ELj4EhN10test_utils4lessEEvPKT2_PS2_T3_
	.globl	_Z10sort_pairsILj256ELj64ELj4EhN10test_utils4lessEEvPKT2_PS2_T3_
	.p2align	8
	.type	_Z10sort_pairsILj256ELj64ELj4EhN10test_utils4lessEEvPKT2_PS2_T3_,@function
_Z10sort_pairsILj256ELj64ELj4EhN10test_utils4lessEEvPKT2_PS2_T3_: ; @_Z10sort_pairsILj256ELj64ELj4EhN10test_utils4lessEEvPKT2_PS2_T3_
; %bb.0:
	s_endpgm
	.section	.rodata,"a",@progbits
	.p2align	6, 0x0
	.amdhsa_kernel _Z10sort_pairsILj256ELj64ELj4EhN10test_utils4lessEEvPKT2_PS2_T3_
		.amdhsa_group_segment_fixed_size 0
		.amdhsa_private_segment_fixed_size 0
		.amdhsa_kernarg_size 20
		.amdhsa_user_sgpr_count 15
		.amdhsa_user_sgpr_dispatch_ptr 0
		.amdhsa_user_sgpr_queue_ptr 0
		.amdhsa_user_sgpr_kernarg_segment_ptr 1
		.amdhsa_user_sgpr_dispatch_id 0
		.amdhsa_user_sgpr_private_segment_size 0
		.amdhsa_wavefront_size32 1
		.amdhsa_uses_dynamic_stack 0
		.amdhsa_enable_private_segment 0
		.amdhsa_system_sgpr_workgroup_id_x 1
		.amdhsa_system_sgpr_workgroup_id_y 0
		.amdhsa_system_sgpr_workgroup_id_z 0
		.amdhsa_system_sgpr_workgroup_info 0
		.amdhsa_system_vgpr_workitem_id 0
		.amdhsa_next_free_vgpr 1
		.amdhsa_next_free_sgpr 1
		.amdhsa_reserve_vcc 0
		.amdhsa_float_round_mode_32 0
		.amdhsa_float_round_mode_16_64 0
		.amdhsa_float_denorm_mode_32 3
		.amdhsa_float_denorm_mode_16_64 3
		.amdhsa_dx10_clamp 1
		.amdhsa_ieee_mode 1
		.amdhsa_fp16_overflow 0
		.amdhsa_workgroup_processor_mode 1
		.amdhsa_memory_ordered 1
		.amdhsa_forward_progress 0
		.amdhsa_shared_vgpr_count 0
		.amdhsa_exception_fp_ieee_invalid_op 0
		.amdhsa_exception_fp_denorm_src 0
		.amdhsa_exception_fp_ieee_div_zero 0
		.amdhsa_exception_fp_ieee_overflow 0
		.amdhsa_exception_fp_ieee_underflow 0
		.amdhsa_exception_fp_ieee_inexact 0
		.amdhsa_exception_int_div_zero 0
	.end_amdhsa_kernel
	.section	.text._Z10sort_pairsILj256ELj64ELj4EhN10test_utils4lessEEvPKT2_PS2_T3_,"axG",@progbits,_Z10sort_pairsILj256ELj64ELj4EhN10test_utils4lessEEvPKT2_PS2_T3_,comdat
.Lfunc_end137:
	.size	_Z10sort_pairsILj256ELj64ELj4EhN10test_utils4lessEEvPKT2_PS2_T3_, .Lfunc_end137-_Z10sort_pairsILj256ELj64ELj4EhN10test_utils4lessEEvPKT2_PS2_T3_
                                        ; -- End function
	.section	.AMDGPU.csdata,"",@progbits
; Kernel info:
; codeLenInByte = 4
; NumSgprs: 0
; NumVgprs: 0
; ScratchSize: 0
; MemoryBound: 0
; FloatMode: 240
; IeeeMode: 1
; LDSByteSize: 0 bytes/workgroup (compile time only)
; SGPRBlocks: 0
; VGPRBlocks: 0
; NumSGPRsForWavesPerEU: 1
; NumVGPRsForWavesPerEU: 1
; Occupancy: 16
; WaveLimiterHint : 0
; COMPUTE_PGM_RSRC2:SCRATCH_EN: 0
; COMPUTE_PGM_RSRC2:USER_SGPR: 15
; COMPUTE_PGM_RSRC2:TRAP_HANDLER: 0
; COMPUTE_PGM_RSRC2:TGID_X_EN: 1
; COMPUTE_PGM_RSRC2:TGID_Y_EN: 0
; COMPUTE_PGM_RSRC2:TGID_Z_EN: 0
; COMPUTE_PGM_RSRC2:TIDIG_COMP_CNT: 0
	.section	.text._Z19sort_keys_segmentedILj256ELj64ELj4EhN10test_utils4lessEEvPKT2_PS2_PKjT3_,"axG",@progbits,_Z19sort_keys_segmentedILj256ELj64ELj4EhN10test_utils4lessEEvPKT2_PS2_PKjT3_,comdat
	.protected	_Z19sort_keys_segmentedILj256ELj64ELj4EhN10test_utils4lessEEvPKT2_PS2_PKjT3_ ; -- Begin function _Z19sort_keys_segmentedILj256ELj64ELj4EhN10test_utils4lessEEvPKT2_PS2_PKjT3_
	.globl	_Z19sort_keys_segmentedILj256ELj64ELj4EhN10test_utils4lessEEvPKT2_PS2_PKjT3_
	.p2align	8
	.type	_Z19sort_keys_segmentedILj256ELj64ELj4EhN10test_utils4lessEEvPKT2_PS2_PKjT3_,@function
_Z19sort_keys_segmentedILj256ELj64ELj4EhN10test_utils4lessEEvPKT2_PS2_PKjT3_: ; @_Z19sort_keys_segmentedILj256ELj64ELj4EhN10test_utils4lessEEvPKT2_PS2_PKjT3_
; %bb.0:
	s_endpgm
	.section	.rodata,"a",@progbits
	.p2align	6, 0x0
	.amdhsa_kernel _Z19sort_keys_segmentedILj256ELj64ELj4EhN10test_utils4lessEEvPKT2_PS2_PKjT3_
		.amdhsa_group_segment_fixed_size 0
		.amdhsa_private_segment_fixed_size 0
		.amdhsa_kernarg_size 28
		.amdhsa_user_sgpr_count 15
		.amdhsa_user_sgpr_dispatch_ptr 0
		.amdhsa_user_sgpr_queue_ptr 0
		.amdhsa_user_sgpr_kernarg_segment_ptr 1
		.amdhsa_user_sgpr_dispatch_id 0
		.amdhsa_user_sgpr_private_segment_size 0
		.amdhsa_wavefront_size32 1
		.amdhsa_uses_dynamic_stack 0
		.amdhsa_enable_private_segment 0
		.amdhsa_system_sgpr_workgroup_id_x 1
		.amdhsa_system_sgpr_workgroup_id_y 0
		.amdhsa_system_sgpr_workgroup_id_z 0
		.amdhsa_system_sgpr_workgroup_info 0
		.amdhsa_system_vgpr_workitem_id 0
		.amdhsa_next_free_vgpr 1
		.amdhsa_next_free_sgpr 1
		.amdhsa_reserve_vcc 0
		.amdhsa_float_round_mode_32 0
		.amdhsa_float_round_mode_16_64 0
		.amdhsa_float_denorm_mode_32 3
		.amdhsa_float_denorm_mode_16_64 3
		.amdhsa_dx10_clamp 1
		.amdhsa_ieee_mode 1
		.amdhsa_fp16_overflow 0
		.amdhsa_workgroup_processor_mode 1
		.amdhsa_memory_ordered 1
		.amdhsa_forward_progress 0
		.amdhsa_shared_vgpr_count 0
		.amdhsa_exception_fp_ieee_invalid_op 0
		.amdhsa_exception_fp_denorm_src 0
		.amdhsa_exception_fp_ieee_div_zero 0
		.amdhsa_exception_fp_ieee_overflow 0
		.amdhsa_exception_fp_ieee_underflow 0
		.amdhsa_exception_fp_ieee_inexact 0
		.amdhsa_exception_int_div_zero 0
	.end_amdhsa_kernel
	.section	.text._Z19sort_keys_segmentedILj256ELj64ELj4EhN10test_utils4lessEEvPKT2_PS2_PKjT3_,"axG",@progbits,_Z19sort_keys_segmentedILj256ELj64ELj4EhN10test_utils4lessEEvPKT2_PS2_PKjT3_,comdat
.Lfunc_end138:
	.size	_Z19sort_keys_segmentedILj256ELj64ELj4EhN10test_utils4lessEEvPKT2_PS2_PKjT3_, .Lfunc_end138-_Z19sort_keys_segmentedILj256ELj64ELj4EhN10test_utils4lessEEvPKT2_PS2_PKjT3_
                                        ; -- End function
	.section	.AMDGPU.csdata,"",@progbits
; Kernel info:
; codeLenInByte = 4
; NumSgprs: 0
; NumVgprs: 0
; ScratchSize: 0
; MemoryBound: 0
; FloatMode: 240
; IeeeMode: 1
; LDSByteSize: 0 bytes/workgroup (compile time only)
; SGPRBlocks: 0
; VGPRBlocks: 0
; NumSGPRsForWavesPerEU: 1
; NumVGPRsForWavesPerEU: 1
; Occupancy: 16
; WaveLimiterHint : 0
; COMPUTE_PGM_RSRC2:SCRATCH_EN: 0
; COMPUTE_PGM_RSRC2:USER_SGPR: 15
; COMPUTE_PGM_RSRC2:TRAP_HANDLER: 0
; COMPUTE_PGM_RSRC2:TGID_X_EN: 1
; COMPUTE_PGM_RSRC2:TGID_Y_EN: 0
; COMPUTE_PGM_RSRC2:TGID_Z_EN: 0
; COMPUTE_PGM_RSRC2:TIDIG_COMP_CNT: 0
	.section	.text._Z20sort_pairs_segmentedILj256ELj64ELj4EhN10test_utils4lessEEvPKT2_PS2_PKjT3_,"axG",@progbits,_Z20sort_pairs_segmentedILj256ELj64ELj4EhN10test_utils4lessEEvPKT2_PS2_PKjT3_,comdat
	.protected	_Z20sort_pairs_segmentedILj256ELj64ELj4EhN10test_utils4lessEEvPKT2_PS2_PKjT3_ ; -- Begin function _Z20sort_pairs_segmentedILj256ELj64ELj4EhN10test_utils4lessEEvPKT2_PS2_PKjT3_
	.globl	_Z20sort_pairs_segmentedILj256ELj64ELj4EhN10test_utils4lessEEvPKT2_PS2_PKjT3_
	.p2align	8
	.type	_Z20sort_pairs_segmentedILj256ELj64ELj4EhN10test_utils4lessEEvPKT2_PS2_PKjT3_,@function
_Z20sort_pairs_segmentedILj256ELj64ELj4EhN10test_utils4lessEEvPKT2_PS2_PKjT3_: ; @_Z20sort_pairs_segmentedILj256ELj64ELj4EhN10test_utils4lessEEvPKT2_PS2_PKjT3_
; %bb.0:
	s_endpgm
	.section	.rodata,"a",@progbits
	.p2align	6, 0x0
	.amdhsa_kernel _Z20sort_pairs_segmentedILj256ELj64ELj4EhN10test_utils4lessEEvPKT2_PS2_PKjT3_
		.amdhsa_group_segment_fixed_size 0
		.amdhsa_private_segment_fixed_size 0
		.amdhsa_kernarg_size 28
		.amdhsa_user_sgpr_count 15
		.amdhsa_user_sgpr_dispatch_ptr 0
		.amdhsa_user_sgpr_queue_ptr 0
		.amdhsa_user_sgpr_kernarg_segment_ptr 1
		.amdhsa_user_sgpr_dispatch_id 0
		.amdhsa_user_sgpr_private_segment_size 0
		.amdhsa_wavefront_size32 1
		.amdhsa_uses_dynamic_stack 0
		.amdhsa_enable_private_segment 0
		.amdhsa_system_sgpr_workgroup_id_x 1
		.amdhsa_system_sgpr_workgroup_id_y 0
		.amdhsa_system_sgpr_workgroup_id_z 0
		.amdhsa_system_sgpr_workgroup_info 0
		.amdhsa_system_vgpr_workitem_id 0
		.amdhsa_next_free_vgpr 1
		.amdhsa_next_free_sgpr 1
		.amdhsa_reserve_vcc 0
		.amdhsa_float_round_mode_32 0
		.amdhsa_float_round_mode_16_64 0
		.amdhsa_float_denorm_mode_32 3
		.amdhsa_float_denorm_mode_16_64 3
		.amdhsa_dx10_clamp 1
		.amdhsa_ieee_mode 1
		.amdhsa_fp16_overflow 0
		.amdhsa_workgroup_processor_mode 1
		.amdhsa_memory_ordered 1
		.amdhsa_forward_progress 0
		.amdhsa_shared_vgpr_count 0
		.amdhsa_exception_fp_ieee_invalid_op 0
		.amdhsa_exception_fp_denorm_src 0
		.amdhsa_exception_fp_ieee_div_zero 0
		.amdhsa_exception_fp_ieee_overflow 0
		.amdhsa_exception_fp_ieee_underflow 0
		.amdhsa_exception_fp_ieee_inexact 0
		.amdhsa_exception_int_div_zero 0
	.end_amdhsa_kernel
	.section	.text._Z20sort_pairs_segmentedILj256ELj64ELj4EhN10test_utils4lessEEvPKT2_PS2_PKjT3_,"axG",@progbits,_Z20sort_pairs_segmentedILj256ELj64ELj4EhN10test_utils4lessEEvPKT2_PS2_PKjT3_,comdat
.Lfunc_end139:
	.size	_Z20sort_pairs_segmentedILj256ELj64ELj4EhN10test_utils4lessEEvPKT2_PS2_PKjT3_, .Lfunc_end139-_Z20sort_pairs_segmentedILj256ELj64ELj4EhN10test_utils4lessEEvPKT2_PS2_PKjT3_
                                        ; -- End function
	.section	.AMDGPU.csdata,"",@progbits
; Kernel info:
; codeLenInByte = 4
; NumSgprs: 0
; NumVgprs: 0
; ScratchSize: 0
; MemoryBound: 0
; FloatMode: 240
; IeeeMode: 1
; LDSByteSize: 0 bytes/workgroup (compile time only)
; SGPRBlocks: 0
; VGPRBlocks: 0
; NumSGPRsForWavesPerEU: 1
; NumVGPRsForWavesPerEU: 1
; Occupancy: 16
; WaveLimiterHint : 0
; COMPUTE_PGM_RSRC2:SCRATCH_EN: 0
; COMPUTE_PGM_RSRC2:USER_SGPR: 15
; COMPUTE_PGM_RSRC2:TRAP_HANDLER: 0
; COMPUTE_PGM_RSRC2:TGID_X_EN: 1
; COMPUTE_PGM_RSRC2:TGID_Y_EN: 0
; COMPUTE_PGM_RSRC2:TGID_Z_EN: 0
; COMPUTE_PGM_RSRC2:TIDIG_COMP_CNT: 0
	.section	.text._Z9sort_keysILj256ELj64ELj8EhN10test_utils4lessEEvPKT2_PS2_T3_,"axG",@progbits,_Z9sort_keysILj256ELj64ELj8EhN10test_utils4lessEEvPKT2_PS2_T3_,comdat
	.protected	_Z9sort_keysILj256ELj64ELj8EhN10test_utils4lessEEvPKT2_PS2_T3_ ; -- Begin function _Z9sort_keysILj256ELj64ELj8EhN10test_utils4lessEEvPKT2_PS2_T3_
	.globl	_Z9sort_keysILj256ELj64ELj8EhN10test_utils4lessEEvPKT2_PS2_T3_
	.p2align	8
	.type	_Z9sort_keysILj256ELj64ELj8EhN10test_utils4lessEEvPKT2_PS2_T3_,@function
_Z9sort_keysILj256ELj64ELj8EhN10test_utils4lessEEvPKT2_PS2_T3_: ; @_Z9sort_keysILj256ELj64ELj8EhN10test_utils4lessEEvPKT2_PS2_T3_
; %bb.0:
	s_endpgm
	.section	.rodata,"a",@progbits
	.p2align	6, 0x0
	.amdhsa_kernel _Z9sort_keysILj256ELj64ELj8EhN10test_utils4lessEEvPKT2_PS2_T3_
		.amdhsa_group_segment_fixed_size 0
		.amdhsa_private_segment_fixed_size 0
		.amdhsa_kernarg_size 20
		.amdhsa_user_sgpr_count 15
		.amdhsa_user_sgpr_dispatch_ptr 0
		.amdhsa_user_sgpr_queue_ptr 0
		.amdhsa_user_sgpr_kernarg_segment_ptr 1
		.amdhsa_user_sgpr_dispatch_id 0
		.amdhsa_user_sgpr_private_segment_size 0
		.amdhsa_wavefront_size32 1
		.amdhsa_uses_dynamic_stack 0
		.amdhsa_enable_private_segment 0
		.amdhsa_system_sgpr_workgroup_id_x 1
		.amdhsa_system_sgpr_workgroup_id_y 0
		.amdhsa_system_sgpr_workgroup_id_z 0
		.amdhsa_system_sgpr_workgroup_info 0
		.amdhsa_system_vgpr_workitem_id 0
		.amdhsa_next_free_vgpr 1
		.amdhsa_next_free_sgpr 1
		.amdhsa_reserve_vcc 0
		.amdhsa_float_round_mode_32 0
		.amdhsa_float_round_mode_16_64 0
		.amdhsa_float_denorm_mode_32 3
		.amdhsa_float_denorm_mode_16_64 3
		.amdhsa_dx10_clamp 1
		.amdhsa_ieee_mode 1
		.amdhsa_fp16_overflow 0
		.amdhsa_workgroup_processor_mode 1
		.amdhsa_memory_ordered 1
		.amdhsa_forward_progress 0
		.amdhsa_shared_vgpr_count 0
		.amdhsa_exception_fp_ieee_invalid_op 0
		.amdhsa_exception_fp_denorm_src 0
		.amdhsa_exception_fp_ieee_div_zero 0
		.amdhsa_exception_fp_ieee_overflow 0
		.amdhsa_exception_fp_ieee_underflow 0
		.amdhsa_exception_fp_ieee_inexact 0
		.amdhsa_exception_int_div_zero 0
	.end_amdhsa_kernel
	.section	.text._Z9sort_keysILj256ELj64ELj8EhN10test_utils4lessEEvPKT2_PS2_T3_,"axG",@progbits,_Z9sort_keysILj256ELj64ELj8EhN10test_utils4lessEEvPKT2_PS2_T3_,comdat
.Lfunc_end140:
	.size	_Z9sort_keysILj256ELj64ELj8EhN10test_utils4lessEEvPKT2_PS2_T3_, .Lfunc_end140-_Z9sort_keysILj256ELj64ELj8EhN10test_utils4lessEEvPKT2_PS2_T3_
                                        ; -- End function
	.section	.AMDGPU.csdata,"",@progbits
; Kernel info:
; codeLenInByte = 4
; NumSgprs: 0
; NumVgprs: 0
; ScratchSize: 0
; MemoryBound: 0
; FloatMode: 240
; IeeeMode: 1
; LDSByteSize: 0 bytes/workgroup (compile time only)
; SGPRBlocks: 0
; VGPRBlocks: 0
; NumSGPRsForWavesPerEU: 1
; NumVGPRsForWavesPerEU: 1
; Occupancy: 16
; WaveLimiterHint : 0
; COMPUTE_PGM_RSRC2:SCRATCH_EN: 0
; COMPUTE_PGM_RSRC2:USER_SGPR: 15
; COMPUTE_PGM_RSRC2:TRAP_HANDLER: 0
; COMPUTE_PGM_RSRC2:TGID_X_EN: 1
; COMPUTE_PGM_RSRC2:TGID_Y_EN: 0
; COMPUTE_PGM_RSRC2:TGID_Z_EN: 0
; COMPUTE_PGM_RSRC2:TIDIG_COMP_CNT: 0
	.section	.text._Z10sort_pairsILj256ELj64ELj8EhN10test_utils4lessEEvPKT2_PS2_T3_,"axG",@progbits,_Z10sort_pairsILj256ELj64ELj8EhN10test_utils4lessEEvPKT2_PS2_T3_,comdat
	.protected	_Z10sort_pairsILj256ELj64ELj8EhN10test_utils4lessEEvPKT2_PS2_T3_ ; -- Begin function _Z10sort_pairsILj256ELj64ELj8EhN10test_utils4lessEEvPKT2_PS2_T3_
	.globl	_Z10sort_pairsILj256ELj64ELj8EhN10test_utils4lessEEvPKT2_PS2_T3_
	.p2align	8
	.type	_Z10sort_pairsILj256ELj64ELj8EhN10test_utils4lessEEvPKT2_PS2_T3_,@function
_Z10sort_pairsILj256ELj64ELj8EhN10test_utils4lessEEvPKT2_PS2_T3_: ; @_Z10sort_pairsILj256ELj64ELj8EhN10test_utils4lessEEvPKT2_PS2_T3_
; %bb.0:
	s_endpgm
	.section	.rodata,"a",@progbits
	.p2align	6, 0x0
	.amdhsa_kernel _Z10sort_pairsILj256ELj64ELj8EhN10test_utils4lessEEvPKT2_PS2_T3_
		.amdhsa_group_segment_fixed_size 0
		.amdhsa_private_segment_fixed_size 0
		.amdhsa_kernarg_size 20
		.amdhsa_user_sgpr_count 15
		.amdhsa_user_sgpr_dispatch_ptr 0
		.amdhsa_user_sgpr_queue_ptr 0
		.amdhsa_user_sgpr_kernarg_segment_ptr 1
		.amdhsa_user_sgpr_dispatch_id 0
		.amdhsa_user_sgpr_private_segment_size 0
		.amdhsa_wavefront_size32 1
		.amdhsa_uses_dynamic_stack 0
		.amdhsa_enable_private_segment 0
		.amdhsa_system_sgpr_workgroup_id_x 1
		.amdhsa_system_sgpr_workgroup_id_y 0
		.amdhsa_system_sgpr_workgroup_id_z 0
		.amdhsa_system_sgpr_workgroup_info 0
		.amdhsa_system_vgpr_workitem_id 0
		.amdhsa_next_free_vgpr 1
		.amdhsa_next_free_sgpr 1
		.amdhsa_reserve_vcc 0
		.amdhsa_float_round_mode_32 0
		.amdhsa_float_round_mode_16_64 0
		.amdhsa_float_denorm_mode_32 3
		.amdhsa_float_denorm_mode_16_64 3
		.amdhsa_dx10_clamp 1
		.amdhsa_ieee_mode 1
		.amdhsa_fp16_overflow 0
		.amdhsa_workgroup_processor_mode 1
		.amdhsa_memory_ordered 1
		.amdhsa_forward_progress 0
		.amdhsa_shared_vgpr_count 0
		.amdhsa_exception_fp_ieee_invalid_op 0
		.amdhsa_exception_fp_denorm_src 0
		.amdhsa_exception_fp_ieee_div_zero 0
		.amdhsa_exception_fp_ieee_overflow 0
		.amdhsa_exception_fp_ieee_underflow 0
		.amdhsa_exception_fp_ieee_inexact 0
		.amdhsa_exception_int_div_zero 0
	.end_amdhsa_kernel
	.section	.text._Z10sort_pairsILj256ELj64ELj8EhN10test_utils4lessEEvPKT2_PS2_T3_,"axG",@progbits,_Z10sort_pairsILj256ELj64ELj8EhN10test_utils4lessEEvPKT2_PS2_T3_,comdat
.Lfunc_end141:
	.size	_Z10sort_pairsILj256ELj64ELj8EhN10test_utils4lessEEvPKT2_PS2_T3_, .Lfunc_end141-_Z10sort_pairsILj256ELj64ELj8EhN10test_utils4lessEEvPKT2_PS2_T3_
                                        ; -- End function
	.section	.AMDGPU.csdata,"",@progbits
; Kernel info:
; codeLenInByte = 4
; NumSgprs: 0
; NumVgprs: 0
; ScratchSize: 0
; MemoryBound: 0
; FloatMode: 240
; IeeeMode: 1
; LDSByteSize: 0 bytes/workgroup (compile time only)
; SGPRBlocks: 0
; VGPRBlocks: 0
; NumSGPRsForWavesPerEU: 1
; NumVGPRsForWavesPerEU: 1
; Occupancy: 16
; WaveLimiterHint : 0
; COMPUTE_PGM_RSRC2:SCRATCH_EN: 0
; COMPUTE_PGM_RSRC2:USER_SGPR: 15
; COMPUTE_PGM_RSRC2:TRAP_HANDLER: 0
; COMPUTE_PGM_RSRC2:TGID_X_EN: 1
; COMPUTE_PGM_RSRC2:TGID_Y_EN: 0
; COMPUTE_PGM_RSRC2:TGID_Z_EN: 0
; COMPUTE_PGM_RSRC2:TIDIG_COMP_CNT: 0
	.section	.text._Z19sort_keys_segmentedILj256ELj64ELj8EhN10test_utils4lessEEvPKT2_PS2_PKjT3_,"axG",@progbits,_Z19sort_keys_segmentedILj256ELj64ELj8EhN10test_utils4lessEEvPKT2_PS2_PKjT3_,comdat
	.protected	_Z19sort_keys_segmentedILj256ELj64ELj8EhN10test_utils4lessEEvPKT2_PS2_PKjT3_ ; -- Begin function _Z19sort_keys_segmentedILj256ELj64ELj8EhN10test_utils4lessEEvPKT2_PS2_PKjT3_
	.globl	_Z19sort_keys_segmentedILj256ELj64ELj8EhN10test_utils4lessEEvPKT2_PS2_PKjT3_
	.p2align	8
	.type	_Z19sort_keys_segmentedILj256ELj64ELj8EhN10test_utils4lessEEvPKT2_PS2_PKjT3_,@function
_Z19sort_keys_segmentedILj256ELj64ELj8EhN10test_utils4lessEEvPKT2_PS2_PKjT3_: ; @_Z19sort_keys_segmentedILj256ELj64ELj8EhN10test_utils4lessEEvPKT2_PS2_PKjT3_
; %bb.0:
	s_endpgm
	.section	.rodata,"a",@progbits
	.p2align	6, 0x0
	.amdhsa_kernel _Z19sort_keys_segmentedILj256ELj64ELj8EhN10test_utils4lessEEvPKT2_PS2_PKjT3_
		.amdhsa_group_segment_fixed_size 0
		.amdhsa_private_segment_fixed_size 0
		.amdhsa_kernarg_size 28
		.amdhsa_user_sgpr_count 15
		.amdhsa_user_sgpr_dispatch_ptr 0
		.amdhsa_user_sgpr_queue_ptr 0
		.amdhsa_user_sgpr_kernarg_segment_ptr 1
		.amdhsa_user_sgpr_dispatch_id 0
		.amdhsa_user_sgpr_private_segment_size 0
		.amdhsa_wavefront_size32 1
		.amdhsa_uses_dynamic_stack 0
		.amdhsa_enable_private_segment 0
		.amdhsa_system_sgpr_workgroup_id_x 1
		.amdhsa_system_sgpr_workgroup_id_y 0
		.amdhsa_system_sgpr_workgroup_id_z 0
		.amdhsa_system_sgpr_workgroup_info 0
		.amdhsa_system_vgpr_workitem_id 0
		.amdhsa_next_free_vgpr 1
		.amdhsa_next_free_sgpr 1
		.amdhsa_reserve_vcc 0
		.amdhsa_float_round_mode_32 0
		.amdhsa_float_round_mode_16_64 0
		.amdhsa_float_denorm_mode_32 3
		.amdhsa_float_denorm_mode_16_64 3
		.amdhsa_dx10_clamp 1
		.amdhsa_ieee_mode 1
		.amdhsa_fp16_overflow 0
		.amdhsa_workgroup_processor_mode 1
		.amdhsa_memory_ordered 1
		.amdhsa_forward_progress 0
		.amdhsa_shared_vgpr_count 0
		.amdhsa_exception_fp_ieee_invalid_op 0
		.amdhsa_exception_fp_denorm_src 0
		.amdhsa_exception_fp_ieee_div_zero 0
		.amdhsa_exception_fp_ieee_overflow 0
		.amdhsa_exception_fp_ieee_underflow 0
		.amdhsa_exception_fp_ieee_inexact 0
		.amdhsa_exception_int_div_zero 0
	.end_amdhsa_kernel
	.section	.text._Z19sort_keys_segmentedILj256ELj64ELj8EhN10test_utils4lessEEvPKT2_PS2_PKjT3_,"axG",@progbits,_Z19sort_keys_segmentedILj256ELj64ELj8EhN10test_utils4lessEEvPKT2_PS2_PKjT3_,comdat
.Lfunc_end142:
	.size	_Z19sort_keys_segmentedILj256ELj64ELj8EhN10test_utils4lessEEvPKT2_PS2_PKjT3_, .Lfunc_end142-_Z19sort_keys_segmentedILj256ELj64ELj8EhN10test_utils4lessEEvPKT2_PS2_PKjT3_
                                        ; -- End function
	.section	.AMDGPU.csdata,"",@progbits
; Kernel info:
; codeLenInByte = 4
; NumSgprs: 0
; NumVgprs: 0
; ScratchSize: 0
; MemoryBound: 0
; FloatMode: 240
; IeeeMode: 1
; LDSByteSize: 0 bytes/workgroup (compile time only)
; SGPRBlocks: 0
; VGPRBlocks: 0
; NumSGPRsForWavesPerEU: 1
; NumVGPRsForWavesPerEU: 1
; Occupancy: 16
; WaveLimiterHint : 0
; COMPUTE_PGM_RSRC2:SCRATCH_EN: 0
; COMPUTE_PGM_RSRC2:USER_SGPR: 15
; COMPUTE_PGM_RSRC2:TRAP_HANDLER: 0
; COMPUTE_PGM_RSRC2:TGID_X_EN: 1
; COMPUTE_PGM_RSRC2:TGID_Y_EN: 0
; COMPUTE_PGM_RSRC2:TGID_Z_EN: 0
; COMPUTE_PGM_RSRC2:TIDIG_COMP_CNT: 0
	.section	.text._Z20sort_pairs_segmentedILj256ELj64ELj8EhN10test_utils4lessEEvPKT2_PS2_PKjT3_,"axG",@progbits,_Z20sort_pairs_segmentedILj256ELj64ELj8EhN10test_utils4lessEEvPKT2_PS2_PKjT3_,comdat
	.protected	_Z20sort_pairs_segmentedILj256ELj64ELj8EhN10test_utils4lessEEvPKT2_PS2_PKjT3_ ; -- Begin function _Z20sort_pairs_segmentedILj256ELj64ELj8EhN10test_utils4lessEEvPKT2_PS2_PKjT3_
	.globl	_Z20sort_pairs_segmentedILj256ELj64ELj8EhN10test_utils4lessEEvPKT2_PS2_PKjT3_
	.p2align	8
	.type	_Z20sort_pairs_segmentedILj256ELj64ELj8EhN10test_utils4lessEEvPKT2_PS2_PKjT3_,@function
_Z20sort_pairs_segmentedILj256ELj64ELj8EhN10test_utils4lessEEvPKT2_PS2_PKjT3_: ; @_Z20sort_pairs_segmentedILj256ELj64ELj8EhN10test_utils4lessEEvPKT2_PS2_PKjT3_
; %bb.0:
	s_endpgm
	.section	.rodata,"a",@progbits
	.p2align	6, 0x0
	.amdhsa_kernel _Z20sort_pairs_segmentedILj256ELj64ELj8EhN10test_utils4lessEEvPKT2_PS2_PKjT3_
		.amdhsa_group_segment_fixed_size 0
		.amdhsa_private_segment_fixed_size 0
		.amdhsa_kernarg_size 28
		.amdhsa_user_sgpr_count 15
		.amdhsa_user_sgpr_dispatch_ptr 0
		.amdhsa_user_sgpr_queue_ptr 0
		.amdhsa_user_sgpr_kernarg_segment_ptr 1
		.amdhsa_user_sgpr_dispatch_id 0
		.amdhsa_user_sgpr_private_segment_size 0
		.amdhsa_wavefront_size32 1
		.amdhsa_uses_dynamic_stack 0
		.amdhsa_enable_private_segment 0
		.amdhsa_system_sgpr_workgroup_id_x 1
		.amdhsa_system_sgpr_workgroup_id_y 0
		.amdhsa_system_sgpr_workgroup_id_z 0
		.amdhsa_system_sgpr_workgroup_info 0
		.amdhsa_system_vgpr_workitem_id 0
		.amdhsa_next_free_vgpr 1
		.amdhsa_next_free_sgpr 1
		.amdhsa_reserve_vcc 0
		.amdhsa_float_round_mode_32 0
		.amdhsa_float_round_mode_16_64 0
		.amdhsa_float_denorm_mode_32 3
		.amdhsa_float_denorm_mode_16_64 3
		.amdhsa_dx10_clamp 1
		.amdhsa_ieee_mode 1
		.amdhsa_fp16_overflow 0
		.amdhsa_workgroup_processor_mode 1
		.amdhsa_memory_ordered 1
		.amdhsa_forward_progress 0
		.amdhsa_shared_vgpr_count 0
		.amdhsa_exception_fp_ieee_invalid_op 0
		.amdhsa_exception_fp_denorm_src 0
		.amdhsa_exception_fp_ieee_div_zero 0
		.amdhsa_exception_fp_ieee_overflow 0
		.amdhsa_exception_fp_ieee_underflow 0
		.amdhsa_exception_fp_ieee_inexact 0
		.amdhsa_exception_int_div_zero 0
	.end_amdhsa_kernel
	.section	.text._Z20sort_pairs_segmentedILj256ELj64ELj8EhN10test_utils4lessEEvPKT2_PS2_PKjT3_,"axG",@progbits,_Z20sort_pairs_segmentedILj256ELj64ELj8EhN10test_utils4lessEEvPKT2_PS2_PKjT3_,comdat
.Lfunc_end143:
	.size	_Z20sort_pairs_segmentedILj256ELj64ELj8EhN10test_utils4lessEEvPKT2_PS2_PKjT3_, .Lfunc_end143-_Z20sort_pairs_segmentedILj256ELj64ELj8EhN10test_utils4lessEEvPKT2_PS2_PKjT3_
                                        ; -- End function
	.section	.AMDGPU.csdata,"",@progbits
; Kernel info:
; codeLenInByte = 4
; NumSgprs: 0
; NumVgprs: 0
; ScratchSize: 0
; MemoryBound: 0
; FloatMode: 240
; IeeeMode: 1
; LDSByteSize: 0 bytes/workgroup (compile time only)
; SGPRBlocks: 0
; VGPRBlocks: 0
; NumSGPRsForWavesPerEU: 1
; NumVGPRsForWavesPerEU: 1
; Occupancy: 16
; WaveLimiterHint : 0
; COMPUTE_PGM_RSRC2:SCRATCH_EN: 0
; COMPUTE_PGM_RSRC2:USER_SGPR: 15
; COMPUTE_PGM_RSRC2:TRAP_HANDLER: 0
; COMPUTE_PGM_RSRC2:TGID_X_EN: 1
; COMPUTE_PGM_RSRC2:TGID_Y_EN: 0
; COMPUTE_PGM_RSRC2:TGID_Z_EN: 0
; COMPUTE_PGM_RSRC2:TIDIG_COMP_CNT: 0
	.section	.text._Z9sort_keysILj256ELj4ELj1ExN10test_utils4lessEEvPKT2_PS2_T3_,"axG",@progbits,_Z9sort_keysILj256ELj4ELj1ExN10test_utils4lessEEvPKT2_PS2_T3_,comdat
	.protected	_Z9sort_keysILj256ELj4ELj1ExN10test_utils4lessEEvPKT2_PS2_T3_ ; -- Begin function _Z9sort_keysILj256ELj4ELj1ExN10test_utils4lessEEvPKT2_PS2_T3_
	.globl	_Z9sort_keysILj256ELj4ELj1ExN10test_utils4lessEEvPKT2_PS2_T3_
	.p2align	8
	.type	_Z9sort_keysILj256ELj4ELj1ExN10test_utils4lessEEvPKT2_PS2_T3_,@function
_Z9sort_keysILj256ELj4ELj1ExN10test_utils4lessEEvPKT2_PS2_T3_: ; @_Z9sort_keysILj256ELj4ELj1ExN10test_utils4lessEEvPKT2_PS2_T3_
; %bb.0:
	s_load_b128 s[0:3], s[0:1], 0x0
	s_mov_b32 s7, 0
	s_lshl_b32 s6, s15, 8
	v_lshlrev_b32_e32 v1, 3, v0
	s_lshl_b64 s[4:5], s[6:7], 3
	v_mbcnt_lo_u32_b32 v2, -1, 0
	v_lshrrev_b32_e32 v0, 2, v0
	s_delay_alu instid0(VALU_DEP_2) | instskip(SKIP_2) | instid1(VALU_DEP_3)
	v_and_b32_e32 v6, 2, v2
	v_and_b32_e32 v5, 1, v2
	;; [unrolled: 1-line block ×3, first 2 shown]
	v_or_b32_e32 v4, 1, v6
	s_delay_alu instid0(VALU_DEP_2) | instskip(NEXT) | instid1(VALU_DEP_2)
	v_lshlrev_b32_e32 v12, 3, v2
	v_sub_nc_u32_e32 v3, v6, v4
	s_waitcnt lgkmcnt(0)
	s_add_u32 s0, s0, s4
	s_addc_u32 s1, s1, s5
	v_sub_nc_u32_e32 v7, v4, v6
	global_load_b64 v[9:10], v1, s[0:1]
	v_add_nc_u32_e32 v3, 2, v3
	s_mov_b32 s0, exec_lo
	v_min_i32_e32 v8, v5, v7
	; wave barrier
	s_delay_alu instid0(VALU_DEP_2) | instskip(SKIP_3) | instid1(VALU_DEP_4)
	v_sub_nc_u32_e32 v11, v5, v3
	v_cmp_ge_i32_e32 vcc_lo, v5, v3
	v_mad_u32_u24 v3, v0, 40, v12
	v_mul_u32_u24_e32 v0, 40, v0
	v_cndmask_b32_e32 v7, 0, v11, vcc_lo
	s_waitcnt vmcnt(0)
	ds_store_b64 v3, v[9:10]
	; wave barrier
	v_cmpx_lt_i32_e64 v7, v8
	s_cbranch_execz .LBB144_4
; %bb.1:
	v_lshl_add_u32 v9, v6, 3, v0
	v_lshlrev_b32_e32 v10, 3, v5
	s_delay_alu instid0(VALU_DEP_1)
	v_add3_u32 v10, v9, v10, 8
	.p2align	6
.LBB144_2:                              ; =>This Inner Loop Header: Depth=1
	v_sub_nc_u32_e32 v11, v8, v7
	s_delay_alu instid0(VALU_DEP_1) | instskip(NEXT) | instid1(VALU_DEP_1)
	v_lshrrev_b32_e32 v12, 31, v11
	v_add_nc_u32_e32 v11, v11, v12
	s_delay_alu instid0(VALU_DEP_1) | instskip(NEXT) | instid1(VALU_DEP_1)
	v_ashrrev_i32_e32 v11, 1, v11
	v_add_nc_u32_e32 v15, v11, v7
	s_delay_alu instid0(VALU_DEP_1) | instskip(SKIP_1) | instid1(VALU_DEP_2)
	v_not_b32_e32 v11, v15
	v_lshl_add_u32 v12, v15, 3, v9
	v_lshl_add_u32 v13, v11, 3, v10
	ds_load_b64 v[11:12], v12
	ds_load_b64 v[13:14], v13
	s_waitcnt lgkmcnt(0)
	v_cmp_lt_i64_e32 vcc_lo, v[13:14], v[11:12]
	v_add_nc_u32_e32 v11, 1, v15
	v_cndmask_b32_e32 v8, v8, v15, vcc_lo
	s_delay_alu instid0(VALU_DEP_2) | instskip(NEXT) | instid1(VALU_DEP_1)
	v_cndmask_b32_e32 v7, v11, v7, vcc_lo
	v_cmp_ge_i32_e32 vcc_lo, v7, v8
	s_or_b32 s7, vcc_lo, s7
	s_delay_alu instid0(SALU_CYCLE_1)
	s_and_not1_b32 exec_lo, exec_lo, s7
	s_cbranch_execnz .LBB144_2
; %bb.3:
	s_or_b32 exec_lo, exec_lo, s7
.LBB144_4:
	s_delay_alu instid0(SALU_CYCLE_1)
	s_or_b32 exec_lo, exec_lo, s0
	v_add_nc_u32_e32 v8, v6, v5
	v_lshlrev_b32_e32 v9, 3, v7
	v_lshlrev_b32_e32 v6, 3, v6
	v_add_nc_u32_e32 v5, v4, v5
	v_cmp_lt_i32_e64 s0, 0, v7
	v_sub_nc_u32_e32 v8, v8, v7
	s_delay_alu instid0(VALU_DEP_4) | instskip(NEXT) | instid1(VALU_DEP_4)
	v_add3_u32 v6, v0, v9, v6
	v_sub_nc_u32_e32 v5, v5, v7
	s_delay_alu instid0(VALU_DEP_3)
	v_lshl_add_u32 v10, v8, 3, v0
	ds_load_b64 v[8:9], v6
	ds_load_b64 v[10:11], v10 offset:8
	v_cmp_ge_i32_e64 s1, v4, v5
	v_sub_nc_u32_e64 v4, v2, 2 clamp
	v_min_i32_e32 v5, 2, v2
	; wave barrier
	s_waitcnt lgkmcnt(0)
	v_cmp_lt_i64_e32 vcc_lo, v[10:11], v[8:9]
	s_or_b32 s0, s0, vcc_lo
	s_delay_alu instid0(SALU_CYCLE_1)
	s_and_b32 vcc_lo, s1, s0
	s_mov_b32 s0, 0
	v_dual_cndmask_b32 v6, v8, v10 :: v_dual_cndmask_b32 v7, v9, v11
	s_mov_b32 s1, exec_lo
	ds_store_b64 v3, v[6:7]
	; wave barrier
	v_cmpx_lt_u32_e64 v4, v5
	s_cbranch_execz .LBB144_8
; %bb.5:
	v_add_nc_u32_e32 v3, 16, v3
	.p2align	6
.LBB144_6:                              ; =>This Inner Loop Header: Depth=1
	v_sub_nc_u32_e32 v6, v5, v4
	s_delay_alu instid0(VALU_DEP_1) | instskip(NEXT) | instid1(VALU_DEP_1)
	v_lshrrev_b32_e32 v7, 31, v6
	v_add_nc_u32_e32 v6, v6, v7
	s_delay_alu instid0(VALU_DEP_1) | instskip(NEXT) | instid1(VALU_DEP_1)
	v_ashrrev_i32_e32 v6, 1, v6
	v_add_nc_u32_e32 v10, v6, v4
	s_delay_alu instid0(VALU_DEP_1) | instskip(SKIP_1) | instid1(VALU_DEP_2)
	v_not_b32_e32 v6, v10
	v_lshl_add_u32 v7, v10, 3, v0
	v_lshl_add_u32 v8, v6, 3, v3
	ds_load_b64 v[6:7], v7
	ds_load_b64 v[8:9], v8
	s_waitcnt lgkmcnt(0)
	v_cmp_lt_i64_e32 vcc_lo, v[8:9], v[6:7]
	v_add_nc_u32_e32 v6, 1, v10
	s_delay_alu instid0(VALU_DEP_1) | instskip(NEXT) | instid1(VALU_DEP_1)
	v_dual_cndmask_b32 v5, v5, v10 :: v_dual_cndmask_b32 v4, v6, v4
	v_cmp_ge_i32_e32 vcc_lo, v4, v5
	s_or_b32 s0, vcc_lo, s0
	s_delay_alu instid0(SALU_CYCLE_1)
	s_and_not1_b32 exec_lo, exec_lo, s0
	s_cbranch_execnz .LBB144_6
; %bb.7:
	s_or_b32 exec_lo, exec_lo, s0
.LBB144_8:
	s_delay_alu instid0(SALU_CYCLE_1) | instskip(SKIP_3) | instid1(VALU_DEP_3)
	s_or_b32 exec_lo, exec_lo, s1
	v_sub_nc_u32_e32 v7, v2, v4
	v_lshl_add_u32 v2, v4, 3, v0
	v_cmp_lt_i32_e64 s0, 1, v4
	v_lshl_add_u32 v0, v7, 3, v0
	ds_load_b64 v[2:3], v2
	ds_load_b64 v[5:6], v0 offset:16
	v_add_nc_u32_e32 v0, 2, v7
	s_delay_alu instid0(VALU_DEP_1)
	v_cmp_gt_i32_e64 s1, 4, v0
	s_waitcnt lgkmcnt(0)
	v_cmp_lt_i64_e32 vcc_lo, v[5:6], v[2:3]
	s_or_b32 s0, s0, vcc_lo
	s_delay_alu instid0(VALU_DEP_2) | instid1(SALU_CYCLE_1)
	s_and_b32 vcc_lo, s1, s0
	s_add_u32 s0, s2, s4
	v_dual_cndmask_b32 v3, v3, v6 :: v_dual_cndmask_b32 v2, v2, v5
	s_addc_u32 s1, s3, s5
	global_store_b64 v1, v[2:3], s[0:1]
	s_nop 0
	s_sendmsg sendmsg(MSG_DEALLOC_VGPRS)
	s_endpgm
	.section	.rodata,"a",@progbits
	.p2align	6, 0x0
	.amdhsa_kernel _Z9sort_keysILj256ELj4ELj1ExN10test_utils4lessEEvPKT2_PS2_T3_
		.amdhsa_group_segment_fixed_size 2560
		.amdhsa_private_segment_fixed_size 0
		.amdhsa_kernarg_size 20
		.amdhsa_user_sgpr_count 15
		.amdhsa_user_sgpr_dispatch_ptr 0
		.amdhsa_user_sgpr_queue_ptr 0
		.amdhsa_user_sgpr_kernarg_segment_ptr 1
		.amdhsa_user_sgpr_dispatch_id 0
		.amdhsa_user_sgpr_private_segment_size 0
		.amdhsa_wavefront_size32 1
		.amdhsa_uses_dynamic_stack 0
		.amdhsa_enable_private_segment 0
		.amdhsa_system_sgpr_workgroup_id_x 1
		.amdhsa_system_sgpr_workgroup_id_y 0
		.amdhsa_system_sgpr_workgroup_id_z 0
		.amdhsa_system_sgpr_workgroup_info 0
		.amdhsa_system_vgpr_workitem_id 0
		.amdhsa_next_free_vgpr 16
		.amdhsa_next_free_sgpr 16
		.amdhsa_reserve_vcc 1
		.amdhsa_float_round_mode_32 0
		.amdhsa_float_round_mode_16_64 0
		.amdhsa_float_denorm_mode_32 3
		.amdhsa_float_denorm_mode_16_64 3
		.amdhsa_dx10_clamp 1
		.amdhsa_ieee_mode 1
		.amdhsa_fp16_overflow 0
		.amdhsa_workgroup_processor_mode 1
		.amdhsa_memory_ordered 1
		.amdhsa_forward_progress 0
		.amdhsa_shared_vgpr_count 0
		.amdhsa_exception_fp_ieee_invalid_op 0
		.amdhsa_exception_fp_denorm_src 0
		.amdhsa_exception_fp_ieee_div_zero 0
		.amdhsa_exception_fp_ieee_overflow 0
		.amdhsa_exception_fp_ieee_underflow 0
		.amdhsa_exception_fp_ieee_inexact 0
		.amdhsa_exception_int_div_zero 0
	.end_amdhsa_kernel
	.section	.text._Z9sort_keysILj256ELj4ELj1ExN10test_utils4lessEEvPKT2_PS2_T3_,"axG",@progbits,_Z9sort_keysILj256ELj4ELj1ExN10test_utils4lessEEvPKT2_PS2_T3_,comdat
.Lfunc_end144:
	.size	_Z9sort_keysILj256ELj4ELj1ExN10test_utils4lessEEvPKT2_PS2_T3_, .Lfunc_end144-_Z9sort_keysILj256ELj4ELj1ExN10test_utils4lessEEvPKT2_PS2_T3_
                                        ; -- End function
	.section	.AMDGPU.csdata,"",@progbits
; Kernel info:
; codeLenInByte = 696
; NumSgprs: 18
; NumVgprs: 16
; ScratchSize: 0
; MemoryBound: 0
; FloatMode: 240
; IeeeMode: 1
; LDSByteSize: 2560 bytes/workgroup (compile time only)
; SGPRBlocks: 2
; VGPRBlocks: 1
; NumSGPRsForWavesPerEU: 18
; NumVGPRsForWavesPerEU: 16
; Occupancy: 16
; WaveLimiterHint : 0
; COMPUTE_PGM_RSRC2:SCRATCH_EN: 0
; COMPUTE_PGM_RSRC2:USER_SGPR: 15
; COMPUTE_PGM_RSRC2:TRAP_HANDLER: 0
; COMPUTE_PGM_RSRC2:TGID_X_EN: 1
; COMPUTE_PGM_RSRC2:TGID_Y_EN: 0
; COMPUTE_PGM_RSRC2:TGID_Z_EN: 0
; COMPUTE_PGM_RSRC2:TIDIG_COMP_CNT: 0
	.section	.text._Z10sort_pairsILj256ELj4ELj1ExN10test_utils4lessEEvPKT2_PS2_T3_,"axG",@progbits,_Z10sort_pairsILj256ELj4ELj1ExN10test_utils4lessEEvPKT2_PS2_T3_,comdat
	.protected	_Z10sort_pairsILj256ELj4ELj1ExN10test_utils4lessEEvPKT2_PS2_T3_ ; -- Begin function _Z10sort_pairsILj256ELj4ELj1ExN10test_utils4lessEEvPKT2_PS2_T3_
	.globl	_Z10sort_pairsILj256ELj4ELj1ExN10test_utils4lessEEvPKT2_PS2_T3_
	.p2align	8
	.type	_Z10sort_pairsILj256ELj4ELj1ExN10test_utils4lessEEvPKT2_PS2_T3_,@function
_Z10sort_pairsILj256ELj4ELj1ExN10test_utils4lessEEvPKT2_PS2_T3_: ; @_Z10sort_pairsILj256ELj4ELj1ExN10test_utils4lessEEvPKT2_PS2_T3_
; %bb.0:
	s_load_b128 s[0:3], s[0:1], 0x0
	s_mov_b32 s7, 0
	s_lshl_b32 s6, s15, 8
	v_lshlrev_b32_e32 v3, 3, v0
	s_lshl_b64 s[4:5], s[6:7], 3
	v_mbcnt_lo_u32_b32 v4, -1, 0
	v_lshrrev_b32_e32 v6, 2, v0
	s_delay_alu instid0(VALU_DEP_2) | instskip(SKIP_1) | instid1(VALU_DEP_2)
	v_and_b32_e32 v7, 2, v4
	v_and_b32_e32 v9, 1, v4
	v_or_b32_e32 v8, 1, v7
	s_delay_alu instid0(VALU_DEP_1)
	v_sub_nc_u32_e32 v5, v7, v8
	s_waitcnt lgkmcnt(0)
	s_add_u32 s0, s0, s4
	s_addc_u32 s1, s1, s5
	global_load_b64 v[1:2], v3, s[0:1]
	v_add_nc_u32_e32 v10, 2, v5
	v_and_b32_e32 v5, 3, v4
	v_sub_nc_u32_e32 v4, v8, v7
	s_mov_b32 s0, exec_lo
	s_delay_alu instid0(VALU_DEP_3) | instskip(NEXT) | instid1(VALU_DEP_3)
	v_sub_nc_u32_e32 v0, v9, v10
	v_lshlrev_b32_e32 v12, 3, v5
	v_cmp_ge_i32_e32 vcc_lo, v9, v10
	v_lshlrev_b32_e32 v13, 3, v7
	v_min_i32_e32 v11, v9, v4
	; wave barrier
	s_delay_alu instid0(VALU_DEP_4) | instskip(SKIP_1) | instid1(VALU_DEP_4)
	v_mad_u32_u24 v4, v6, 40, v12
	v_cndmask_b32_e32 v0, 0, v0, vcc_lo
	v_mad_u32_u24 v10, v6, 40, v13
	s_waitcnt vmcnt(0)
	ds_store_b64 v4, v[1:2]
	; wave barrier
	v_cmpx_lt_i32_e64 v0, v11
	s_cbranch_execz .LBB145_4
; %bb.1:
	v_lshlrev_b32_e32 v12, 3, v9
	s_delay_alu instid0(VALU_DEP_1)
	v_add3_u32 v12, v10, v12, 8
	.p2align	6
.LBB145_2:                              ; =>This Inner Loop Header: Depth=1
	v_sub_nc_u32_e32 v13, v11, v0
	s_delay_alu instid0(VALU_DEP_1) | instskip(NEXT) | instid1(VALU_DEP_1)
	v_lshrrev_b32_e32 v14, 31, v13
	v_add_nc_u32_e32 v13, v13, v14
	s_delay_alu instid0(VALU_DEP_1) | instskip(NEXT) | instid1(VALU_DEP_1)
	v_ashrrev_i32_e32 v13, 1, v13
	v_add_nc_u32_e32 v17, v13, v0
	s_delay_alu instid0(VALU_DEP_1) | instskip(SKIP_1) | instid1(VALU_DEP_2)
	v_not_b32_e32 v13, v17
	v_lshl_add_u32 v14, v17, 3, v10
	v_lshl_add_u32 v15, v13, 3, v12
	ds_load_b64 v[13:14], v14
	ds_load_b64 v[15:16], v15
	s_waitcnt lgkmcnt(0)
	v_cmp_lt_i64_e32 vcc_lo, v[15:16], v[13:14]
	v_add_nc_u32_e32 v13, 1, v17
	s_delay_alu instid0(VALU_DEP_1) | instskip(NEXT) | instid1(VALU_DEP_1)
	v_dual_cndmask_b32 v11, v11, v17 :: v_dual_cndmask_b32 v0, v13, v0
	v_cmp_ge_i32_e32 vcc_lo, v0, v11
	s_or_b32 s7, vcc_lo, s7
	s_delay_alu instid0(SALU_CYCLE_1)
	s_and_not1_b32 exec_lo, exec_lo, s7
	s_cbranch_execnz .LBB145_2
; %bb.3:
	s_or_b32 exec_lo, exec_lo, s7
.LBB145_4:
	s_delay_alu instid0(SALU_CYCLE_1)
	s_or_b32 exec_lo, exec_lo, s0
	v_add_nc_u32_e32 v11, v7, v9
	v_mul_u32_u24_e32 v6, 40, v6
	v_lshl_add_u32 v10, v0, 3, v10
	v_add_nc_u32_e32 v9, v8, v9
	v_cmp_lt_i32_e64 s0, 0, v0
	v_sub_nc_u32_e32 v11, v11, v0
	s_delay_alu instid0(VALU_DEP_3) | instskip(NEXT) | instid1(VALU_DEP_2)
	v_sub_nc_u32_e32 v14, v9, v0
	v_lshl_add_u32 v12, v11, 3, v6
	ds_load_b64 v[10:11], v10
	ds_load_b64 v[12:13], v12 offset:8
	v_cmp_ge_i32_e64 s1, v8, v14
	; wave barrier
	s_waitcnt lgkmcnt(0)
	v_cmp_lt_i64_e32 vcc_lo, v[12:13], v[10:11]
	s_or_b32 s0, s0, vcc_lo
	s_delay_alu instid0(VALU_DEP_2) | instid1(SALU_CYCLE_1)
	s_and_b32 vcc_lo, s1, s0
	v_dual_cndmask_b32 v9, v11, v13 :: v_dual_add_nc_u32 v0, v0, v7
	v_cndmask_b32_e32 v8, v10, v12, vcc_lo
	s_mov_b32 s1, exec_lo
	s_delay_alu instid0(VALU_DEP_2) | instskip(SKIP_1) | instid1(VALU_DEP_1)
	v_cndmask_b32_e32 v7, v0, v14, vcc_lo
	v_add_co_u32 v0, s0, v1, 1
	v_add_co_ci_u32_e64 v1, s0, 0, v2, s0
	s_delay_alu instid0(VALU_DEP_3)
	v_lshl_add_u32 v2, v7, 3, v6
	v_min_i32_e32 v7, 2, v5
	s_mov_b32 s0, 0
	ds_store_b64 v4, v[0:1]
	; wave barrier
	ds_load_b64 v[0:1], v2
	v_sub_nc_u32_e64 v2, v5, 2 clamp
	; wave barrier
	ds_store_b64 v4, v[8:9]
	; wave barrier
	v_cmpx_lt_u32_e64 v2, v7
	s_cbranch_execz .LBB145_8
; %bb.5:
	v_add_nc_u32_e32 v8, 16, v4
	.p2align	6
.LBB145_6:                              ; =>This Inner Loop Header: Depth=1
	v_sub_nc_u32_e32 v9, v7, v2
	s_delay_alu instid0(VALU_DEP_1) | instskip(NEXT) | instid1(VALU_DEP_1)
	v_lshrrev_b32_e32 v10, 31, v9
	v_add_nc_u32_e32 v9, v9, v10
	s_delay_alu instid0(VALU_DEP_1) | instskip(NEXT) | instid1(VALU_DEP_1)
	v_ashrrev_i32_e32 v9, 1, v9
	v_add_nc_u32_e32 v13, v9, v2
	s_delay_alu instid0(VALU_DEP_1) | instskip(SKIP_1) | instid1(VALU_DEP_2)
	v_not_b32_e32 v9, v13
	v_lshl_add_u32 v10, v13, 3, v6
	v_lshl_add_u32 v11, v9, 3, v8
	ds_load_b64 v[9:10], v10
	ds_load_b64 v[11:12], v11
	s_waitcnt lgkmcnt(0)
	v_cmp_lt_i64_e32 vcc_lo, v[11:12], v[9:10]
	v_add_nc_u32_e32 v9, 1, v13
	s_delay_alu instid0(VALU_DEP_1) | instskip(NEXT) | instid1(VALU_DEP_1)
	v_dual_cndmask_b32 v7, v7, v13 :: v_dual_cndmask_b32 v2, v9, v2
	v_cmp_ge_i32_e32 vcc_lo, v2, v7
	s_or_b32 s0, vcc_lo, s0
	s_delay_alu instid0(SALU_CYCLE_1)
	s_and_not1_b32 exec_lo, exec_lo, s0
	s_cbranch_execnz .LBB145_6
; %bb.7:
	s_or_b32 exec_lo, exec_lo, s0
.LBB145_8:
	s_delay_alu instid0(SALU_CYCLE_1) | instskip(SKIP_3) | instid1(VALU_DEP_3)
	s_or_b32 exec_lo, exec_lo, s1
	v_sub_nc_u32_e32 v5, v5, v2
	v_lshl_add_u32 v7, v2, 3, v6
	v_cmp_lt_i32_e64 s0, 1, v2
	v_lshl_add_u32 v9, v5, 3, v6
	ds_load_b64 v[7:8], v7
	ds_load_b64 v[9:10], v9 offset:16
	v_add_nc_u32_e32 v5, 2, v5
	; wave barrier
	s_waitcnt lgkmcnt(3)
	ds_store_b64 v4, v[0:1]
	v_cmp_gt_i32_e64 s1, 4, v5
	; wave barrier
	s_waitcnt lgkmcnt(1)
	v_cmp_lt_i64_e32 vcc_lo, v[9:10], v[7:8]
	s_or_b32 s0, s0, vcc_lo
	s_delay_alu instid0(VALU_DEP_2) | instid1(SALU_CYCLE_1)
	s_and_b32 vcc_lo, s1, s0
	s_add_u32 s0, s2, s4
	v_cndmask_b32_e32 v8, v8, v10, vcc_lo
	v_cndmask_b32_e32 v2, v2, v5, vcc_lo
	s_addc_u32 s1, s3, s5
	s_delay_alu instid0(VALU_DEP_1) | instskip(SKIP_3) | instid1(VALU_DEP_1)
	v_lshl_add_u32 v2, v2, 3, v6
	ds_load_b64 v[0:1], v2
	v_cndmask_b32_e32 v2, v7, v9, vcc_lo
	s_waitcnt lgkmcnt(0)
	v_add_co_u32 v0, vcc_lo, v0, v2
	v_add_co_ci_u32_e32 v1, vcc_lo, v1, v8, vcc_lo
	global_store_b64 v3, v[0:1], s[0:1]
	s_nop 0
	s_sendmsg sendmsg(MSG_DEALLOC_VGPRS)
	s_endpgm
	.section	.rodata,"a",@progbits
	.p2align	6, 0x0
	.amdhsa_kernel _Z10sort_pairsILj256ELj4ELj1ExN10test_utils4lessEEvPKT2_PS2_T3_
		.amdhsa_group_segment_fixed_size 2560
		.amdhsa_private_segment_fixed_size 0
		.amdhsa_kernarg_size 20
		.amdhsa_user_sgpr_count 15
		.amdhsa_user_sgpr_dispatch_ptr 0
		.amdhsa_user_sgpr_queue_ptr 0
		.amdhsa_user_sgpr_kernarg_segment_ptr 1
		.amdhsa_user_sgpr_dispatch_id 0
		.amdhsa_user_sgpr_private_segment_size 0
		.amdhsa_wavefront_size32 1
		.amdhsa_uses_dynamic_stack 0
		.amdhsa_enable_private_segment 0
		.amdhsa_system_sgpr_workgroup_id_x 1
		.amdhsa_system_sgpr_workgroup_id_y 0
		.amdhsa_system_sgpr_workgroup_id_z 0
		.amdhsa_system_sgpr_workgroup_info 0
		.amdhsa_system_vgpr_workitem_id 0
		.amdhsa_next_free_vgpr 18
		.amdhsa_next_free_sgpr 16
		.amdhsa_reserve_vcc 1
		.amdhsa_float_round_mode_32 0
		.amdhsa_float_round_mode_16_64 0
		.amdhsa_float_denorm_mode_32 3
		.amdhsa_float_denorm_mode_16_64 3
		.amdhsa_dx10_clamp 1
		.amdhsa_ieee_mode 1
		.amdhsa_fp16_overflow 0
		.amdhsa_workgroup_processor_mode 1
		.amdhsa_memory_ordered 1
		.amdhsa_forward_progress 0
		.amdhsa_shared_vgpr_count 0
		.amdhsa_exception_fp_ieee_invalid_op 0
		.amdhsa_exception_fp_denorm_src 0
		.amdhsa_exception_fp_ieee_div_zero 0
		.amdhsa_exception_fp_ieee_overflow 0
		.amdhsa_exception_fp_ieee_underflow 0
		.amdhsa_exception_fp_ieee_inexact 0
		.amdhsa_exception_int_div_zero 0
	.end_amdhsa_kernel
	.section	.text._Z10sort_pairsILj256ELj4ELj1ExN10test_utils4lessEEvPKT2_PS2_T3_,"axG",@progbits,_Z10sort_pairsILj256ELj4ELj1ExN10test_utils4lessEEvPKT2_PS2_T3_,comdat
.Lfunc_end145:
	.size	_Z10sort_pairsILj256ELj4ELj1ExN10test_utils4lessEEvPKT2_PS2_T3_, .Lfunc_end145-_Z10sort_pairsILj256ELj4ELj1ExN10test_utils4lessEEvPKT2_PS2_T3_
                                        ; -- End function
	.section	.AMDGPU.csdata,"",@progbits
; Kernel info:
; codeLenInByte = 796
; NumSgprs: 18
; NumVgprs: 18
; ScratchSize: 0
; MemoryBound: 0
; FloatMode: 240
; IeeeMode: 1
; LDSByteSize: 2560 bytes/workgroup (compile time only)
; SGPRBlocks: 2
; VGPRBlocks: 2
; NumSGPRsForWavesPerEU: 18
; NumVGPRsForWavesPerEU: 18
; Occupancy: 16
; WaveLimiterHint : 0
; COMPUTE_PGM_RSRC2:SCRATCH_EN: 0
; COMPUTE_PGM_RSRC2:USER_SGPR: 15
; COMPUTE_PGM_RSRC2:TRAP_HANDLER: 0
; COMPUTE_PGM_RSRC2:TGID_X_EN: 1
; COMPUTE_PGM_RSRC2:TGID_Y_EN: 0
; COMPUTE_PGM_RSRC2:TGID_Z_EN: 0
; COMPUTE_PGM_RSRC2:TIDIG_COMP_CNT: 0
	.section	.text._Z19sort_keys_segmentedILj256ELj4ELj1ExN10test_utils4lessEEvPKT2_PS2_PKjT3_,"axG",@progbits,_Z19sort_keys_segmentedILj256ELj4ELj1ExN10test_utils4lessEEvPKT2_PS2_PKjT3_,comdat
	.protected	_Z19sort_keys_segmentedILj256ELj4ELj1ExN10test_utils4lessEEvPKT2_PS2_PKjT3_ ; -- Begin function _Z19sort_keys_segmentedILj256ELj4ELj1ExN10test_utils4lessEEvPKT2_PS2_PKjT3_
	.globl	_Z19sort_keys_segmentedILj256ELj4ELj1ExN10test_utils4lessEEvPKT2_PS2_PKjT3_
	.p2align	8
	.type	_Z19sort_keys_segmentedILj256ELj4ELj1ExN10test_utils4lessEEvPKT2_PS2_PKjT3_,@function
_Z19sort_keys_segmentedILj256ELj4ELj1ExN10test_utils4lessEEvPKT2_PS2_PKjT3_: ; @_Z19sort_keys_segmentedILj256ELj4ELj1ExN10test_utils4lessEEvPKT2_PS2_PKjT3_
; %bb.0:
	s_clause 0x1
	s_load_b64 s[2:3], s[0:1], 0x10
	s_load_b128 s[4:7], s[0:1], 0x0
	v_lshrrev_b32_e32 v12, 2, v0
	v_mbcnt_lo_u32_b32 v6, -1, 0
	v_mov_b32_e32 v3, 0
	s_delay_alu instid0(VALU_DEP_3) | instskip(NEXT) | instid1(VALU_DEP_1)
	v_lshl_or_b32 v2, s15, 6, v12
	v_lshlrev_b64 v[0:1], 2, v[2:3]
	v_lshlrev_b32_e32 v2, 2, v2
	s_waitcnt lgkmcnt(0)
	s_delay_alu instid0(VALU_DEP_2) | instskip(NEXT) | instid1(VALU_DEP_3)
	v_add_co_u32 v0, vcc_lo, s2, v0
	v_add_co_ci_u32_e32 v1, vcc_lo, s3, v1, vcc_lo
	global_load_b32 v7, v[0:1], off
	v_and_b32_e32 v0, 3, v6
	s_waitcnt vmcnt(0)
	s_delay_alu instid0(VALU_DEP_1) | instskip(SKIP_1) | instid1(VALU_DEP_1)
	v_cmp_lt_u32_e32 vcc_lo, v0, v7
	v_cmp_ge_u32_e64 s0, v0, v7
	s_and_saveexec_b32 s1, s0
	s_delay_alu instid0(SALU_CYCLE_1)
	s_xor_b32 s0, exec_lo, s1
; %bb.1:
	v_mov_b32_e32 v1, v3
; %bb.2:
	s_or_saveexec_b32 s1, s0
	v_lshlrev_b64 v[2:3], 3, v[2:3]
                                        ; implicit-def: $vgpr4_vgpr5
	s_xor_b32 exec_lo, exec_lo, s1
	s_cbranch_execz .LBB146_4
; %bb.3:
	v_lshlrev_b32_e32 v1, 3, v0
	s_delay_alu instid0(VALU_DEP_2) | instskip(NEXT) | instid1(VALU_DEP_1)
	v_add_co_u32 v4, s0, s4, v2
	v_add_co_ci_u32_e64 v5, s0, s5, v3, s0
	s_delay_alu instid0(VALU_DEP_2) | instskip(NEXT) | instid1(VALU_DEP_1)
	v_add_co_u32 v4, s0, v4, v1
	v_add_co_ci_u32_e64 v5, s0, 0, v5, s0
	v_mov_b32_e32 v1, 0
	global_load_b64 v[4:5], v[4:5], off
.LBB146_4:
	s_or_b32 exec_lo, exec_lo, s1
	v_and_b32_e32 v8, 2, v6
	v_and_b32_e32 v6, 1, v6
	v_lshlrev_b32_e32 v16, 3, v0
	s_mov_b32 s2, 0
	s_mov_b32 s1, exec_lo
	v_min_i32_e32 v11, v7, v8
	v_min_i32_e32 v14, v7, v6
	v_mul_u32_u24_e32 v6, 40, v12
	; wave barrier
	s_delay_alu instid0(VALU_DEP_3) | instskip(SKIP_1) | instid1(VALU_DEP_2)
	v_add_nc_u32_e32 v8, 1, v11
	v_lshlrev_b32_e32 v17, 3, v11
	v_min_i32_e32 v10, v7, v8
	s_delay_alu instid0(VALU_DEP_1) | instskip(SKIP_1) | instid1(VALU_DEP_2)
	v_add_nc_u32_e32 v8, 1, v10
	v_sub_nc_u32_e32 v15, v10, v11
	v_min_i32_e32 v9, v7, v8
	s_delay_alu instid0(VALU_DEP_2) | instskip(NEXT) | instid1(VALU_DEP_2)
	v_min_i32_e32 v15, v14, v15
	v_sub_nc_u32_e32 v8, v9, v10
	s_delay_alu instid0(VALU_DEP_1) | instskip(SKIP_3) | instid1(VALU_DEP_3)
	v_sub_nc_u32_e32 v13, v14, v8
	v_cmp_ge_i32_e64 s0, v14, v8
	v_mad_u32_u24 v8, v12, 40, v16
	v_mad_u32_u24 v12, v12, 40, v17
	v_cndmask_b32_e64 v13, 0, v13, s0
	s_waitcnt vmcnt(0)
	ds_store_b64 v8, v[4:5]
	; wave barrier
	v_cmpx_lt_i32_e64 v13, v15
	s_cbranch_execz .LBB146_8
; %bb.5:
	v_lshlrev_b32_e32 v4, 3, v10
	v_lshlrev_b32_e32 v5, 3, v14
	s_delay_alu instid0(VALU_DEP_1)
	v_add3_u32 v4, v6, v4, v5
	.p2align	6
.LBB146_6:                              ; =>This Inner Loop Header: Depth=1
	v_sub_nc_u32_e32 v5, v15, v13
	s_delay_alu instid0(VALU_DEP_1) | instskip(NEXT) | instid1(VALU_DEP_1)
	v_lshrrev_b32_e32 v16, 31, v5
	v_add_nc_u32_e32 v5, v5, v16
	s_delay_alu instid0(VALU_DEP_1) | instskip(NEXT) | instid1(VALU_DEP_1)
	v_ashrrev_i32_e32 v5, 1, v5
	v_add_nc_u32_e32 v5, v5, v13
	s_delay_alu instid0(VALU_DEP_1) | instskip(SKIP_1) | instid1(VALU_DEP_2)
	v_not_b32_e32 v16, v5
	v_lshl_add_u32 v17, v5, 3, v12
	v_lshl_add_u32 v18, v16, 3, v4
	ds_load_b64 v[16:17], v17
	ds_load_b64 v[18:19], v18
	s_waitcnt lgkmcnt(0)
	v_cmp_lt_i64_e64 s0, v[18:19], v[16:17]
	v_add_nc_u32_e32 v16, 1, v5
	s_delay_alu instid0(VALU_DEP_2) | instskip(NEXT) | instid1(VALU_DEP_2)
	v_cndmask_b32_e64 v15, v15, v5, s0
	v_cndmask_b32_e64 v13, v16, v13, s0
	s_delay_alu instid0(VALU_DEP_1) | instskip(NEXT) | instid1(VALU_DEP_1)
	v_cmp_ge_i32_e64 s0, v13, v15
	s_or_b32 s2, s0, s2
	s_delay_alu instid0(SALU_CYCLE_1)
	s_and_not1_b32 exec_lo, exec_lo, s2
	s_cbranch_execnz .LBB146_6
; %bb.7:
	s_or_b32 exec_lo, exec_lo, s2
.LBB146_8:
	s_delay_alu instid0(SALU_CYCLE_1) | instskip(SKIP_4) | instid1(VALU_DEP_3)
	s_or_b32 exec_lo, exec_lo, s1
	v_add_nc_u32_e32 v4, v10, v14
	v_lshl_add_u32 v5, v13, 3, v12
	v_add_nc_u32_e32 v11, v13, v11
	s_mov_b32 s3, 0
	v_sub_nc_u32_e32 v18, v4, v13
	v_min_i32_e32 v4, 0, v7
	s_delay_alu instid0(VALU_DEP_3) | instskip(NEXT) | instid1(VALU_DEP_3)
	v_cmp_le_i32_e64 s1, v10, v11
	v_lshl_add_u32 v12, v18, 3, v6
	s_delay_alu instid0(VALU_DEP_3) | instskip(SKIP_4) | instid1(VALU_DEP_1)
	v_add_nc_u32_e32 v19, 2, v4
	v_cmp_gt_i32_e64 s2, v9, v18
	ds_load_b64 v[14:15], v5
	ds_load_b64 v[16:17], v12
	v_min_i32_e32 v12, v7, v19
	; wave barrier
	v_add_nc_u32_e32 v5, 2, v12
	v_sub_nc_u32_e32 v19, v12, v4
	s_delay_alu instid0(VALU_DEP_2) | instskip(SKIP_1) | instid1(VALU_DEP_2)
	v_min_i32_e32 v5, v7, v5
	v_min_i32_e32 v7, v7, v0
	v_sub_nc_u32_e32 v13, v5, v12
	s_delay_alu instid0(VALU_DEP_2) | instskip(SKIP_2) | instid1(VALU_DEP_3)
	v_min_i32_e32 v11, v7, v19
	s_waitcnt lgkmcnt(0)
	v_cmp_lt_i64_e64 s0, v[16:17], v[14:15]
	v_sub_nc_u32_e32 v10, v7, v13
	s_delay_alu instid0(VALU_DEP_2) | instskip(SKIP_1) | instid1(VALU_DEP_1)
	s_or_b32 s1, s1, s0
	v_cmp_ge_i32_e64 s0, v7, v13
	v_cndmask_b32_e64 v9, 0, v10, s0
	s_and_b32 s0, s2, s1
	v_lshl_add_u32 v10, v4, 3, v6
	v_cndmask_b32_e64 v15, v15, v17, s0
	v_cndmask_b32_e64 v14, v14, v16, s0
	s_mov_b32 s1, exec_lo
	ds_store_b64 v8, v[14:15]
	; wave barrier
	v_cmpx_lt_i32_e64 v9, v11
	s_cbranch_execnz .LBB146_11
; %bb.9:
	s_or_b32 exec_lo, exec_lo, s1
	s_and_saveexec_b32 s0, vcc_lo
	s_cbranch_execnz .LBB146_14
.LBB146_10:
	s_endpgm
.LBB146_11:
	v_lshlrev_b32_e32 v8, 3, v12
	v_lshlrev_b32_e32 v13, 3, v7
	s_delay_alu instid0(VALU_DEP_1)
	v_add3_u32 v8, v6, v8, v13
	.p2align	6
.LBB146_12:                             ; =>This Inner Loop Header: Depth=1
	v_sub_nc_u32_e32 v13, v11, v9
	s_delay_alu instid0(VALU_DEP_1) | instskip(NEXT) | instid1(VALU_DEP_1)
	v_lshrrev_b32_e32 v14, 31, v13
	v_add_nc_u32_e32 v13, v13, v14
	s_delay_alu instid0(VALU_DEP_1) | instskip(NEXT) | instid1(VALU_DEP_1)
	v_ashrrev_i32_e32 v13, 1, v13
	v_add_nc_u32_e32 v17, v13, v9
	s_delay_alu instid0(VALU_DEP_1) | instskip(SKIP_1) | instid1(VALU_DEP_2)
	v_not_b32_e32 v13, v17
	v_lshl_add_u32 v14, v17, 3, v10
	v_lshl_add_u32 v15, v13, 3, v8
	ds_load_b64 v[13:14], v14
	ds_load_b64 v[15:16], v15
	s_waitcnt lgkmcnt(0)
	v_cmp_lt_i64_e64 s0, v[15:16], v[13:14]
	v_add_nc_u32_e32 v13, 1, v17
	s_delay_alu instid0(VALU_DEP_2) | instskip(NEXT) | instid1(VALU_DEP_2)
	v_cndmask_b32_e64 v11, v11, v17, s0
	v_cndmask_b32_e64 v9, v13, v9, s0
	s_delay_alu instid0(VALU_DEP_1) | instskip(NEXT) | instid1(VALU_DEP_1)
	v_cmp_ge_i32_e64 s0, v9, v11
	s_or_b32 s3, s0, s3
	s_delay_alu instid0(SALU_CYCLE_1)
	s_and_not1_b32 exec_lo, exec_lo, s3
	s_cbranch_execnz .LBB146_12
; %bb.13:
	s_or_b32 exec_lo, exec_lo, s3
	s_delay_alu instid0(SALU_CYCLE_1)
	s_or_b32 exec_lo, exec_lo, s1
	s_and_saveexec_b32 s0, vcc_lo
	s_cbranch_execz .LBB146_10
.LBB146_14:
	v_add_nc_u32_e32 v7, v12, v7
	v_lshl_add_u32 v10, v9, 3, v10
	v_lshlrev_b64 v[0:1], 3, v[0:1]
	v_add_co_u32 v2, s1, s6, v2
	s_delay_alu instid0(VALU_DEP_4) | instskip(SKIP_1) | instid1(VALU_DEP_2)
	v_sub_nc_u32_e32 v8, v7, v9
	v_add_co_ci_u32_e64 v3, s1, s7, v3, s1
	v_lshl_add_u32 v6, v8, 3, v6
	v_cmp_gt_i32_e64 s1, v5, v8
	ds_load_b64 v[6:7], v6
	ds_load_b64 v[10:11], v10
	v_add_nc_u32_e32 v4, v9, v4
	s_delay_alu instid0(VALU_DEP_1) | instskip(SKIP_2) | instid1(VALU_DEP_1)
	v_cmp_le_i32_e32 vcc_lo, v12, v4
	s_waitcnt lgkmcnt(0)
	v_cmp_lt_i64_e64 s0, v[6:7], v[10:11]
	s_or_b32 s0, vcc_lo, s0
	v_add_co_u32 v0, vcc_lo, v2, v0
	v_add_co_ci_u32_e32 v1, vcc_lo, v3, v1, vcc_lo
	s_and_b32 vcc_lo, s1, s0
	v_dual_cndmask_b32 v3, v11, v7 :: v_dual_cndmask_b32 v2, v10, v6
	global_store_b64 v[0:1], v[2:3], off
	s_nop 0
	s_sendmsg sendmsg(MSG_DEALLOC_VGPRS)
	s_endpgm
	.section	.rodata,"a",@progbits
	.p2align	6, 0x0
	.amdhsa_kernel _Z19sort_keys_segmentedILj256ELj4ELj1ExN10test_utils4lessEEvPKT2_PS2_PKjT3_
		.amdhsa_group_segment_fixed_size 2560
		.amdhsa_private_segment_fixed_size 0
		.amdhsa_kernarg_size 28
		.amdhsa_user_sgpr_count 15
		.amdhsa_user_sgpr_dispatch_ptr 0
		.amdhsa_user_sgpr_queue_ptr 0
		.amdhsa_user_sgpr_kernarg_segment_ptr 1
		.amdhsa_user_sgpr_dispatch_id 0
		.amdhsa_user_sgpr_private_segment_size 0
		.amdhsa_wavefront_size32 1
		.amdhsa_uses_dynamic_stack 0
		.amdhsa_enable_private_segment 0
		.amdhsa_system_sgpr_workgroup_id_x 1
		.amdhsa_system_sgpr_workgroup_id_y 0
		.amdhsa_system_sgpr_workgroup_id_z 0
		.amdhsa_system_sgpr_workgroup_info 0
		.amdhsa_system_vgpr_workitem_id 0
		.amdhsa_next_free_vgpr 20
		.amdhsa_next_free_sgpr 16
		.amdhsa_reserve_vcc 1
		.amdhsa_float_round_mode_32 0
		.amdhsa_float_round_mode_16_64 0
		.amdhsa_float_denorm_mode_32 3
		.amdhsa_float_denorm_mode_16_64 3
		.amdhsa_dx10_clamp 1
		.amdhsa_ieee_mode 1
		.amdhsa_fp16_overflow 0
		.amdhsa_workgroup_processor_mode 1
		.amdhsa_memory_ordered 1
		.amdhsa_forward_progress 0
		.amdhsa_shared_vgpr_count 0
		.amdhsa_exception_fp_ieee_invalid_op 0
		.amdhsa_exception_fp_denorm_src 0
		.amdhsa_exception_fp_ieee_div_zero 0
		.amdhsa_exception_fp_ieee_overflow 0
		.amdhsa_exception_fp_ieee_underflow 0
		.amdhsa_exception_fp_ieee_inexact 0
		.amdhsa_exception_int_div_zero 0
	.end_amdhsa_kernel
	.section	.text._Z19sort_keys_segmentedILj256ELj4ELj1ExN10test_utils4lessEEvPKT2_PS2_PKjT3_,"axG",@progbits,_Z19sort_keys_segmentedILj256ELj4ELj1ExN10test_utils4lessEEvPKT2_PS2_PKjT3_,comdat
.Lfunc_end146:
	.size	_Z19sort_keys_segmentedILj256ELj4ELj1ExN10test_utils4lessEEvPKT2_PS2_PKjT3_, .Lfunc_end146-_Z19sort_keys_segmentedILj256ELj4ELj1ExN10test_utils4lessEEvPKT2_PS2_PKjT3_
                                        ; -- End function
	.section	.AMDGPU.csdata,"",@progbits
; Kernel info:
; codeLenInByte = 1056
; NumSgprs: 18
; NumVgprs: 20
; ScratchSize: 0
; MemoryBound: 0
; FloatMode: 240
; IeeeMode: 1
; LDSByteSize: 2560 bytes/workgroup (compile time only)
; SGPRBlocks: 2
; VGPRBlocks: 2
; NumSGPRsForWavesPerEU: 18
; NumVGPRsForWavesPerEU: 20
; Occupancy: 16
; WaveLimiterHint : 0
; COMPUTE_PGM_RSRC2:SCRATCH_EN: 0
; COMPUTE_PGM_RSRC2:USER_SGPR: 15
; COMPUTE_PGM_RSRC2:TRAP_HANDLER: 0
; COMPUTE_PGM_RSRC2:TGID_X_EN: 1
; COMPUTE_PGM_RSRC2:TGID_Y_EN: 0
; COMPUTE_PGM_RSRC2:TGID_Z_EN: 0
; COMPUTE_PGM_RSRC2:TIDIG_COMP_CNT: 0
	.section	.text._Z20sort_pairs_segmentedILj256ELj4ELj1ExN10test_utils4lessEEvPKT2_PS2_PKjT3_,"axG",@progbits,_Z20sort_pairs_segmentedILj256ELj4ELj1ExN10test_utils4lessEEvPKT2_PS2_PKjT3_,comdat
	.protected	_Z20sort_pairs_segmentedILj256ELj4ELj1ExN10test_utils4lessEEvPKT2_PS2_PKjT3_ ; -- Begin function _Z20sort_pairs_segmentedILj256ELj4ELj1ExN10test_utils4lessEEvPKT2_PS2_PKjT3_
	.globl	_Z20sort_pairs_segmentedILj256ELj4ELj1ExN10test_utils4lessEEvPKT2_PS2_PKjT3_
	.p2align	8
	.type	_Z20sort_pairs_segmentedILj256ELj4ELj1ExN10test_utils4lessEEvPKT2_PS2_PKjT3_,@function
_Z20sort_pairs_segmentedILj256ELj4ELj1ExN10test_utils4lessEEvPKT2_PS2_PKjT3_: ; @_Z20sort_pairs_segmentedILj256ELj4ELj1ExN10test_utils4lessEEvPKT2_PS2_PKjT3_
; %bb.0:
	s_clause 0x1
	s_load_b64 s[2:3], s[0:1], 0x10
	s_load_b128 s[4:7], s[0:1], 0x0
	v_lshrrev_b32_e32 v13, 2, v0
	v_mbcnt_lo_u32_b32 v9, -1, 0
	v_mov_b32_e32 v3, 0
	s_delay_alu instid0(VALU_DEP_3) | instskip(NEXT) | instid1(VALU_DEP_1)
	v_lshl_or_b32 v2, s15, 6, v13
	v_lshlrev_b64 v[0:1], 2, v[2:3]
	v_lshlrev_b32_e32 v2, 2, v2
	s_waitcnt lgkmcnt(0)
	s_delay_alu instid0(VALU_DEP_2) | instskip(NEXT) | instid1(VALU_DEP_3)
	v_add_co_u32 v0, vcc_lo, s2, v0
	v_add_co_ci_u32_e32 v1, vcc_lo, s3, v1, vcc_lo
	global_load_b32 v6, v[0:1], off
	v_and_b32_e32 v0, 3, v9
	s_waitcnt vmcnt(0)
	s_delay_alu instid0(VALU_DEP_1) | instskip(SKIP_1) | instid1(VALU_DEP_1)
	v_cmp_lt_u32_e32 vcc_lo, v0, v6
	v_cmp_ge_u32_e64 s0, v0, v6
	s_and_saveexec_b32 s1, s0
	s_delay_alu instid0(SALU_CYCLE_1)
	s_xor_b32 s0, exec_lo, s1
; %bb.1:
	v_mov_b32_e32 v1, v3
; %bb.2:
	s_or_saveexec_b32 s1, s0
	v_lshlrev_b64 v[2:3], 3, v[2:3]
                                        ; implicit-def: $vgpr4_vgpr5
	s_xor_b32 exec_lo, exec_lo, s1
	s_cbranch_execz .LBB147_4
; %bb.3:
	v_lshlrev_b32_e32 v1, 3, v0
	s_delay_alu instid0(VALU_DEP_2) | instskip(NEXT) | instid1(VALU_DEP_1)
	v_add_co_u32 v4, s0, s4, v2
	v_add_co_ci_u32_e64 v5, s0, s5, v3, s0
	s_delay_alu instid0(VALU_DEP_2) | instskip(NEXT) | instid1(VALU_DEP_1)
	v_add_co_u32 v4, s0, v4, v1
	v_add_co_ci_u32_e64 v5, s0, 0, v5, s0
	v_mov_b32_e32 v1, 0
	global_load_b64 v[4:5], v[4:5], off
.LBB147_4:
	s_or_b32 exec_lo, exec_lo, s1
	v_and_b32_e32 v7, 2, v9
	v_and_b32_e32 v11, 1, v9
	v_lshlrev_b32_e32 v16, 3, v0
	s_mov_b32 s2, 0
	s_mov_b32 s1, exec_lo
	v_min_i32_e32 v8, v6, v7
	v_min_i32_e32 v14, v6, v11
	; wave barrier
	s_delay_alu instid0(VALU_DEP_2) | instskip(SKIP_1) | instid1(VALU_DEP_2)
	v_add_nc_u32_e32 v7, 1, v8
	v_lshlrev_b32_e32 v17, 3, v8
	v_min_i32_e32 v7, v6, v7
	s_delay_alu instid0(VALU_DEP_1) | instskip(SKIP_1) | instid1(VALU_DEP_2)
	v_add_nc_u32_e32 v10, 1, v7
	v_sub_nc_u32_e32 v15, v7, v8
	v_min_i32_e32 v9, v6, v10
	v_mul_u32_u24_e32 v10, 40, v13
	s_delay_alu instid0(VALU_DEP_3) | instskip(NEXT) | instid1(VALU_DEP_3)
	v_min_i32_e32 v15, v14, v15
	v_sub_nc_u32_e32 v11, v9, v7
	s_delay_alu instid0(VALU_DEP_1) | instskip(SKIP_3) | instid1(VALU_DEP_3)
	v_sub_nc_u32_e32 v12, v14, v11
	v_cmp_ge_i32_e64 s0, v14, v11
	v_mad_u32_u24 v11, v13, 40, v16
	v_mad_u32_u24 v13, v13, 40, v17
	v_cndmask_b32_e64 v12, 0, v12, s0
	s_waitcnt vmcnt(0)
	ds_store_b64 v11, v[4:5]
	; wave barrier
	v_cmpx_lt_i32_e64 v12, v15
	s_cbranch_execz .LBB147_8
; %bb.5:
	v_lshlrev_b32_e32 v16, 3, v7
	v_lshlrev_b32_e32 v17, 3, v14
	s_delay_alu instid0(VALU_DEP_1)
	v_add3_u32 v16, v10, v16, v17
	.p2align	6
.LBB147_6:                              ; =>This Inner Loop Header: Depth=1
	v_sub_nc_u32_e32 v17, v15, v12
	s_delay_alu instid0(VALU_DEP_1) | instskip(NEXT) | instid1(VALU_DEP_1)
	v_lshrrev_b32_e32 v18, 31, v17
	v_add_nc_u32_e32 v17, v17, v18
	s_delay_alu instid0(VALU_DEP_1) | instskip(NEXT) | instid1(VALU_DEP_1)
	v_ashrrev_i32_e32 v17, 1, v17
	v_add_nc_u32_e32 v21, v17, v12
	s_delay_alu instid0(VALU_DEP_1) | instskip(SKIP_1) | instid1(VALU_DEP_2)
	v_not_b32_e32 v17, v21
	v_lshl_add_u32 v18, v21, 3, v13
	v_lshl_add_u32 v19, v17, 3, v16
	ds_load_b64 v[17:18], v18
	ds_load_b64 v[19:20], v19
	s_waitcnt lgkmcnt(0)
	v_cmp_lt_i64_e64 s0, v[19:20], v[17:18]
	v_add_nc_u32_e32 v17, 1, v21
	s_delay_alu instid0(VALU_DEP_2) | instskip(NEXT) | instid1(VALU_DEP_2)
	v_cndmask_b32_e64 v15, v15, v21, s0
	v_cndmask_b32_e64 v12, v17, v12, s0
	s_delay_alu instid0(VALU_DEP_1) | instskip(NEXT) | instid1(VALU_DEP_1)
	v_cmp_ge_i32_e64 s0, v12, v15
	s_or_b32 s2, s0, s2
	s_delay_alu instid0(SALU_CYCLE_1)
	s_and_not1_b32 exec_lo, exec_lo, s2
	s_cbranch_execnz .LBB147_6
; %bb.7:
	s_or_b32 exec_lo, exec_lo, s2
.LBB147_8:
	s_delay_alu instid0(SALU_CYCLE_1) | instskip(SKIP_3) | instid1(VALU_DEP_3)
	s_or_b32 exec_lo, exec_lo, s1
	v_add_nc_u32_e32 v14, v7, v14
	v_lshl_add_u32 v13, v12, 3, v13
	v_add_nc_u32_e32 v8, v12, v8
	v_sub_nc_u32_e32 v14, v14, v12
	s_delay_alu instid0(VALU_DEP_2) | instskip(NEXT) | instid1(VALU_DEP_2)
	v_cmp_le_i32_e64 s1, v7, v8
	v_lshl_add_u32 v15, v14, 3, v10
	v_cmp_gt_i32_e64 s2, v9, v14
	ds_load_b64 v[16:17], v13
	ds_load_b64 v[18:19], v15
	v_min_i32_e32 v13, 0, v6
	; wave barrier
	s_delay_alu instid0(VALU_DEP_1) | instskip(NEXT) | instid1(VALU_DEP_1)
	v_add_nc_u32_e32 v12, 2, v13
	v_min_i32_e32 v12, v6, v12
	s_delay_alu instid0(VALU_DEP_1) | instskip(SKIP_3) | instid1(VALU_DEP_1)
	v_add_nc_u32_e32 v7, 2, v12
	v_sub_nc_u32_e32 v9, v12, v13
	s_waitcnt lgkmcnt(0)
	v_cmp_lt_i64_e64 s0, v[18:19], v[16:17]
	s_or_b32 s1, s1, s0
	v_add_co_u32 v4, s0, v4, 1
	s_delay_alu instid0(VALU_DEP_1)
	v_add_co_ci_u32_e64 v5, s0, 0, v5, s0
	s_and_b32 s0, s2, s1
	s_mov_b32 s2, 0
	v_cndmask_b32_e64 v8, v8, v14, s0
	ds_store_b64 v11, v[4:5]
	v_min_i32_e32 v14, v6, v7
	; wave barrier
	v_lshl_add_u32 v4, v8, 3, v10
	v_min_i32_e32 v6, v6, v0
	s_delay_alu instid0(VALU_DEP_3)
	v_sub_nc_u32_e32 v7, v14, v12
	v_cndmask_b32_e64 v17, v17, v19, s0
	v_cndmask_b32_e64 v16, v16, v18, s0
	ds_load_b64 v[4:5], v4
	v_sub_nc_u32_e32 v8, v6, v7
	v_cmp_ge_i32_e64 s1, v6, v7
	v_lshl_add_u32 v7, v13, 3, v10
	; wave barrier
	ds_store_b64 v11, v[16:17]
	v_cndmask_b32_e64 v15, 0, v8, s1
	v_min_i32_e32 v8, v6, v9
	s_mov_b32 s1, exec_lo
	; wave barrier
	s_delay_alu instid0(VALU_DEP_1)
	v_cmpx_lt_i32_e64 v15, v8
	s_cbranch_execz .LBB147_12
; %bb.9:
	v_lshlrev_b32_e32 v9, 3, v12
	v_lshlrev_b32_e32 v16, 3, v6
	s_delay_alu instid0(VALU_DEP_1)
	v_add3_u32 v9, v10, v9, v16
	.p2align	6
.LBB147_10:                             ; =>This Inner Loop Header: Depth=1
	v_sub_nc_u32_e32 v16, v8, v15
	s_delay_alu instid0(VALU_DEP_1) | instskip(NEXT) | instid1(VALU_DEP_1)
	v_lshrrev_b32_e32 v17, 31, v16
	v_add_nc_u32_e32 v16, v16, v17
	s_delay_alu instid0(VALU_DEP_1) | instskip(NEXT) | instid1(VALU_DEP_1)
	v_ashrrev_i32_e32 v16, 1, v16
	v_add_nc_u32_e32 v20, v16, v15
	s_delay_alu instid0(VALU_DEP_1) | instskip(SKIP_1) | instid1(VALU_DEP_2)
	v_not_b32_e32 v16, v20
	v_lshl_add_u32 v17, v20, 3, v7
	v_lshl_add_u32 v18, v16, 3, v9
	ds_load_b64 v[16:17], v17
	ds_load_b64 v[18:19], v18
	s_waitcnt lgkmcnt(0)
	v_cmp_lt_i64_e64 s0, v[18:19], v[16:17]
	v_add_nc_u32_e32 v16, 1, v20
	s_delay_alu instid0(VALU_DEP_2) | instskip(NEXT) | instid1(VALU_DEP_2)
	v_cndmask_b32_e64 v8, v8, v20, s0
	v_cndmask_b32_e64 v15, v16, v15, s0
	s_delay_alu instid0(VALU_DEP_1) | instskip(NEXT) | instid1(VALU_DEP_1)
	v_cmp_ge_i32_e64 s0, v15, v8
	s_or_b32 s2, s0, s2
	s_delay_alu instid0(SALU_CYCLE_1)
	s_and_not1_b32 exec_lo, exec_lo, s2
	s_cbranch_execnz .LBB147_10
; %bb.11:
	s_or_b32 exec_lo, exec_lo, s2
.LBB147_12:
	s_delay_alu instid0(SALU_CYCLE_1) | instskip(SKIP_1) | instid1(VALU_DEP_1)
	s_or_b32 exec_lo, exec_lo, s1
	v_add_nc_u32_e32 v6, v12, v6
	v_sub_nc_u32_e32 v16, v6, v15
	v_lshl_add_u32 v6, v15, 3, v7
	s_delay_alu instid0(VALU_DEP_2)
	v_lshl_add_u32 v8, v16, 3, v10
	ds_load_b64 v[6:7], v6
	ds_load_b64 v[8:9], v8
	; wave barrier
	s_waitcnt lgkmcnt(3)
	ds_store_b64 v11, v[4:5]
	; wave barrier
	s_and_saveexec_b32 s0, vcc_lo
	s_cbranch_execz .LBB147_14
; %bb.13:
	v_add_nc_u32_e32 v4, v15, v13
	s_waitcnt lgkmcnt(1)
	v_cmp_lt_i64_e32 vcc_lo, v[8:9], v[6:7]
	v_cmp_gt_i32_e64 s1, v14, v16
	v_lshlrev_b64 v[0:1], 3, v[0:1]
	v_cmp_le_i32_e64 s0, v12, v4
	s_delay_alu instid0(VALU_DEP_1)
	s_or_b32 s0, s0, vcc_lo
	s_delay_alu instid0(VALU_DEP_3) | instid1(SALU_CYCLE_1)
	s_and_b32 vcc_lo, s1, s0
	v_add_co_u32 v2, s0, s6, v2
	v_dual_cndmask_b32 v7, v7, v9 :: v_dual_cndmask_b32 v4, v4, v16
	v_add_co_ci_u32_e64 v3, s0, s7, v3, s0
	v_cndmask_b32_e32 v6, v6, v8, vcc_lo
	s_delay_alu instid0(VALU_DEP_4) | instskip(NEXT) | instid1(VALU_DEP_4)
	v_add_co_u32 v0, vcc_lo, v2, v0
	v_lshl_add_u32 v4, v4, 3, v10
	s_delay_alu instid0(VALU_DEP_4)
	v_add_co_ci_u32_e32 v1, vcc_lo, v3, v1, vcc_lo
	ds_load_b64 v[4:5], v4
	s_waitcnt lgkmcnt(0)
	v_add_co_u32 v2, vcc_lo, v4, v6
	v_add_co_ci_u32_e32 v3, vcc_lo, v5, v7, vcc_lo
	global_store_b64 v[0:1], v[2:3], off
.LBB147_14:
	s_nop 0
	s_sendmsg sendmsg(MSG_DEALLOC_VGPRS)
	s_endpgm
	.section	.rodata,"a",@progbits
	.p2align	6, 0x0
	.amdhsa_kernel _Z20sort_pairs_segmentedILj256ELj4ELj1ExN10test_utils4lessEEvPKT2_PS2_PKjT3_
		.amdhsa_group_segment_fixed_size 2560
		.amdhsa_private_segment_fixed_size 0
		.amdhsa_kernarg_size 28
		.amdhsa_user_sgpr_count 15
		.amdhsa_user_sgpr_dispatch_ptr 0
		.amdhsa_user_sgpr_queue_ptr 0
		.amdhsa_user_sgpr_kernarg_segment_ptr 1
		.amdhsa_user_sgpr_dispatch_id 0
		.amdhsa_user_sgpr_private_segment_size 0
		.amdhsa_wavefront_size32 1
		.amdhsa_uses_dynamic_stack 0
		.amdhsa_enable_private_segment 0
		.amdhsa_system_sgpr_workgroup_id_x 1
		.amdhsa_system_sgpr_workgroup_id_y 0
		.amdhsa_system_sgpr_workgroup_id_z 0
		.amdhsa_system_sgpr_workgroup_info 0
		.amdhsa_system_vgpr_workitem_id 0
		.amdhsa_next_free_vgpr 22
		.amdhsa_next_free_sgpr 16
		.amdhsa_reserve_vcc 1
		.amdhsa_float_round_mode_32 0
		.amdhsa_float_round_mode_16_64 0
		.amdhsa_float_denorm_mode_32 3
		.amdhsa_float_denorm_mode_16_64 3
		.amdhsa_dx10_clamp 1
		.amdhsa_ieee_mode 1
		.amdhsa_fp16_overflow 0
		.amdhsa_workgroup_processor_mode 1
		.amdhsa_memory_ordered 1
		.amdhsa_forward_progress 0
		.amdhsa_shared_vgpr_count 0
		.amdhsa_exception_fp_ieee_invalid_op 0
		.amdhsa_exception_fp_denorm_src 0
		.amdhsa_exception_fp_ieee_div_zero 0
		.amdhsa_exception_fp_ieee_overflow 0
		.amdhsa_exception_fp_ieee_underflow 0
		.amdhsa_exception_fp_ieee_inexact 0
		.amdhsa_exception_int_div_zero 0
	.end_amdhsa_kernel
	.section	.text._Z20sort_pairs_segmentedILj256ELj4ELj1ExN10test_utils4lessEEvPKT2_PS2_PKjT3_,"axG",@progbits,_Z20sort_pairs_segmentedILj256ELj4ELj1ExN10test_utils4lessEEvPKT2_PS2_PKjT3_,comdat
.Lfunc_end147:
	.size	_Z20sort_pairs_segmentedILj256ELj4ELj1ExN10test_utils4lessEEvPKT2_PS2_PKjT3_, .Lfunc_end147-_Z20sort_pairs_segmentedILj256ELj4ELj1ExN10test_utils4lessEEvPKT2_PS2_PKjT3_
                                        ; -- End function
	.section	.AMDGPU.csdata,"",@progbits
; Kernel info:
; codeLenInByte = 1152
; NumSgprs: 18
; NumVgprs: 22
; ScratchSize: 0
; MemoryBound: 0
; FloatMode: 240
; IeeeMode: 1
; LDSByteSize: 2560 bytes/workgroup (compile time only)
; SGPRBlocks: 2
; VGPRBlocks: 2
; NumSGPRsForWavesPerEU: 18
; NumVGPRsForWavesPerEU: 22
; Occupancy: 16
; WaveLimiterHint : 0
; COMPUTE_PGM_RSRC2:SCRATCH_EN: 0
; COMPUTE_PGM_RSRC2:USER_SGPR: 15
; COMPUTE_PGM_RSRC2:TRAP_HANDLER: 0
; COMPUTE_PGM_RSRC2:TGID_X_EN: 1
; COMPUTE_PGM_RSRC2:TGID_Y_EN: 0
; COMPUTE_PGM_RSRC2:TGID_Z_EN: 0
; COMPUTE_PGM_RSRC2:TIDIG_COMP_CNT: 0
	.section	.text._Z9sort_keysILj256ELj4ELj4ExN10test_utils4lessEEvPKT2_PS2_T3_,"axG",@progbits,_Z9sort_keysILj256ELj4ELj4ExN10test_utils4lessEEvPKT2_PS2_T3_,comdat
	.protected	_Z9sort_keysILj256ELj4ELj4ExN10test_utils4lessEEvPKT2_PS2_T3_ ; -- Begin function _Z9sort_keysILj256ELj4ELj4ExN10test_utils4lessEEvPKT2_PS2_T3_
	.globl	_Z9sort_keysILj256ELj4ELj4ExN10test_utils4lessEEvPKT2_PS2_T3_
	.p2align	8
	.type	_Z9sort_keysILj256ELj4ELj4ExN10test_utils4lessEEvPKT2_PS2_T3_,@function
_Z9sort_keysILj256ELj4ELj4ExN10test_utils4lessEEvPKT2_PS2_T3_: ; @_Z9sort_keysILj256ELj4ELj4ExN10test_utils4lessEEvPKT2_PS2_T3_
; %bb.0:
	s_load_b128 s[4:7], s[0:1], 0x0
	s_mov_b32 s3, 0
	s_lshl_b32 s2, s15, 10
	v_lshlrev_b32_e32 v1, 5, v0
	s_lshl_b64 s[8:9], s[2:3], 3
	v_lshlrev_b32_e32 v16, 2, v0
	s_waitcnt lgkmcnt(0)
	s_add_u32 s0, s4, s8
	s_addc_u32 s1, s5, s9
	s_clause 0x1
	global_load_b128 v[10:13], v1, s[0:1]
	global_load_b128 v[22:25], v1, s[0:1] offset:16
	v_mbcnt_lo_u32_b32 v1, -1, 0
	; wave barrier
	s_delay_alu instid0(VALU_DEP_1) | instskip(SKIP_1) | instid1(VALU_DEP_2)
	v_lshlrev_b32_e32 v2, 2, v1
	v_lshrrev_b32_e32 v1, 2, v0
	v_and_b32_e32 v8, 8, v2
	v_and_b32_e32 v4, 4, v2
	s_delay_alu instid0(VALU_DEP_2) | instskip(SKIP_2) | instid1(VALU_DEP_2)
	v_or_b32_e32 v21, 4, v8
	v_add_nc_u32_e32 v20, 8, v8
	v_lshlrev_b32_e32 v5, 3, v8
	v_sub_nc_u32_e32 v3, v20, v21
	s_delay_alu instid0(VALU_DEP_2) | instskip(NEXT) | instid1(VALU_DEP_2)
	v_mad_u32_u24 v0, 0x88, v1, v5
	v_sub_nc_u32_e32 v7, v4, v3
	v_cmp_ge_i32_e32 vcc_lo, v4, v3
	s_delay_alu instid0(VALU_DEP_2) | instskip(NEXT) | instid1(VALU_DEP_1)
	v_dual_cndmask_b32 v9, 0, v7 :: v_dual_and_b32 v18, 12, v2
	v_lshlrev_b32_e32 v2, 3, v18
	s_delay_alu instid0(VALU_DEP_1)
	v_mad_u32_u24 v19, 0x88, v1, v2
	s_waitcnt vmcnt(1)
	v_cmp_gt_i64_e32 vcc_lo, v[12:13], v[10:11]
	s_waitcnt vmcnt(0)
	v_cmp_lt_i64_e64 s0, v[24:25], v[22:23]
	v_cmp_lt_i64_e64 s1, v[12:13], v[10:11]
	v_cndmask_b32_e32 v5, v10, v12, vcc_lo
	v_sub_nc_u32_e32 v6, v21, v8
	s_delay_alu instid0(VALU_DEP_4)
	v_cndmask_b32_e64 v15, v23, v25, s0
	v_cndmask_b32_e64 v14, v22, v24, s0
	v_cndmask_b32_e64 v3, v12, v10, s1
	v_cndmask_b32_e64 v17, v13, v11, s1
	v_min_i32_e32 v2, v4, v6
	v_cndmask_b32_e32 v6, v11, v13, vcc_lo
	v_cmp_gt_i64_e32 vcc_lo, v[24:25], v[22:23]
	v_cndmask_b32_e64 v11, v11, v13, s1
	v_cndmask_b32_e64 v10, v10, v12, s1
	;; [unrolled: 1-line block ×3, first 2 shown]
	v_cmp_gt_i64_e64 s1, v[14:15], v[5:6]
	v_cmp_lt_i64_e64 s2, v[14:15], v[5:6]
	v_dual_cndmask_b32 v26, v23, v25 :: v_dual_cndmask_b32 v25, v22, v24
	v_cndmask_b32_e64 v7, v24, v22, s0
	v_cmp_lt_i64_e32 vcc_lo, v[14:15], v[10:11]
	v_cndmask_b32_e64 v24, v5, v14, s1
	v_cndmask_b32_e64 v27, v6, v15, s1
	v_cmp_gt_i64_e64 s0, v[5:6], v[25:26]
	v_cndmask_b32_e64 v22, v6, v15, s2
	v_cndmask_b32_e64 v29, v5, v14, s2
	;; [unrolled: 1-line block ×5, first 2 shown]
	v_cndmask_b32_e32 v6, v11, v22, vcc_lo
	v_cndmask_b32_e64 v12, v12, v27, s0
	v_cndmask_b32_e32 v23, v22, v11, vcc_lo
	v_dual_cndmask_b32 v15, v15, v11 :: v_dual_cndmask_b32 v22, v29, v10
	v_cndmask_b32_e64 v28, v27, v26, s0
	v_cndmask_b32_e64 v27, v24, v25, s0
	;; [unrolled: 1-line block ×4, first 2 shown]
	v_cndmask_b32_e32 v3, v3, v10, vcc_lo
	v_cndmask_b32_e32 v5, v10, v29, vcc_lo
	v_cmp_lt_i64_e64 s1, v[27:28], v[22:23]
	v_cndmask_b32_e64 v10, v30, v25, s0
	v_cndmask_b32_e64 v11, v7, v24, s0
	s_mov_b32 s0, exec_lo
	s_delay_alu instid0(VALU_DEP_3)
	v_cndmask_b32_e64 v14, v13, v23, s1
	v_cndmask_b32_e64 v24, v15, v28, s1
	;; [unrolled: 1-line block ×4, first 2 shown]
	ds_store_2addr_b64 v19, v[5:6], v[23:24] offset1:1
	ds_store_2addr_b64 v19, v[13:14], v[11:12] offset0:2 offset1:3
	; wave barrier
	v_cmpx_lt_i32_e64 v9, v2
	s_cbranch_execz .LBB148_4
; %bb.1:
	v_lshlrev_b32_e32 v3, 3, v4
	s_delay_alu instid0(VALU_DEP_1)
	v_add3_u32 v3, v0, v3, 32
	.p2align	6
.LBB148_2:                              ; =>This Inner Loop Header: Depth=1
	v_sub_nc_u32_e32 v5, v2, v9
	s_delay_alu instid0(VALU_DEP_1) | instskip(NEXT) | instid1(VALU_DEP_1)
	v_lshrrev_b32_e32 v6, 31, v5
	v_add_nc_u32_e32 v5, v5, v6
	s_delay_alu instid0(VALU_DEP_1) | instskip(NEXT) | instid1(VALU_DEP_1)
	v_ashrrev_i32_e32 v5, 1, v5
	v_add_nc_u32_e32 v7, v5, v9
	s_delay_alu instid0(VALU_DEP_1) | instskip(SKIP_1) | instid1(VALU_DEP_2)
	v_not_b32_e32 v5, v7
	v_lshl_add_u32 v6, v7, 3, v0
	v_lshl_add_u32 v10, v5, 3, v3
	ds_load_b64 v[5:6], v6
	ds_load_b64 v[10:11], v10
	s_waitcnt lgkmcnt(0)
	v_cmp_lt_i64_e32 vcc_lo, v[10:11], v[5:6]
	v_add_nc_u32_e32 v5, 1, v7
	s_delay_alu instid0(VALU_DEP_1) | instskip(NEXT) | instid1(VALU_DEP_1)
	v_dual_cndmask_b32 v2, v2, v7 :: v_dual_cndmask_b32 v9, v5, v9
	v_cmp_ge_i32_e32 vcc_lo, v9, v2
	s_or_b32 s3, vcc_lo, s3
	s_delay_alu instid0(SALU_CYCLE_1)
	s_and_not1_b32 exec_lo, exec_lo, s3
	s_cbranch_execnz .LBB148_2
; %bb.3:
	s_or_b32 exec_lo, exec_lo, s3
.LBB148_4:
	s_delay_alu instid0(SALU_CYCLE_1)
	s_or_b32 exec_lo, exec_lo, s0
	v_mul_u32_u24_e32 v17, 0x88, v1
	v_add_nc_u32_e32 v1, v8, v4
	v_lshl_add_u32 v6, v9, 3, v0
	v_add_nc_u32_e32 v4, v21, v4
	v_cmp_lt_i32_e64 s0, 3, v9
	s_delay_alu instid0(VALU_DEP_4) | instskip(NEXT) | instid1(VALU_DEP_3)
	v_sub_nc_u32_e32 v1, v1, v9
	v_sub_nc_u32_e32 v10, v4, v9
                                        ; implicit-def: $vgpr4_vgpr5
	s_delay_alu instid0(VALU_DEP_2)
	v_lshl_add_u32 v11, v1, 3, v17
	ds_load_b64 v[0:1], v6
	ds_load_b64 v[2:3], v11 offset:32
	v_cmp_gt_i32_e64 s1, v20, v10
	s_waitcnt lgkmcnt(0)
	v_cmp_lt_i64_e32 vcc_lo, v[2:3], v[0:1]
	s_or_b32 s0, s0, vcc_lo
	s_delay_alu instid0(VALU_DEP_2) | instid1(SALU_CYCLE_1)
	s_and_b32 vcc_lo, s1, s0
	s_delay_alu instid0(SALU_CYCLE_1) | instskip(NEXT) | instid1(SALU_CYCLE_1)
	s_xor_b32 s0, vcc_lo, -1
	s_and_saveexec_b32 s1, s0
	s_delay_alu instid0(SALU_CYCLE_1)
	s_xor_b32 s0, exec_lo, s1
	s_cbranch_execz .LBB148_6
; %bb.5:
	ds_load_b64 v[4:5], v6 offset:8
                                        ; implicit-def: $vgpr11
.LBB148_6:
	s_or_saveexec_b32 s0, s0
	v_dual_mov_b32 v7, v3 :: v_dual_mov_b32 v6, v2
	s_xor_b32 exec_lo, exec_lo, s0
	s_cbranch_execz .LBB148_8
; %bb.7:
	ds_load_b64 v[6:7], v11 offset:40
	s_waitcnt lgkmcnt(1)
	v_dual_mov_b32 v5, v1 :: v_dual_mov_b32 v4, v0
.LBB148_8:
	s_or_b32 exec_lo, exec_lo, s0
	v_add_nc_u32_e32 v8, v9, v8
	s_waitcnt lgkmcnt(0)
	s_delay_alu instid0(VALU_DEP_2) | instskip(NEXT) | instid1(VALU_DEP_2)
	v_cmp_lt_i64_e64 s0, v[6:7], v[4:5]
	v_add_nc_u32_e32 v9, 1, v8
	s_delay_alu instid0(VALU_DEP_1) | instskip(NEXT) | instid1(VALU_DEP_1)
	v_dual_cndmask_b32 v11, v9, v8 :: v_dual_add_nc_u32 v12, 1, v10
	v_cndmask_b32_e32 v10, v10, v12, vcc_lo
                                        ; implicit-def: $vgpr8_vgpr9
	s_delay_alu instid0(VALU_DEP_2) | instskip(NEXT) | instid1(VALU_DEP_2)
	v_cmp_ge_i32_e64 s1, v11, v21
	v_cmp_lt_i32_e64 s2, v10, v20
	s_delay_alu instid0(VALU_DEP_2)
	s_or_b32 s0, s1, s0
	s_delay_alu instid0(VALU_DEP_1) | instid1(SALU_CYCLE_1)
	s_and_b32 s0, s2, s0
	s_delay_alu instid0(SALU_CYCLE_1) | instskip(NEXT) | instid1(SALU_CYCLE_1)
	s_xor_b32 s1, s0, -1
	s_and_saveexec_b32 s2, s1
	s_delay_alu instid0(SALU_CYCLE_1)
	s_xor_b32 s1, exec_lo, s2
	s_cbranch_execz .LBB148_10
; %bb.9:
	v_lshl_add_u32 v8, v11, 3, v17
	ds_load_b64 v[8:9], v8 offset:8
.LBB148_10:
	s_or_saveexec_b32 s1, s1
	v_dual_mov_b32 v13, v7 :: v_dual_mov_b32 v12, v6
	s_xor_b32 exec_lo, exec_lo, s1
	s_cbranch_execz .LBB148_12
; %bb.11:
	s_waitcnt lgkmcnt(0)
	v_lshl_add_u32 v8, v10, 3, v17
	ds_load_b64 v[12:13], v8 offset:8
	v_dual_mov_b32 v9, v5 :: v_dual_mov_b32 v8, v4
.LBB148_12:
	s_or_b32 exec_lo, exec_lo, s1
	v_add_nc_u32_e32 v14, 1, v11
	v_add_nc_u32_e32 v15, 1, v10
	s_waitcnt lgkmcnt(0)
	v_cmp_lt_i64_e64 s1, v[12:13], v[8:9]
	s_delay_alu instid0(VALU_DEP_3) | instskip(NEXT) | instid1(VALU_DEP_3)
	v_cndmask_b32_e64 v23, v14, v11, s0
	v_cndmask_b32_e64 v22, v10, v15, s0
                                        ; implicit-def: $vgpr10_vgpr11
	s_delay_alu instid0(VALU_DEP_2) | instskip(NEXT) | instid1(VALU_DEP_2)
	v_cmp_ge_i32_e64 s2, v23, v21
	v_cmp_lt_i32_e64 s3, v22, v20
	s_delay_alu instid0(VALU_DEP_2)
	s_or_b32 s1, s2, s1
	s_delay_alu instid0(VALU_DEP_1) | instid1(SALU_CYCLE_1)
	s_and_b32 s1, s3, s1
	s_delay_alu instid0(SALU_CYCLE_1) | instskip(NEXT) | instid1(SALU_CYCLE_1)
	s_xor_b32 s2, s1, -1
	s_and_saveexec_b32 s3, s2
	s_delay_alu instid0(SALU_CYCLE_1)
	s_xor_b32 s2, exec_lo, s3
	s_cbranch_execz .LBB148_14
; %bb.13:
	v_lshl_add_u32 v10, v23, 3, v17
	ds_load_b64 v[10:11], v10 offset:8
.LBB148_14:
	s_or_saveexec_b32 s2, s2
	v_dual_mov_b32 v15, v13 :: v_dual_mov_b32 v14, v12
	s_xor_b32 exec_lo, exec_lo, s2
	s_cbranch_execz .LBB148_16
; %bb.15:
	s_waitcnt lgkmcnt(0)
	v_lshl_add_u32 v10, v22, 3, v17
	ds_load_b64 v[14:15], v10 offset:8
	v_dual_mov_b32 v11, v9 :: v_dual_mov_b32 v10, v8
.LBB148_16:
	s_or_b32 exec_lo, exec_lo, s2
	v_add_nc_u32_e32 v24, 1, v23
	v_add_nc_u32_e32 v25, 1, v22
	v_cndmask_b32_e64 v8, v8, v12, s1
	v_cndmask_b32_e64 v5, v5, v7, s0
	;; [unrolled: 1-line block ×5, first 2 shown]
	s_waitcnt lgkmcnt(0)
	v_cmp_lt_i64_e64 s0, v[14:15], v[10:11]
	v_cndmask_b32_e64 v9, v9, v13, s1
	v_dual_cndmask_b32 v3, v1, v3 :: v_dual_cndmask_b32 v2, v0, v2
	v_cmp_ge_i32_e64 s1, v12, v21
	v_cmp_lt_i32_e64 s2, v7, v20
	v_sub_nc_u32_e64 v0, v18, 8 clamp
	v_min_i32_e32 v1, 8, v18
	s_delay_alu instid0(VALU_DEP_4)
	s_or_b32 s0, s1, s0
	; wave barrier
	s_delay_alu instid0(VALU_DEP_3) | instid1(SALU_CYCLE_1)
	s_and_b32 vcc_lo, s2, s0
	s_mov_b32 s0, exec_lo
	v_dual_cndmask_b32 v7, v11, v15 :: v_dual_cndmask_b32 v6, v10, v14
	ds_store_2addr_b64 v19, v[2:3], v[4:5] offset1:1
	ds_store_2addr_b64 v19, v[8:9], v[6:7] offset0:2 offset1:3
	; wave barrier
	v_cmpx_lt_u32_e64 v0, v1
	s_cbranch_execz .LBB148_20
; %bb.17:
	v_add_nc_u32_e32 v2, 64, v19
	s_mov_b32 s1, 0
	.p2align	6
.LBB148_18:                             ; =>This Inner Loop Header: Depth=1
	v_sub_nc_u32_e32 v3, v1, v0
	s_delay_alu instid0(VALU_DEP_1) | instskip(NEXT) | instid1(VALU_DEP_1)
	v_lshrrev_b32_e32 v4, 31, v3
	v_add_nc_u32_e32 v3, v3, v4
	s_delay_alu instid0(VALU_DEP_1) | instskip(NEXT) | instid1(VALU_DEP_1)
	v_ashrrev_i32_e32 v3, 1, v3
	v_add_nc_u32_e32 v7, v3, v0
	s_delay_alu instid0(VALU_DEP_1) | instskip(SKIP_1) | instid1(VALU_DEP_2)
	v_not_b32_e32 v3, v7
	v_lshl_add_u32 v4, v7, 3, v17
	v_lshl_add_u32 v5, v3, 3, v2
	ds_load_b64 v[3:4], v4
	ds_load_b64 v[5:6], v5
	s_waitcnt lgkmcnt(0)
	v_cmp_lt_i64_e32 vcc_lo, v[5:6], v[3:4]
	v_add_nc_u32_e32 v3, 1, v7
	s_delay_alu instid0(VALU_DEP_1) | instskip(NEXT) | instid1(VALU_DEP_1)
	v_dual_cndmask_b32 v1, v1, v7 :: v_dual_cndmask_b32 v0, v3, v0
	v_cmp_ge_i32_e32 vcc_lo, v0, v1
	s_or_b32 s1, vcc_lo, s1
	s_delay_alu instid0(SALU_CYCLE_1)
	s_and_not1_b32 exec_lo, exec_lo, s1
	s_cbranch_execnz .LBB148_18
; %bb.19:
	s_or_b32 exec_lo, exec_lo, s1
.LBB148_20:
	s_delay_alu instid0(SALU_CYCLE_1) | instskip(SKIP_3) | instid1(VALU_DEP_3)
	s_or_b32 exec_lo, exec_lo, s0
	v_sub_nc_u32_e32 v1, v18, v0
	v_lshl_add_u32 v8, v0, 3, v17
	v_cmp_lt_i32_e64 s0, 7, v0
                                        ; implicit-def: $vgpr6_vgpr7
	v_lshl_add_u32 v10, v1, 3, v17
	v_add_nc_u32_e32 v1, 8, v1
	ds_load_b64 v[2:3], v8
	ds_load_b64 v[4:5], v10 offset:64
	v_cmp_gt_i32_e64 s1, 16, v1
	s_waitcnt lgkmcnt(0)
	v_cmp_lt_i64_e32 vcc_lo, v[4:5], v[2:3]
	s_or_b32 s0, s0, vcc_lo
	s_delay_alu instid0(VALU_DEP_2) | instid1(SALU_CYCLE_1)
	s_and_b32 vcc_lo, s1, s0
	s_delay_alu instid0(SALU_CYCLE_1) | instskip(NEXT) | instid1(SALU_CYCLE_1)
	s_xor_b32 s0, vcc_lo, -1
	s_and_saveexec_b32 s1, s0
	s_delay_alu instid0(SALU_CYCLE_1)
	s_xor_b32 s0, exec_lo, s1
	s_cbranch_execz .LBB148_22
; %bb.21:
	ds_load_b64 v[6:7], v8 offset:8
                                        ; implicit-def: $vgpr10
.LBB148_22:
	s_or_saveexec_b32 s0, s0
	v_dual_mov_b32 v9, v5 :: v_dual_mov_b32 v8, v4
	s_xor_b32 exec_lo, exec_lo, s0
	s_cbranch_execz .LBB148_24
; %bb.23:
	ds_load_b64 v[8:9], v10 offset:72
	s_waitcnt lgkmcnt(1)
	v_dual_mov_b32 v7, v3 :: v_dual_mov_b32 v6, v2
.LBB148_24:
	s_or_b32 exec_lo, exec_lo, s0
	v_add_nc_u32_e32 v10, 1, v0
	v_add_nc_u32_e32 v11, 1, v1
	s_waitcnt lgkmcnt(0)
	v_cmp_lt_i64_e64 s0, v[8:9], v[6:7]
                                        ; implicit-def: $vgpr12_vgpr13
	s_delay_alu instid0(VALU_DEP_3) | instskip(NEXT) | instid1(VALU_DEP_3)
	v_cndmask_b32_e32 v14, v10, v0, vcc_lo
	v_cndmask_b32_e32 v0, v1, v11, vcc_lo
	s_delay_alu instid0(VALU_DEP_2) | instskip(NEXT) | instid1(VALU_DEP_2)
	v_cmp_lt_i32_e64 s1, 7, v14
	v_cmp_gt_i32_e64 s2, 16, v0
	s_delay_alu instid0(VALU_DEP_2)
	s_or_b32 s0, s1, s0
	s_delay_alu instid0(VALU_DEP_1) | instid1(SALU_CYCLE_1)
	s_and_b32 s0, s2, s0
	s_delay_alu instid0(SALU_CYCLE_1) | instskip(NEXT) | instid1(SALU_CYCLE_1)
	s_xor_b32 s1, s0, -1
	s_and_saveexec_b32 s2, s1
	s_delay_alu instid0(SALU_CYCLE_1)
	s_xor_b32 s1, exec_lo, s2
	s_cbranch_execz .LBB148_26
; %bb.25:
	v_lshl_add_u32 v1, v14, 3, v17
	ds_load_b64 v[12:13], v1 offset:8
.LBB148_26:
	s_or_saveexec_b32 s1, s1
	v_dual_mov_b32 v11, v9 :: v_dual_mov_b32 v10, v8
	s_xor_b32 exec_lo, exec_lo, s1
	s_cbranch_execz .LBB148_28
; %bb.27:
	v_lshl_add_u32 v1, v0, 3, v17
	s_waitcnt lgkmcnt(0)
	v_dual_mov_b32 v13, v7 :: v_dual_mov_b32 v12, v6
	ds_load_b64 v[10:11], v1 offset:8
.LBB148_28:
	s_or_b32 exec_lo, exec_lo, s1
	v_add_nc_u32_e32 v1, 1, v14
	v_add_nc_u32_e32 v15, 1, v0
	s_waitcnt lgkmcnt(0)
	v_cmp_ge_i64_e64 s1, v[10:11], v[12:13]
                                        ; implicit-def: $vgpr19
	s_delay_alu instid0(VALU_DEP_3) | instskip(NEXT) | instid1(VALU_DEP_3)
	v_cndmask_b32_e64 v20, v1, v14, s0
	v_cndmask_b32_e64 v18, v0, v15, s0
                                        ; implicit-def: $vgpr14_vgpr15
	s_delay_alu instid0(VALU_DEP_2) | instskip(NEXT) | instid1(VALU_DEP_2)
	v_cmp_gt_i32_e64 s2, 8, v20
	v_cmp_lt_i32_e64 s3, 15, v18
	s_delay_alu instid0(VALU_DEP_2)
	s_and_b32 s1, s2, s1
	s_delay_alu instid0(VALU_DEP_1) | instid1(SALU_CYCLE_1)
	s_or_b32 s1, s3, s1
	s_delay_alu instid0(SALU_CYCLE_1) | instskip(NEXT) | instid1(SALU_CYCLE_1)
	s_and_saveexec_b32 s2, s1
	s_xor_b32 s1, exec_lo, s2
	s_cbranch_execz .LBB148_30
; %bb.29:
	v_lshl_add_u32 v0, v20, 3, v17
	v_add_nc_u32_e32 v19, 1, v20
                                        ; implicit-def: $vgpr20
                                        ; implicit-def: $vgpr17
	ds_load_b64 v[14:15], v0 offset:8
.LBB148_30:
	s_or_saveexec_b32 s1, s1
	v_dual_mov_b32 v0, v12 :: v_dual_mov_b32 v1, v13
	s_xor_b32 exec_lo, exec_lo, s1
	s_cbranch_execz .LBB148_32
; %bb.31:
	v_lshl_add_u32 v0, v18, 3, v17
	s_waitcnt lgkmcnt(0)
	v_dual_mov_b32 v15, v13 :: v_dual_add_nc_u32 v18, 1, v18
	v_mov_b32_e32 v14, v12
	v_mov_b32_e32 v19, v20
	ds_load_b64 v[21:22], v0 offset:8
	v_dual_mov_b32 v0, v10 :: v_dual_mov_b32 v1, v11
	s_waitcnt lgkmcnt(0)
	v_dual_mov_b32 v10, v21 :: v_dual_mov_b32 v11, v22
.LBB148_32:
	s_or_b32 exec_lo, exec_lo, s1
	s_waitcnt lgkmcnt(0)
	s_delay_alu instid0(VALU_DEP_1)
	v_cmp_lt_i64_e64 s1, v[10:11], v[14:15]
	v_cmp_lt_i32_e64 s2, 7, v19
	v_cmp_gt_i32_e64 s3, 16, v18
	v_cndmask_b32_e64 v7, v7, v9, s0
	v_cndmask_b32_e64 v6, v6, v8, s0
	v_dual_cndmask_b32 v5, v3, v5 :: v_dual_cndmask_b32 v4, v2, v4
	s_or_b32 s0, s2, s1
	v_lshlrev_b32_e32 v8, 3, v16
	s_and_b32 vcc_lo, s3, s0
	s_add_u32 s0, s6, s8
	v_dual_cndmask_b32 v3, v15, v11 :: v_dual_cndmask_b32 v2, v14, v10
	s_addc_u32 s1, s7, s9
	s_clause 0x1
	global_store_b128 v8, v[4:7], s[0:1]
	global_store_b128 v8, v[0:3], s[0:1] offset:16
	s_nop 0
	s_sendmsg sendmsg(MSG_DEALLOC_VGPRS)
	s_endpgm
	.section	.rodata,"a",@progbits
	.p2align	6, 0x0
	.amdhsa_kernel _Z9sort_keysILj256ELj4ELj4ExN10test_utils4lessEEvPKT2_PS2_T3_
		.amdhsa_group_segment_fixed_size 8704
		.amdhsa_private_segment_fixed_size 0
		.amdhsa_kernarg_size 20
		.amdhsa_user_sgpr_count 15
		.amdhsa_user_sgpr_dispatch_ptr 0
		.amdhsa_user_sgpr_queue_ptr 0
		.amdhsa_user_sgpr_kernarg_segment_ptr 1
		.amdhsa_user_sgpr_dispatch_id 0
		.amdhsa_user_sgpr_private_segment_size 0
		.amdhsa_wavefront_size32 1
		.amdhsa_uses_dynamic_stack 0
		.amdhsa_enable_private_segment 0
		.amdhsa_system_sgpr_workgroup_id_x 1
		.amdhsa_system_sgpr_workgroup_id_y 0
		.amdhsa_system_sgpr_workgroup_id_z 0
		.amdhsa_system_sgpr_workgroup_info 0
		.amdhsa_system_vgpr_workitem_id 0
		.amdhsa_next_free_vgpr 31
		.amdhsa_next_free_sgpr 16
		.amdhsa_reserve_vcc 1
		.amdhsa_float_round_mode_32 0
		.amdhsa_float_round_mode_16_64 0
		.amdhsa_float_denorm_mode_32 3
		.amdhsa_float_denorm_mode_16_64 3
		.amdhsa_dx10_clamp 1
		.amdhsa_ieee_mode 1
		.amdhsa_fp16_overflow 0
		.amdhsa_workgroup_processor_mode 1
		.amdhsa_memory_ordered 1
		.amdhsa_forward_progress 0
		.amdhsa_shared_vgpr_count 0
		.amdhsa_exception_fp_ieee_invalid_op 0
		.amdhsa_exception_fp_denorm_src 0
		.amdhsa_exception_fp_ieee_div_zero 0
		.amdhsa_exception_fp_ieee_overflow 0
		.amdhsa_exception_fp_ieee_underflow 0
		.amdhsa_exception_fp_ieee_inexact 0
		.amdhsa_exception_int_div_zero 0
	.end_amdhsa_kernel
	.section	.text._Z9sort_keysILj256ELj4ELj4ExN10test_utils4lessEEvPKT2_PS2_T3_,"axG",@progbits,_Z9sort_keysILj256ELj4ELj4ExN10test_utils4lessEEvPKT2_PS2_T3_,comdat
.Lfunc_end148:
	.size	_Z9sort_keysILj256ELj4ELj4ExN10test_utils4lessEEvPKT2_PS2_T3_, .Lfunc_end148-_Z9sort_keysILj256ELj4ELj4ExN10test_utils4lessEEvPKT2_PS2_T3_
                                        ; -- End function
	.section	.AMDGPU.csdata,"",@progbits
; Kernel info:
; codeLenInByte = 2092
; NumSgprs: 18
; NumVgprs: 31
; ScratchSize: 0
; MemoryBound: 0
; FloatMode: 240
; IeeeMode: 1
; LDSByteSize: 8704 bytes/workgroup (compile time only)
; SGPRBlocks: 2
; VGPRBlocks: 3
; NumSGPRsForWavesPerEU: 18
; NumVGPRsForWavesPerEU: 31
; Occupancy: 16
; WaveLimiterHint : 0
; COMPUTE_PGM_RSRC2:SCRATCH_EN: 0
; COMPUTE_PGM_RSRC2:USER_SGPR: 15
; COMPUTE_PGM_RSRC2:TRAP_HANDLER: 0
; COMPUTE_PGM_RSRC2:TGID_X_EN: 1
; COMPUTE_PGM_RSRC2:TGID_Y_EN: 0
; COMPUTE_PGM_RSRC2:TGID_Z_EN: 0
; COMPUTE_PGM_RSRC2:TIDIG_COMP_CNT: 0
	.section	.text._Z10sort_pairsILj256ELj4ELj4ExN10test_utils4lessEEvPKT2_PS2_T3_,"axG",@progbits,_Z10sort_pairsILj256ELj4ELj4ExN10test_utils4lessEEvPKT2_PS2_T3_,comdat
	.protected	_Z10sort_pairsILj256ELj4ELj4ExN10test_utils4lessEEvPKT2_PS2_T3_ ; -- Begin function _Z10sort_pairsILj256ELj4ELj4ExN10test_utils4lessEEvPKT2_PS2_T3_
	.globl	_Z10sort_pairsILj256ELj4ELj4ExN10test_utils4lessEEvPKT2_PS2_T3_
	.p2align	8
	.type	_Z10sort_pairsILj256ELj4ELj4ExN10test_utils4lessEEvPKT2_PS2_T3_,@function
_Z10sort_pairsILj256ELj4ELj4ExN10test_utils4lessEEvPKT2_PS2_T3_: ; @_Z10sort_pairsILj256ELj4ELj4ExN10test_utils4lessEEvPKT2_PS2_T3_
; %bb.0:
	s_load_b128 s[4:7], s[0:1], 0x0
	s_mov_b32 s1, 0
	s_lshl_b32 s0, s15, 10
	v_lshlrev_b32_e32 v1, 5, v0
	s_lshl_b64 s[8:9], s[0:1], 3
	s_waitcnt lgkmcnt(0)
	s_add_u32 s0, s4, s8
	s_addc_u32 s1, s5, s9
	s_clause 0x1
	global_load_b128 v[17:20], v1, s[0:1] offset:16
	global_load_b128 v[1:4], v1, s[0:1]
	s_mov_b32 s1, exec_lo
	s_waitcnt vmcnt(1)
	v_add_co_u32 v5, vcc_lo, v19, 1
	v_add_co_ci_u32_e32 v6, vcc_lo, 0, v20, vcc_lo
	s_waitcnt vmcnt(0)
	v_cmp_lt_i64_e64 s0, v[3:4], v[1:2]
	v_add_co_u32 v23, vcc_lo, v17, 1
	s_delay_alu instid0(VALU_DEP_3)
	v_dual_mov_b32 v15, v19 :: v_dual_mov_b32 v22, v6
	v_mov_b32_e32 v13, v17
	v_add_co_ci_u32_e32 v24, vcc_lo, 0, v18, vcc_lo
	v_cndmask_b32_e64 v12, v4, v2, s0
	v_dual_mov_b32 v16, v20 :: v_dual_mov_b32 v21, v5
	v_mov_b32_e32 v14, v18
	v_cndmask_b32_e64 v11, v3, v1, s0
	v_cndmask_b32_e64 v10, v2, v4, s0
	;; [unrolled: 1-line block ×3, first 2 shown]
	v_cmpx_lt_i64_e64 v[19:20], v[17:18]
; %bb.1:
	v_dual_mov_b32 v7, v17 :: v_dual_mov_b32 v8, v18
	v_dual_mov_b32 v21, v23 :: v_dual_mov_b32 v22, v24
	;; [unrolled: 1-line block ×6, first 2 shown]
; %bb.2:
	s_or_b32 exec_lo, exec_lo, s1
	v_add_co_u32 v25, vcc_lo, v1, 1
	v_add_co_ci_u32_e32 v26, vcc_lo, 0, v2, vcc_lo
	v_add_co_u32 v27, vcc_lo, v3, 1
	v_add_co_ci_u32_e32 v28, vcc_lo, 0, v4, vcc_lo
	v_dual_mov_b32 v1, v9 :: v_dual_mov_b32 v2, v10
	s_delay_alu instid0(VALU_DEP_3) | instskip(NEXT) | instid1(VALU_DEP_3)
	v_cndmask_b32_e64 v19, v27, v25, s0
	v_cndmask_b32_e64 v20, v28, v26, s0
	v_dual_mov_b32 v3, v11 :: v_dual_mov_b32 v4, v12
	v_dual_mov_b32 v5, v13 :: v_dual_mov_b32 v6, v14
	;; [unrolled: 1-line block ×4, first 2 shown]
	s_mov_b32 s1, exec_lo
	v_cmpx_lt_i64_e64 v[17:18], v[11:12]
	s_xor_b32 s1, exec_lo, s1
; %bb.3:
	v_dual_mov_b32 v1, v9 :: v_dual_mov_b32 v2, v10
	v_dual_mov_b32 v3, v11 :: v_dual_mov_b32 v4, v12
	;; [unrolled: 1-line block ×10, first 2 shown]
; %bb.4:
	s_or_b32 exec_lo, exec_lo, s1
	s_delay_alu instid0(VALU_DEP_1)
	v_cmp_lt_i64_e32 vcc_lo, v[11:12], v[9:10]
	v_dual_mov_b32 v16, v6 :: v_dual_mov_b32 v15, v5
	s_mov_b32 s2, exec_lo
	v_dual_mov_b32 v9, v21 :: v_dual_mov_b32 v10, v22
	v_dual_cndmask_b32 v17, v3, v1 :: v_dual_cndmask_b32 v18, v4, v2
	v_dual_cndmask_b32 v12, v2, v12 :: v_dual_cndmask_b32 v11, v1, v11
	v_cmpx_lt_i64_e64 v[7:8], v[5:6]
; %bb.5:
	v_dual_mov_b32 v1, v5 :: v_dual_mov_b32 v2, v6
	v_dual_mov_b32 v9, v13 :: v_dual_mov_b32 v10, v14
	;; [unrolled: 1-line block ×6, first 2 shown]
; %bb.6:
	s_or_b32 exec_lo, exec_lo, s2
	v_cndmask_b32_e64 v34, v26, v28, s0
	v_cndmask_b32_e64 v33, v25, v27, s0
	v_dual_mov_b32 v22, v18 :: v_dual_mov_b32 v21, v17
	v_dual_mov_b32 v1, v13 :: v_dual_mov_b32 v2, v14
	s_delay_alu instid0(VALU_DEP_3)
	v_dual_cndmask_b32 v4, v20, v34 :: v_dual_cndmask_b32 v3, v19, v33
	s_mov_b32 s1, exec_lo
	v_cmpx_lt_i64_e64 v[5:6], v[17:18]
; %bb.7:
	v_dual_mov_b32 v22, v6 :: v_dual_mov_b32 v21, v5
	s_delay_alu instid0(VALU_DEP_3)
	v_dual_mov_b32 v1, v3 :: v_dual_mov_b32 v2, v4
	v_dual_mov_b32 v3, v13 :: v_dual_mov_b32 v4, v14
	;; [unrolled: 1-line block ×3, first 2 shown]
; %bb.8:
	s_or_b32 exec_lo, exec_lo, s1
	v_mbcnt_lo_u32_b32 v5, -1, 0
	v_lshlrev_b32_e32 v29, 2, v0
	v_lshrrev_b32_e32 v0, 2, v0
	s_mov_b32 s1, 0
	s_mov_b32 s2, exec_lo
	v_dual_mov_b32 v26, v8 :: v_dual_lshlrev_b32 v13, 2, v5
	; wave barrier
	s_delay_alu instid0(VALU_DEP_1) | instskip(SKIP_2) | instid1(VALU_DEP_3)
	v_and_b32_e32 v23, 8, v13
	v_and_b32_e32 v32, 12, v13
	;; [unrolled: 1-line block ×3, first 2 shown]
	v_or_b32_e32 v6, 4, v23
	v_add_nc_u32_e32 v5, 8, v23
	v_lshlrev_b32_e32 v27, 3, v23
	s_delay_alu instid0(VALU_DEP_3) | instskip(NEXT) | instid1(VALU_DEP_3)
	v_sub_nc_u32_e32 v25, v6, v23
	v_sub_nc_u32_e32 v13, v5, v6
	s_delay_alu instid0(VALU_DEP_1) | instskip(SKIP_1) | instid1(VALU_DEP_4)
	v_sub_nc_u32_e32 v18, v17, v13
	v_cmp_ge_i32_e64 s0, v17, v13
	v_min_i32_e32 v13, v17, v25
	v_dual_mov_b32 v25, v7 :: v_dual_lshlrev_b32 v14, 3, v32
	v_mad_u32_u24 v7, 0x88, v0, v27
	s_delay_alu instid0(VALU_DEP_4) | instskip(NEXT) | instid1(VALU_DEP_3)
	v_cndmask_b32_e64 v24, 0, v18, s0
	v_mad_u32_u24 v30, 0x88, v0, v14
	ds_store_2addr_b64 v30, v[11:12], v[21:22] offset1:1
	ds_store_2addr_b64 v30, v[15:16], v[25:26] offset0:2 offset1:3
	; wave barrier
	v_cmpx_lt_i32_e64 v24, v13
	s_cbranch_execz .LBB149_12
; %bb.9:
	v_lshlrev_b32_e32 v8, 3, v17
	s_delay_alu instid0(VALU_DEP_1)
	v_add3_u32 v8, v7, v8, 32
	.p2align	6
.LBB149_10:                             ; =>This Inner Loop Header: Depth=1
	v_sub_nc_u32_e32 v11, v13, v24
	s_delay_alu instid0(VALU_DEP_1) | instskip(NEXT) | instid1(VALU_DEP_1)
	v_lshrrev_b32_e32 v12, 31, v11
	v_add_nc_u32_e32 v11, v11, v12
	s_delay_alu instid0(VALU_DEP_1) | instskip(NEXT) | instid1(VALU_DEP_1)
	v_ashrrev_i32_e32 v11, 1, v11
	v_add_nc_u32_e32 v16, v11, v24
	s_delay_alu instid0(VALU_DEP_1) | instskip(SKIP_1) | instid1(VALU_DEP_2)
	v_not_b32_e32 v11, v16
	v_lshl_add_u32 v12, v16, 3, v7
	v_lshl_add_u32 v14, v11, 3, v8
	ds_load_b64 v[11:12], v12
	ds_load_b64 v[14:15], v14
	s_waitcnt lgkmcnt(0)
	v_cmp_lt_i64_e64 s0, v[14:15], v[11:12]
	v_add_nc_u32_e32 v11, 1, v16
	s_delay_alu instid0(VALU_DEP_2) | instskip(NEXT) | instid1(VALU_DEP_2)
	v_cndmask_b32_e64 v13, v13, v16, s0
	v_cndmask_b32_e64 v24, v11, v24, s0
	s_delay_alu instid0(VALU_DEP_1) | instskip(NEXT) | instid1(VALU_DEP_1)
	v_cmp_ge_i32_e64 s0, v24, v13
	s_or_b32 s1, s0, s1
	s_delay_alu instid0(SALU_CYCLE_1)
	s_and_not1_b32 exec_lo, exec_lo, s1
	s_cbranch_execnz .LBB149_10
; %bb.11:
	s_or_b32 exec_lo, exec_lo, s1
.LBB149_12:
	s_delay_alu instid0(SALU_CYCLE_1) | instskip(SKIP_4) | instid1(VALU_DEP_3)
	s_or_b32 exec_lo, exec_lo, s2
	v_mul_u32_u24_e32 v31, 0x88, v0
	v_add_nc_u32_e32 v0, v23, v17
	v_lshl_add_u32 v8, v24, 3, v7
	v_cmp_lt_i32_e64 s1, 3, v24
                                        ; implicit-def: $vgpr15_vgpr16
	v_sub_nc_u32_e32 v0, v0, v24
	s_delay_alu instid0(VALU_DEP_1) | instskip(SKIP_4) | instid1(VALU_DEP_1)
	v_lshl_add_u32 v7, v0, 3, v31
	v_add_nc_u32_e32 v0, v6, v17
	ds_load_b64 v[11:12], v8
	ds_load_b64 v[13:14], v7 offset:32
	v_sub_nc_u32_e32 v0, v0, v24
	v_cmp_gt_i32_e64 s2, v5, v0
	s_waitcnt lgkmcnt(0)
	v_cmp_lt_i64_e64 s0, v[13:14], v[11:12]
	s_delay_alu instid0(VALU_DEP_1)
	s_or_b32 s0, s1, s0
	s_delay_alu instid0(VALU_DEP_2) | instid1(SALU_CYCLE_1)
	s_and_b32 s0, s2, s0
	s_delay_alu instid0(SALU_CYCLE_1) | instskip(NEXT) | instid1(SALU_CYCLE_1)
	s_xor_b32 s1, s0, -1
	s_and_saveexec_b32 s2, s1
	s_delay_alu instid0(SALU_CYCLE_1)
	s_xor_b32 s1, exec_lo, s2
	s_cbranch_execz .LBB149_14
; %bb.13:
	ds_load_b64 v[15:16], v8 offset:8
                                        ; implicit-def: $vgpr7
.LBB149_14:
	s_or_saveexec_b32 s1, s1
	v_dual_mov_b32 v18, v14 :: v_dual_mov_b32 v17, v13
	s_xor_b32 exec_lo, exec_lo, s1
	s_cbranch_execz .LBB149_16
; %bb.15:
	ds_load_b64 v[17:18], v7 offset:40
	s_waitcnt lgkmcnt(1)
	v_dual_mov_b32 v16, v12 :: v_dual_mov_b32 v15, v11
.LBB149_16:
	s_or_b32 exec_lo, exec_lo, s1
	v_add_nc_u32_e32 v7, v24, v23
	v_add_nc_u32_e32 v21, 1, v0
	s_waitcnt lgkmcnt(0)
	v_cmp_lt_i64_e64 s1, v[17:18], v[15:16]
	s_delay_alu instid0(VALU_DEP_3) | instskip(NEXT) | instid1(VALU_DEP_3)
	v_add_nc_u32_e32 v8, 1, v7
	v_cndmask_b32_e64 v35, v0, v21, s0
                                        ; implicit-def: $vgpr21_vgpr22
	s_delay_alu instid0(VALU_DEP_2) | instskip(NEXT) | instid1(VALU_DEP_2)
	v_cndmask_b32_e64 v8, v8, v7, s0
	v_cmp_lt_i32_e64 s3, v35, v5
	s_delay_alu instid0(VALU_DEP_2) | instskip(NEXT) | instid1(VALU_DEP_1)
	v_cmp_ge_i32_e64 s2, v8, v6
	s_or_b32 s1, s2, s1
	s_delay_alu instid0(VALU_DEP_2) | instid1(SALU_CYCLE_1)
	s_and_b32 s1, s3, s1
	s_delay_alu instid0(SALU_CYCLE_1) | instskip(NEXT) | instid1(SALU_CYCLE_1)
	s_xor_b32 s2, s1, -1
	s_and_saveexec_b32 s3, s2
	s_delay_alu instid0(SALU_CYCLE_1)
	s_xor_b32 s2, exec_lo, s3
	s_cbranch_execz .LBB149_18
; %bb.17:
	v_lshl_add_u32 v21, v8, 3, v31
	ds_load_b64 v[21:22], v21 offset:8
.LBB149_18:
	s_or_saveexec_b32 s2, s2
	v_dual_mov_b32 v24, v18 :: v_dual_mov_b32 v23, v17
	s_xor_b32 exec_lo, exec_lo, s2
	s_cbranch_execz .LBB149_20
; %bb.19:
	s_waitcnt lgkmcnt(0)
	v_lshl_add_u32 v21, v35, 3, v31
	ds_load_b64 v[23:24], v21 offset:8
	v_dual_mov_b32 v22, v16 :: v_dual_mov_b32 v21, v15
.LBB149_20:
	s_or_b32 exec_lo, exec_lo, s2
	v_add_nc_u32_e32 v25, 1, v8
	v_add_nc_u32_e32 v26, 1, v35
	s_waitcnt lgkmcnt(0)
	v_cmp_lt_i64_e64 s2, v[23:24], v[21:22]
	s_delay_alu instid0(VALU_DEP_3) | instskip(NEXT) | instid1(VALU_DEP_3)
	v_cndmask_b32_e64 v37, v25, v8, s1
	v_cndmask_b32_e64 v36, v35, v26, s1
                                        ; implicit-def: $vgpr25_vgpr26
	s_delay_alu instid0(VALU_DEP_2) | instskip(NEXT) | instid1(VALU_DEP_2)
	v_cmp_ge_i32_e64 s3, v37, v6
	v_cmp_lt_i32_e64 s4, v36, v5
	s_delay_alu instid0(VALU_DEP_2)
	s_or_b32 s2, s3, s2
	s_delay_alu instid0(VALU_DEP_1) | instid1(SALU_CYCLE_1)
	s_and_b32 s2, s4, s2
	s_delay_alu instid0(SALU_CYCLE_1) | instskip(NEXT) | instid1(SALU_CYCLE_1)
	s_xor_b32 s3, s2, -1
	s_and_saveexec_b32 s4, s3
	s_delay_alu instid0(SALU_CYCLE_1)
	s_xor_b32 s3, exec_lo, s4
	s_cbranch_execz .LBB149_22
; %bb.21:
	v_lshl_add_u32 v25, v37, 3, v31
	ds_load_b64 v[25:26], v25 offset:8
.LBB149_22:
	s_or_saveexec_b32 s3, s3
	v_dual_mov_b32 v28, v24 :: v_dual_mov_b32 v27, v23
	s_xor_b32 exec_lo, exec_lo, s3
	s_cbranch_execz .LBB149_24
; %bb.23:
	s_waitcnt lgkmcnt(0)
	v_lshl_add_u32 v25, v36, 3, v31
	ds_load_b64 v[27:28], v25 offset:8
	v_dual_mov_b32 v26, v22 :: v_dual_mov_b32 v25, v21
.LBB149_24:
	s_or_b32 exec_lo, exec_lo, s3
	v_add_nc_u32_e32 v39, 1, v36
	v_add_nc_u32_e32 v38, 1, v37
	v_cndmask_b32_e64 v8, v8, v35, s1
	v_cndmask_b32_e64 v40, v37, v36, s2
	s_waitcnt lgkmcnt(0)
	v_cmp_lt_i64_e64 s3, v[27:28], v[25:26]
	v_cndmask_b32_e64 v35, v36, v39, s2
	v_cndmask_b32_e64 v0, v7, v0, s0
	; wave barrier
	v_cndmask_b32_e64 v16, v16, v18, s1
	s_delay_alu instid0(VALU_DEP_3)
	v_cmp_lt_i32_e64 s5, v35, v5
	v_cndmask_b32_e32 v5, v33, v19, vcc_lo
	v_cndmask_b32_e64 v37, v38, v37, s2
	v_lshl_add_u32 v0, v0, 3, v31
	v_cndmask_b32_e64 v15, v15, v17, s1
	v_cndmask_b32_e64 v12, v12, v14, s0
	;; [unrolled: 1-line block ×3, first 2 shown]
	v_cmp_ge_i32_e64 s4, v37, v6
	v_cndmask_b32_e32 v6, v34, v20, vcc_lo
	s_mov_b32 s0, exec_lo
	s_delay_alu instid0(VALU_DEP_2) | instskip(NEXT) | instid1(SALU_CYCLE_1)
	s_or_b32 s3, s4, s3
	s_and_b32 vcc_lo, s5, s3
	v_cndmask_b32_e32 v7, v37, v35, vcc_lo
	ds_store_2addr_b64 v30, v[5:6], v[3:4] offset1:1
	ds_store_2addr_b64 v30, v[1:2], v[9:10] offset0:2 offset1:3
	v_lshl_add_u32 v2, v8, 3, v31
	v_lshl_add_u32 v3, v40, 3, v31
	;; [unrolled: 1-line block ×3, first 2 shown]
	; wave barrier
	ds_load_b64 v[0:1], v0
	ds_load_b64 v[4:5], v2
	;; [unrolled: 1-line block ×4, first 2 shown]
	v_cndmask_b32_e64 v10, v22, v24, s2
	v_sub_nc_u32_e64 v24, v32, 8 clamp
	v_min_i32_e32 v8, 8, v32
	v_cndmask_b32_e32 v19, v26, v28, vcc_lo
	v_cndmask_b32_e64 v9, v21, v23, s2
	v_cndmask_b32_e32 v18, v25, v27, vcc_lo
	; wave barrier
	ds_store_2addr_b64 v30, v[11:12], v[15:16] offset1:1
	ds_store_2addr_b64 v30, v[9:10], v[18:19] offset0:2 offset1:3
	; wave barrier
	v_cmpx_lt_u32_e64 v24, v8
	s_cbranch_execz .LBB149_28
; %bb.25:
	v_add_nc_u32_e32 v9, 64, v30
	s_mov_b32 s1, 0
	.p2align	6
.LBB149_26:                             ; =>This Inner Loop Header: Depth=1
	v_sub_nc_u32_e32 v10, v8, v24
	s_delay_alu instid0(VALU_DEP_1) | instskip(NEXT) | instid1(VALU_DEP_1)
	v_lshrrev_b32_e32 v11, 31, v10
	v_add_nc_u32_e32 v10, v10, v11
	s_delay_alu instid0(VALU_DEP_1) | instskip(NEXT) | instid1(VALU_DEP_1)
	v_ashrrev_i32_e32 v10, 1, v10
	v_add_nc_u32_e32 v14, v10, v24
	s_delay_alu instid0(VALU_DEP_1) | instskip(SKIP_1) | instid1(VALU_DEP_2)
	v_not_b32_e32 v10, v14
	v_lshl_add_u32 v11, v14, 3, v31
	v_lshl_add_u32 v12, v10, 3, v9
	ds_load_b64 v[10:11], v11
	ds_load_b64 v[12:13], v12
	s_waitcnt lgkmcnt(0)
	v_cmp_lt_i64_e32 vcc_lo, v[12:13], v[10:11]
	v_add_nc_u32_e32 v10, 1, v14
	v_cndmask_b32_e32 v8, v8, v14, vcc_lo
	s_delay_alu instid0(VALU_DEP_2) | instskip(NEXT) | instid1(VALU_DEP_1)
	v_cndmask_b32_e32 v24, v10, v24, vcc_lo
	v_cmp_ge_i32_e32 vcc_lo, v24, v8
	s_or_b32 s1, vcc_lo, s1
	s_delay_alu instid0(SALU_CYCLE_1)
	s_and_not1_b32 exec_lo, exec_lo, s1
	s_cbranch_execnz .LBB149_26
; %bb.27:
	s_or_b32 exec_lo, exec_lo, s1
.LBB149_28:
	s_delay_alu instid0(SALU_CYCLE_1) | instskip(SKIP_3) | instid1(VALU_DEP_3)
	s_or_b32 exec_lo, exec_lo, s0
	v_sub_nc_u32_e32 v12, v32, v24
	v_lshl_add_u32 v14, v24, 3, v31
	v_cmp_lt_i32_e64 s0, 7, v24
	v_lshl_add_u32 v16, v12, 3, v31
	v_add_nc_u32_e32 v25, 8, v12
                                        ; implicit-def: $vgpr12_vgpr13
	ds_load_b64 v[8:9], v14
	ds_load_b64 v[10:11], v16 offset:64
	v_cmp_gt_i32_e64 s1, 16, v25
	s_waitcnt lgkmcnt(0)
	v_cmp_lt_i64_e32 vcc_lo, v[10:11], v[8:9]
	s_or_b32 s0, s0, vcc_lo
	s_delay_alu instid0(VALU_DEP_2) | instid1(SALU_CYCLE_1)
	s_and_b32 vcc_lo, s1, s0
	s_delay_alu instid0(SALU_CYCLE_1) | instskip(NEXT) | instid1(SALU_CYCLE_1)
	s_xor_b32 s0, vcc_lo, -1
	s_and_saveexec_b32 s1, s0
	s_delay_alu instid0(SALU_CYCLE_1)
	s_xor_b32 s0, exec_lo, s1
	s_cbranch_execz .LBB149_30
; %bb.29:
	ds_load_b64 v[12:13], v14 offset:8
                                        ; implicit-def: $vgpr16
.LBB149_30:
	s_or_saveexec_b32 s0, s0
	v_dual_mov_b32 v15, v11 :: v_dual_mov_b32 v14, v10
	s_xor_b32 exec_lo, exec_lo, s0
	s_cbranch_execz .LBB149_32
; %bb.31:
	ds_load_b64 v[14:15], v16 offset:72
	s_waitcnt lgkmcnt(1)
	v_dual_mov_b32 v13, v9 :: v_dual_mov_b32 v12, v8
.LBB149_32:
	s_or_b32 exec_lo, exec_lo, s0
	v_add_nc_u32_e32 v17, 1, v25
	v_add_nc_u32_e32 v16, 1, v24
	s_waitcnt lgkmcnt(0)
	v_cmp_lt_i64_e64 s0, v[14:15], v[12:13]
                                        ; implicit-def: $vgpr22_vgpr23
	s_delay_alu instid0(VALU_DEP_2) | instskip(NEXT) | instid1(VALU_DEP_1)
	v_dual_cndmask_b32 v27, v25, v17 :: v_dual_cndmask_b32 v26, v16, v24
	v_cmp_gt_i32_e64 s2, 16, v27
	s_delay_alu instid0(VALU_DEP_2) | instskip(NEXT) | instid1(VALU_DEP_1)
	v_cmp_lt_i32_e64 s1, 7, v26
	s_or_b32 s0, s1, s0
	s_delay_alu instid0(VALU_DEP_2) | instid1(SALU_CYCLE_1)
	s_and_b32 s0, s2, s0
	s_delay_alu instid0(SALU_CYCLE_1) | instskip(NEXT) | instid1(SALU_CYCLE_1)
	s_xor_b32 s1, s0, -1
	s_and_saveexec_b32 s2, s1
	s_delay_alu instid0(SALU_CYCLE_1)
	s_xor_b32 s1, exec_lo, s2
	s_cbranch_execz .LBB149_34
; %bb.33:
	v_lshl_add_u32 v16, v26, 3, v31
	ds_load_b64 v[22:23], v16 offset:8
.LBB149_34:
	s_or_saveexec_b32 s1, s1
	v_dual_mov_b32 v17, v15 :: v_dual_mov_b32 v16, v14
	s_xor_b32 exec_lo, exec_lo, s1
	s_cbranch_execz .LBB149_36
; %bb.35:
	v_lshl_add_u32 v16, v27, 3, v31
	s_waitcnt lgkmcnt(0)
	v_dual_mov_b32 v23, v13 :: v_dual_mov_b32 v22, v12
	ds_load_b64 v[16:17], v16 offset:8
.LBB149_36:
	s_or_b32 exec_lo, exec_lo, s1
	v_add_nc_u32_e32 v18, 1, v26
	v_add_nc_u32_e32 v19, 1, v27
	s_waitcnt lgkmcnt(0)
	v_cmp_ge_i64_e64 s1, v[16:17], v[22:23]
                                        ; implicit-def: $vgpr32
	s_delay_alu instid0(VALU_DEP_3) | instskip(NEXT) | instid1(VALU_DEP_3)
	v_cndmask_b32_e64 v34, v18, v26, s0
	v_cndmask_b32_e64 v28, v27, v19, s0
                                        ; implicit-def: $vgpr18_vgpr19
	s_delay_alu instid0(VALU_DEP_2) | instskip(NEXT) | instid1(VALU_DEP_2)
	v_cmp_gt_i32_e64 s2, 8, v34
	v_cmp_lt_i32_e64 s3, 15, v28
	s_delay_alu instid0(VALU_DEP_2)
	s_and_b32 s1, s2, s1
	s_delay_alu instid0(VALU_DEP_1) | instid1(SALU_CYCLE_1)
	s_or_b32 s1, s3, s1
	s_delay_alu instid0(SALU_CYCLE_1) | instskip(NEXT) | instid1(SALU_CYCLE_1)
	s_and_saveexec_b32 s2, s1
	s_xor_b32 s1, exec_lo, s2
	s_cbranch_execz .LBB149_38
; %bb.37:
	v_lshl_add_u32 v18, v34, 3, v31
	v_add_nc_u32_e32 v32, 1, v34
	ds_load_b64 v[18:19], v18 offset:8
.LBB149_38:
	s_or_saveexec_b32 s1, s1
	v_dual_mov_b32 v20, v22 :: v_dual_mov_b32 v21, v23
	v_mov_b32_e32 v33, v34
	s_xor_b32 exec_lo, exec_lo, s1
	s_cbranch_execz .LBB149_40
; %bb.39:
	s_waitcnt lgkmcnt(0)
	v_lshl_add_u32 v18, v28, 3, v31
	v_dual_mov_b32 v33, v28 :: v_dual_mov_b32 v32, v34
	v_dual_mov_b32 v21, v17 :: v_dual_mov_b32 v20, v16
	ds_load_b64 v[35:36], v18 offset:8
	v_add_nc_u32_e32 v18, 1, v28
	s_delay_alu instid0(VALU_DEP_1)
	v_mov_b32_e32 v28, v18
	v_dual_mov_b32 v18, v22 :: v_dual_mov_b32 v19, v23
	s_waitcnt lgkmcnt(0)
	v_dual_mov_b32 v16, v35 :: v_dual_mov_b32 v17, v36
.LBB149_40:
	s_or_b32 exec_lo, exec_lo, s1
	s_waitcnt lgkmcnt(0)
	s_delay_alu instid0(VALU_DEP_1) | instskip(SKIP_4) | instid1(VALU_DEP_4)
	v_cmp_lt_i64_e64 s1, v[16:17], v[18:19]
	v_cmp_lt_i32_e64 s2, 7, v32
	v_cndmask_b32_e32 v23, v24, v25, vcc_lo
	v_cmp_gt_i32_e64 s3, 16, v28
	v_cndmask_b32_e64 v22, v26, v27, s0
	s_or_b32 s1, s2, s1
	s_delay_alu instid0(VALU_DEP_3) | instskip(NEXT) | instid1(VALU_DEP_3)
	v_lshl_add_u32 v23, v23, 3, v31
	s_and_b32 s1, s3, s1
	; wave barrier
	ds_store_2addr_b64 v30, v[0:1], v[4:5] offset1:1
	ds_store_2addr_b64 v30, v[2:3], v[6:7] offset0:2 offset1:3
	v_lshl_add_u32 v2, v22, 3, v31
	v_cndmask_b32_e64 v4, v32, v28, s1
	; wave barrier
	ds_load_b64 v[0:1], v23
	ds_load_b64 v[2:3], v2
	v_lshl_add_u32 v5, v33, 3, v31
	v_lshl_add_u32 v6, v4, 3, v31
	ds_load_b64 v[4:5], v5
	ds_load_b64 v[6:7], v6
	v_dual_cndmask_b32 v8, v8, v10 :: v_dual_cndmask_b32 v9, v9, v11
	v_cndmask_b32_e64 v10, v12, v14, s0
	v_cndmask_b32_e64 v13, v13, v15, s0
	;; [unrolled: 1-line block ×4, first 2 shown]
	s_add_u32 s0, s6, s8
	s_addc_u32 s1, s7, s9
	s_waitcnt lgkmcnt(3)
	v_add_co_u32 v0, vcc_lo, v0, v8
	v_add_co_ci_u32_e32 v1, vcc_lo, v1, v9, vcc_lo
	s_waitcnt lgkmcnt(2)
	v_add_co_u32 v2, vcc_lo, v2, v10
	v_add_co_ci_u32_e32 v3, vcc_lo, v3, v13, vcc_lo
	;; [unrolled: 3-line block ×3, first 2 shown]
	s_waitcnt lgkmcnt(0)
	v_add_co_u32 v6, vcc_lo, v6, v11
	v_lshlrev_b32_e32 v8, 3, v29
	v_add_co_ci_u32_e32 v7, vcc_lo, v7, v17, vcc_lo
	s_clause 0x1
	global_store_b128 v8, v[0:3], s[0:1]
	global_store_b128 v8, v[4:7], s[0:1] offset:16
	s_nop 0
	s_sendmsg sendmsg(MSG_DEALLOC_VGPRS)
	s_endpgm
	.section	.rodata,"a",@progbits
	.p2align	6, 0x0
	.amdhsa_kernel _Z10sort_pairsILj256ELj4ELj4ExN10test_utils4lessEEvPKT2_PS2_T3_
		.amdhsa_group_segment_fixed_size 8704
		.amdhsa_private_segment_fixed_size 0
		.amdhsa_kernarg_size 20
		.amdhsa_user_sgpr_count 15
		.amdhsa_user_sgpr_dispatch_ptr 0
		.amdhsa_user_sgpr_queue_ptr 0
		.amdhsa_user_sgpr_kernarg_segment_ptr 1
		.amdhsa_user_sgpr_dispatch_id 0
		.amdhsa_user_sgpr_private_segment_size 0
		.amdhsa_wavefront_size32 1
		.amdhsa_uses_dynamic_stack 0
		.amdhsa_enable_private_segment 0
		.amdhsa_system_sgpr_workgroup_id_x 1
		.amdhsa_system_sgpr_workgroup_id_y 0
		.amdhsa_system_sgpr_workgroup_id_z 0
		.amdhsa_system_sgpr_workgroup_info 0
		.amdhsa_system_vgpr_workitem_id 0
		.amdhsa_next_free_vgpr 41
		.amdhsa_next_free_sgpr 16
		.amdhsa_reserve_vcc 1
		.amdhsa_float_round_mode_32 0
		.amdhsa_float_round_mode_16_64 0
		.amdhsa_float_denorm_mode_32 3
		.amdhsa_float_denorm_mode_16_64 3
		.amdhsa_dx10_clamp 1
		.amdhsa_ieee_mode 1
		.amdhsa_fp16_overflow 0
		.amdhsa_workgroup_processor_mode 1
		.amdhsa_memory_ordered 1
		.amdhsa_forward_progress 0
		.amdhsa_shared_vgpr_count 0
		.amdhsa_exception_fp_ieee_invalid_op 0
		.amdhsa_exception_fp_denorm_src 0
		.amdhsa_exception_fp_ieee_div_zero 0
		.amdhsa_exception_fp_ieee_overflow 0
		.amdhsa_exception_fp_ieee_underflow 0
		.amdhsa_exception_fp_ieee_inexact 0
		.amdhsa_exception_int_div_zero 0
	.end_amdhsa_kernel
	.section	.text._Z10sort_pairsILj256ELj4ELj4ExN10test_utils4lessEEvPKT2_PS2_T3_,"axG",@progbits,_Z10sort_pairsILj256ELj4ELj4ExN10test_utils4lessEEvPKT2_PS2_T3_,comdat
.Lfunc_end149:
	.size	_Z10sort_pairsILj256ELj4ELj4ExN10test_utils4lessEEvPKT2_PS2_T3_, .Lfunc_end149-_Z10sort_pairsILj256ELj4ELj4ExN10test_utils4lessEEvPKT2_PS2_T3_
                                        ; -- End function
	.section	.AMDGPU.csdata,"",@progbits
; Kernel info:
; codeLenInByte = 2672
; NumSgprs: 18
; NumVgprs: 41
; ScratchSize: 0
; MemoryBound: 0
; FloatMode: 240
; IeeeMode: 1
; LDSByteSize: 8704 bytes/workgroup (compile time only)
; SGPRBlocks: 2
; VGPRBlocks: 5
; NumSGPRsForWavesPerEU: 18
; NumVGPRsForWavesPerEU: 41
; Occupancy: 16
; WaveLimiterHint : 0
; COMPUTE_PGM_RSRC2:SCRATCH_EN: 0
; COMPUTE_PGM_RSRC2:USER_SGPR: 15
; COMPUTE_PGM_RSRC2:TRAP_HANDLER: 0
; COMPUTE_PGM_RSRC2:TGID_X_EN: 1
; COMPUTE_PGM_RSRC2:TGID_Y_EN: 0
; COMPUTE_PGM_RSRC2:TGID_Z_EN: 0
; COMPUTE_PGM_RSRC2:TIDIG_COMP_CNT: 0
	.section	.text._Z19sort_keys_segmentedILj256ELj4ELj4ExN10test_utils4lessEEvPKT2_PS2_PKjT3_,"axG",@progbits,_Z19sort_keys_segmentedILj256ELj4ELj4ExN10test_utils4lessEEvPKT2_PS2_PKjT3_,comdat
	.protected	_Z19sort_keys_segmentedILj256ELj4ELj4ExN10test_utils4lessEEvPKT2_PS2_PKjT3_ ; -- Begin function _Z19sort_keys_segmentedILj256ELj4ELj4ExN10test_utils4lessEEvPKT2_PS2_PKjT3_
	.globl	_Z19sort_keys_segmentedILj256ELj4ELj4ExN10test_utils4lessEEvPKT2_PS2_PKjT3_
	.p2align	8
	.type	_Z19sort_keys_segmentedILj256ELj4ELj4ExN10test_utils4lessEEvPKT2_PS2_PKjT3_,@function
_Z19sort_keys_segmentedILj256ELj4ELj4ExN10test_utils4lessEEvPKT2_PS2_PKjT3_: ; @_Z19sort_keys_segmentedILj256ELj4ELj4ExN10test_utils4lessEEvPKT2_PS2_PKjT3_
; %bb.0:
	s_clause 0x1
	s_load_b64 s[2:3], s[0:1], 0x10
	s_load_b128 s[8:11], s[0:1], 0x0
	v_lshrrev_b32_e32 v12, 2, v0
	s_delay_alu instid0(VALU_DEP_1) | instskip(SKIP_1) | instid1(VALU_DEP_1)
	v_lshl_or_b32 v0, s15, 6, v12
	v_mov_b32_e32 v1, 0
	v_lshlrev_b64 v[2:3], 2, v[0:1]
	v_lshlrev_b32_e32 v0, 4, v0
	s_delay_alu instid0(VALU_DEP_1) | instskip(SKIP_1) | instid1(VALU_DEP_3)
	v_lshlrev_b64 v[8:9], 3, v[0:1]
	s_waitcnt lgkmcnt(0)
	v_add_co_u32 v2, vcc_lo, s2, v2
	s_delay_alu instid0(VALU_DEP_4) | instskip(NEXT) | instid1(VALU_DEP_3)
	v_add_co_ci_u32_e32 v3, vcc_lo, s3, v3, vcc_lo
	v_add_co_u32 v0, vcc_lo, s8, v8
	global_load_b32 v19, v[2:3], off
	v_mbcnt_lo_u32_b32 v2, -1, 0
	v_add_co_ci_u32_e32 v1, vcc_lo, s9, v9, vcc_lo
	s_delay_alu instid0(VALU_DEP_2) | instskip(NEXT) | instid1(VALU_DEP_1)
	v_lshlrev_b32_e32 v13, 2, v2
	v_and_b32_e32 v20, 12, v13
	s_delay_alu instid0(VALU_DEP_1) | instskip(NEXT) | instid1(VALU_DEP_1)
	v_lshlrev_b32_e32 v18, 3, v20
	v_add_co_u32 v10, vcc_lo, v0, v18
	v_add_co_ci_u32_e32 v11, vcc_lo, 0, v1, vcc_lo
                                        ; implicit-def: $vgpr0_vgpr1_vgpr2_vgpr3_vgpr4_vgpr5_vgpr6_vgpr7
	s_waitcnt vmcnt(0)
	v_cmp_lt_u32_e32 vcc_lo, v20, v19
	s_and_saveexec_b32 s0, vcc_lo
	s_cbranch_execz .LBB150_2
; %bb.1:
	global_load_b64 v[0:1], v[10:11], off
.LBB150_2:
	s_or_b32 exec_lo, exec_lo, s0
	v_or_b32_e32 v14, 1, v20
	s_delay_alu instid0(VALU_DEP_1) | instskip(NEXT) | instid1(VALU_DEP_1)
	v_cmp_lt_u32_e64 s0, v14, v19
	s_and_saveexec_b32 s1, s0
	s_cbranch_execz .LBB150_4
; %bb.3:
	global_load_b64 v[2:3], v[10:11], off offset:8
.LBB150_4:
	s_or_b32 exec_lo, exec_lo, s1
	v_or_b32_e32 v15, 2, v20
	s_delay_alu instid0(VALU_DEP_1) | instskip(NEXT) | instid1(VALU_DEP_1)
	v_cmp_lt_u32_e64 s1, v15, v19
	s_and_saveexec_b32 s2, s1
	s_cbranch_execz .LBB150_6
; %bb.5:
	global_load_b64 v[4:5], v[10:11], off offset:16
.LBB150_6:
	;; [unrolled: 9-line block ×3, first 2 shown]
	s_or_b32 exec_lo, exec_lo, s3
	v_cmp_lt_i32_e64 s3, v15, v19
	v_cmp_lt_i32_e64 s4, v16, v19
	;; [unrolled: 1-line block ×3, first 2 shown]
	s_mov_b32 s6, exec_lo
	s_delay_alu instid0(VALU_DEP_2)
	s_or_b32 s3, s4, s3
	s_waitcnt vmcnt(0)
	v_cndmask_b32_e64 v7, 0x7fffffff, v7, s4
	v_cndmask_b32_e64 v5, 0x7fffffff, v5, s3
	v_cndmask_b32_e64 v4, -1, v4, s3
	s_or_b32 s3, s3, s5
	v_cndmask_b32_e64 v6, -1, v6, s4
	v_cndmask_b32_e64 v3, 0x7fffffff, v3, s3
	v_cndmask_b32_e64 v2, -1, v2, s3
	v_cmpx_lt_i32_e64 v20, v19
	s_cbranch_execz .LBB150_10
; %bb.9:
	s_delay_alu instid0(VALU_DEP_2) | instskip(SKIP_2) | instid1(VALU_DEP_3)
	v_cmp_gt_i64_e64 s4, v[2:3], v[0:1]
	v_cmp_lt_i64_e64 s5, v[6:7], v[4:5]
	v_cmp_lt_i64_e64 s3, v[2:3], v[0:1]
	v_cndmask_b32_e64 v11, v1, v3, s4
	v_cndmask_b32_e64 v10, v0, v2, s4
	s_delay_alu instid0(VALU_DEP_4)
	v_cndmask_b32_e64 v15, v5, v7, s5
	v_cndmask_b32_e64 v14, v4, v6, s5
	v_cmp_gt_i64_e64 s4, v[6:7], v[4:5]
	v_cndmask_b32_e64 v21, v2, v0, s3
	v_cndmask_b32_e64 v23, v6, v4, s5
	v_cndmask_b32_e64 v2, v0, v2, s3
	v_cndmask_b32_e64 v0, v7, v5, s5
	v_cmp_gt_i64_e64 s5, v[14:15], v[10:11]
	v_cndmask_b32_e64 v22, v3, v1, s3
	v_cndmask_b32_e64 v3, v1, v3, s3
	v_cmp_lt_i64_e64 s3, v[14:15], v[10:11]
	v_cndmask_b32_e64 v5, v5, v7, s4
	v_cndmask_b32_e64 v4, v4, v6, s4
	;; [unrolled: 1-line block ×3, first 2 shown]
	v_cmp_lt_i64_e64 s4, v[14:15], v[2:3]
	v_cndmask_b32_e64 v16, v11, v15, s5
	v_cndmask_b32_e64 v7, v11, v15, s3
	v_cmp_gt_i64_e64 s5, v[10:11], v[4:5]
	v_cndmask_b32_e64 v25, v10, v14, s3
	v_cndmask_b32_e64 v6, v15, v11, s3
	;; [unrolled: 1-line block ×13, first 2 shown]
	v_cmp_lt_i64_e64 s3, v[16:17], v[10:11]
	v_cndmask_b32_e64 v4, v26, v4, s5
	v_cndmask_b32_e64 v3, v15, v3, s4
	;; [unrolled: 1-line block ×8, first 2 shown]
.LBB150_10:
	s_or_b32 exec_lo, exec_lo, s6
	v_and_b32_e32 v10, 8, v13
	v_and_b32_e32 v13, 4, v13
	v_mul_u32_u24_e32 v21, 0x88, v12
	v_mad_u32_u24 v25, 0x88, v12, v18
	s_mov_b32 s5, 0
	v_min_i32_e32 v10, v19, v10
	s_mov_b32 s4, exec_lo
	; wave barrier
	ds_store_2addr_b64 v25, v[0:1], v[2:3] offset1:1
	ds_store_2addr_b64 v25, v[4:5], v[6:7] offset0:2 offset1:3
	v_add_nc_u32_e32 v11, 4, v10
	v_lshlrev_b32_e32 v16, 3, v10
	; wave barrier
	s_delay_alu instid0(VALU_DEP_2) | instskip(NEXT) | instid1(VALU_DEP_2)
	v_min_i32_e32 v26, v19, v11
	v_mad_u32_u24 v12, 0x88, v12, v16
	s_delay_alu instid0(VALU_DEP_2) | instskip(SKIP_1) | instid1(VALU_DEP_2)
	v_add_nc_u32_e32 v11, 4, v26
	v_sub_nc_u32_e32 v14, v26, v10
	v_min_i32_e32 v24, v19, v11
	v_min_i32_e32 v11, v19, v13
	s_delay_alu instid0(VALU_DEP_2) | instskip(NEXT) | instid1(VALU_DEP_2)
	v_sub_nc_u32_e32 v13, v24, v26
	v_min_i32_e32 v14, v11, v14
	s_delay_alu instid0(VALU_DEP_2) | instskip(SKIP_1) | instid1(VALU_DEP_1)
	v_sub_nc_u32_e32 v15, v11, v13
	v_cmp_ge_i32_e64 s3, v11, v13
	v_cndmask_b32_e64 v13, 0, v15, s3
	s_delay_alu instid0(VALU_DEP_1)
	v_cmpx_lt_i32_e64 v13, v14
	s_cbranch_execz .LBB150_14
; %bb.11:
	v_lshlrev_b32_e32 v0, 3, v26
	v_lshlrev_b32_e32 v1, 3, v11
	s_delay_alu instid0(VALU_DEP_1)
	v_add3_u32 v0, v21, v0, v1
	.p2align	6
.LBB150_12:                             ; =>This Inner Loop Header: Depth=1
	v_sub_nc_u32_e32 v1, v14, v13
	s_delay_alu instid0(VALU_DEP_1) | instskip(NEXT) | instid1(VALU_DEP_1)
	v_lshrrev_b32_e32 v2, 31, v1
	v_add_nc_u32_e32 v1, v1, v2
	s_delay_alu instid0(VALU_DEP_1) | instskip(NEXT) | instid1(VALU_DEP_1)
	v_ashrrev_i32_e32 v1, 1, v1
	v_add_nc_u32_e32 v5, v1, v13
	s_delay_alu instid0(VALU_DEP_1) | instskip(SKIP_1) | instid1(VALU_DEP_2)
	v_not_b32_e32 v1, v5
	v_lshl_add_u32 v2, v5, 3, v12
	v_lshl_add_u32 v3, v1, 3, v0
	ds_load_b64 v[1:2], v2
	ds_load_b64 v[3:4], v3
	s_waitcnt lgkmcnt(0)
	v_cmp_lt_i64_e64 s3, v[3:4], v[1:2]
	v_add_nc_u32_e32 v1, 1, v5
	s_delay_alu instid0(VALU_DEP_2) | instskip(NEXT) | instid1(VALU_DEP_2)
	v_cndmask_b32_e64 v14, v14, v5, s3
	v_cndmask_b32_e64 v13, v1, v13, s3
	s_delay_alu instid0(VALU_DEP_1) | instskip(NEXT) | instid1(VALU_DEP_1)
	v_cmp_ge_i32_e64 s3, v13, v14
	s_or_b32 s5, s3, s5
	s_delay_alu instid0(SALU_CYCLE_1)
	s_and_not1_b32 exec_lo, exec_lo, s5
	s_cbranch_execnz .LBB150_12
; %bb.13:
	s_or_b32 exec_lo, exec_lo, s5
.LBB150_14:
	s_delay_alu instid0(SALU_CYCLE_1) | instskip(SKIP_3) | instid1(VALU_DEP_3)
	s_or_b32 exec_lo, exec_lo, s4
	v_add_nc_u32_e32 v0, v26, v11
	v_lshl_add_u32 v6, v13, 3, v12
	v_add_nc_u32_e32 v10, v13, v10
                                        ; implicit-def: $vgpr4_vgpr5
	v_sub_nc_u32_e32 v11, v0, v13
	s_delay_alu instid0(VALU_DEP_2) | instskip(NEXT) | instid1(VALU_DEP_2)
	v_cmp_le_i32_e64 s4, v26, v10
	v_lshl_add_u32 v12, v11, 3, v21
	v_cmp_gt_i32_e64 s5, v24, v11
	ds_load_b64 v[0:1], v6
	ds_load_b64 v[2:3], v12
	s_waitcnt lgkmcnt(0)
	v_cmp_lt_i64_e64 s3, v[2:3], v[0:1]
	s_delay_alu instid0(VALU_DEP_1) | instskip(NEXT) | instid1(SALU_CYCLE_1)
	s_or_b32 s3, s4, s3
	s_and_b32 s3, s5, s3
	s_delay_alu instid0(SALU_CYCLE_1) | instskip(NEXT) | instid1(SALU_CYCLE_1)
	s_xor_b32 s4, s3, -1
	s_and_saveexec_b32 s5, s4
	s_delay_alu instid0(SALU_CYCLE_1)
	s_xor_b32 s4, exec_lo, s5
	s_cbranch_execz .LBB150_16
; %bb.15:
	ds_load_b64 v[4:5], v6 offset:8
                                        ; implicit-def: $vgpr12
.LBB150_16:
	s_or_saveexec_b32 s4, s4
	v_dual_mov_b32 v7, v3 :: v_dual_mov_b32 v6, v2
	s_xor_b32 exec_lo, exec_lo, s4
	s_cbranch_execz .LBB150_18
; %bb.17:
	ds_load_b64 v[6:7], v12 offset:8
	s_waitcnt lgkmcnt(1)
	v_dual_mov_b32 v5, v1 :: v_dual_mov_b32 v4, v0
.LBB150_18:
	s_or_b32 exec_lo, exec_lo, s4
	v_add_nc_u32_e32 v12, 1, v10
	v_add_nc_u32_e32 v13, 1, v11
	s_waitcnt lgkmcnt(0)
	v_cmp_lt_i64_e64 s4, v[6:7], v[4:5]
	s_delay_alu instid0(VALU_DEP_3) | instskip(NEXT) | instid1(VALU_DEP_3)
	v_cndmask_b32_e64 v15, v12, v10, s3
	v_cndmask_b32_e64 v14, v11, v13, s3
                                        ; implicit-def: $vgpr10_vgpr11
	s_delay_alu instid0(VALU_DEP_2) | instskip(NEXT) | instid1(VALU_DEP_2)
	v_cmp_ge_i32_e64 s5, v15, v26
	v_cmp_lt_i32_e64 s6, v14, v24
	s_delay_alu instid0(VALU_DEP_2)
	s_or_b32 s4, s5, s4
	s_delay_alu instid0(VALU_DEP_1) | instid1(SALU_CYCLE_1)
	s_and_b32 s4, s6, s4
	s_delay_alu instid0(SALU_CYCLE_1) | instskip(NEXT) | instid1(SALU_CYCLE_1)
	s_xor_b32 s5, s4, -1
	s_and_saveexec_b32 s6, s5
	s_delay_alu instid0(SALU_CYCLE_1)
	s_xor_b32 s5, exec_lo, s6
	s_cbranch_execz .LBB150_20
; %bb.19:
	v_lshl_add_u32 v10, v15, 3, v21
	ds_load_b64 v[10:11], v10 offset:8
.LBB150_20:
	s_or_saveexec_b32 s5, s5
	v_dual_mov_b32 v13, v7 :: v_dual_mov_b32 v12, v6
	s_xor_b32 exec_lo, exec_lo, s5
	s_cbranch_execz .LBB150_22
; %bb.21:
	s_waitcnt lgkmcnt(0)
	v_lshl_add_u32 v10, v14, 3, v21
	ds_load_b64 v[12:13], v10 offset:8
	v_dual_mov_b32 v11, v5 :: v_dual_mov_b32 v10, v4
.LBB150_22:
	s_or_b32 exec_lo, exec_lo, s5
	v_add_nc_u32_e32 v16, 1, v15
	v_add_nc_u32_e32 v17, 1, v14
	s_waitcnt lgkmcnt(0)
	v_cmp_lt_i64_e64 s5, v[12:13], v[10:11]
	s_delay_alu instid0(VALU_DEP_3) | instskip(NEXT) | instid1(VALU_DEP_3)
	v_cndmask_b32_e64 v29, v16, v15, s4
	v_cndmask_b32_e64 v28, v14, v17, s4
                                        ; implicit-def: $vgpr14_vgpr15
	s_delay_alu instid0(VALU_DEP_2) | instskip(NEXT) | instid1(VALU_DEP_2)
	v_cmp_ge_i32_e64 s6, v29, v26
	v_cmp_lt_i32_e64 s7, v28, v24
	s_delay_alu instid0(VALU_DEP_2)
	s_or_b32 s5, s6, s5
	s_delay_alu instid0(VALU_DEP_1) | instid1(SALU_CYCLE_1)
	s_and_b32 s5, s7, s5
	s_delay_alu instid0(SALU_CYCLE_1) | instskip(NEXT) | instid1(SALU_CYCLE_1)
	s_xor_b32 s6, s5, -1
	s_and_saveexec_b32 s7, s6
	s_delay_alu instid0(SALU_CYCLE_1)
	s_xor_b32 s6, exec_lo, s7
	s_cbranch_execz .LBB150_24
; %bb.23:
	v_lshl_add_u32 v14, v29, 3, v21
	ds_load_b64 v[14:15], v14 offset:8
.LBB150_24:
	s_or_saveexec_b32 s6, s6
	v_dual_mov_b32 v17, v13 :: v_dual_mov_b32 v16, v12
	s_xor_b32 exec_lo, exec_lo, s6
	s_cbranch_execz .LBB150_26
; %bb.25:
	s_waitcnt lgkmcnt(0)
	v_lshl_add_u32 v14, v28, 3, v21
	ds_load_b64 v[16:17], v14 offset:8
	v_dual_mov_b32 v15, v11 :: v_dual_mov_b32 v14, v10
.LBB150_26:
	s_or_b32 exec_lo, exec_lo, s6
	v_min_i32_e32 v27, 0, v19
	v_cndmask_b32_e64 v10, v10, v12, s5
	v_add_nc_u32_e32 v31, 1, v29
	v_cndmask_b32_e64 v11, v11, v13, s5
	v_add_nc_u32_e32 v30, 1, v28
	v_add_nc_u32_e32 v22, 8, v27
	v_cndmask_b32_e64 v13, v1, v3, s3
	v_cndmask_b32_e64 v1, v31, v29, s5
	;; [unrolled: 1-line block ×4, first 2 shown]
	v_min_i32_e32 v22, v19, v22
	s_delay_alu instid0(VALU_DEP_4) | instskip(NEXT) | instid1(VALU_DEP_2)
	v_cmp_ge_i32_e64 s4, v1, v26
	; wave barrier
	v_add_nc_u32_e32 v12, 8, v22
	v_sub_nc_u32_e32 v1, v22, v27
	s_delay_alu instid0(VALU_DEP_2)
	v_min_i32_e32 v23, v19, v12
	v_cndmask_b32_e64 v12, v0, v2, s3
	s_waitcnt lgkmcnt(0)
	v_cmp_lt_i64_e64 s3, v[16:17], v[14:15]
	v_min_i32_e32 v0, v19, v20
	v_cndmask_b32_e64 v2, v28, v30, s5
	v_sub_nc_u32_e32 v3, v23, v22
	s_delay_alu instid0(VALU_DEP_4) | instskip(NEXT) | instid1(VALU_DEP_2)
	s_or_b32 s4, s4, s3
	v_cmp_lt_i32_e64 s5, v2, v24
	s_delay_alu instid0(VALU_DEP_2) | instskip(SKIP_3) | instid1(VALU_DEP_3)
	v_sub_nc_u32_e32 v4, v0, v3
	v_cmp_ge_i32_e64 s3, v0, v3
	v_min_i32_e32 v2, v0, v1
	v_lshl_add_u32 v1, v27, 3, v21
	v_cndmask_b32_e64 v4, 0, v4, s3
	s_and_b32 s3, s5, s4
	s_mov_b32 s5, 0
	v_cndmask_b32_e64 v15, v15, v17, s3
	v_cndmask_b32_e64 v14, v14, v16, s3
	s_mov_b32 s4, exec_lo
	ds_store_2addr_b64 v25, v[12:13], v[6:7] offset1:1
	ds_store_2addr_b64 v25, v[10:11], v[14:15] offset0:2 offset1:3
	; wave barrier
	v_cmpx_lt_i32_e64 v4, v2
	s_cbranch_execz .LBB150_30
; %bb.27:
	v_lshlrev_b32_e32 v3, 3, v22
	v_lshlrev_b32_e32 v5, 3, v0
	s_delay_alu instid0(VALU_DEP_1)
	v_add3_u32 v3, v21, v3, v5
	.p2align	6
.LBB150_28:                             ; =>This Inner Loop Header: Depth=1
	v_sub_nc_u32_e32 v5, v2, v4
	s_delay_alu instid0(VALU_DEP_1) | instskip(NEXT) | instid1(VALU_DEP_1)
	v_lshrrev_b32_e32 v6, 31, v5
	v_add_nc_u32_e32 v5, v5, v6
	s_delay_alu instid0(VALU_DEP_1) | instskip(NEXT) | instid1(VALU_DEP_1)
	v_ashrrev_i32_e32 v5, 1, v5
	v_add_nc_u32_e32 v7, v5, v4
	s_delay_alu instid0(VALU_DEP_1) | instskip(SKIP_1) | instid1(VALU_DEP_2)
	v_not_b32_e32 v5, v7
	v_lshl_add_u32 v6, v7, 3, v1
	v_lshl_add_u32 v10, v5, 3, v3
	ds_load_b64 v[5:6], v6
	ds_load_b64 v[10:11], v10
	s_waitcnt lgkmcnt(0)
	v_cmp_lt_i64_e64 s3, v[10:11], v[5:6]
	v_add_nc_u32_e32 v5, 1, v7
	s_delay_alu instid0(VALU_DEP_2) | instskip(NEXT) | instid1(VALU_DEP_2)
	v_cndmask_b32_e64 v2, v2, v7, s3
	v_cndmask_b32_e64 v4, v5, v4, s3
	s_delay_alu instid0(VALU_DEP_1) | instskip(NEXT) | instid1(VALU_DEP_1)
	v_cmp_ge_i32_e64 s3, v4, v2
	s_or_b32 s5, s3, s5
	s_delay_alu instid0(SALU_CYCLE_1)
	s_and_not1_b32 exec_lo, exec_lo, s5
	s_cbranch_execnz .LBB150_28
; %bb.29:
	s_or_b32 exec_lo, exec_lo, s5
.LBB150_30:
	s_delay_alu instid0(SALU_CYCLE_1) | instskip(SKIP_3) | instid1(VALU_DEP_3)
	s_or_b32 exec_lo, exec_lo, s4
	v_add_nc_u32_e32 v0, v22, v0
	v_lshl_add_u32 v6, v4, 3, v1
	v_add_nc_u32_e32 v11, v4, v27
	v_sub_nc_u32_e32 v10, v0, v4
                                        ; implicit-def: $vgpr4_vgpr5
	s_delay_alu instid0(VALU_DEP_2) | instskip(NEXT) | instid1(VALU_DEP_2)
	v_cmp_le_i32_e64 s4, v22, v11
	v_lshl_add_u32 v12, v10, 3, v21
	v_cmp_gt_i32_e64 s5, v23, v10
	ds_load_b64 v[0:1], v6
	ds_load_b64 v[2:3], v12
	s_waitcnt lgkmcnt(0)
	v_cmp_lt_i64_e64 s3, v[2:3], v[0:1]
	s_delay_alu instid0(VALU_DEP_1) | instskip(NEXT) | instid1(SALU_CYCLE_1)
	s_or_b32 s3, s4, s3
	s_and_b32 s3, s5, s3
	s_delay_alu instid0(SALU_CYCLE_1) | instskip(NEXT) | instid1(SALU_CYCLE_1)
	s_xor_b32 s4, s3, -1
	s_and_saveexec_b32 s5, s4
	s_delay_alu instid0(SALU_CYCLE_1)
	s_xor_b32 s4, exec_lo, s5
	s_cbranch_execz .LBB150_32
; %bb.31:
	ds_load_b64 v[4:5], v6 offset:8
                                        ; implicit-def: $vgpr12
.LBB150_32:
	s_or_saveexec_b32 s4, s4
	v_dual_mov_b32 v7, v3 :: v_dual_mov_b32 v6, v2
	s_xor_b32 exec_lo, exec_lo, s4
	s_cbranch_execz .LBB150_34
; %bb.33:
	ds_load_b64 v[6:7], v12 offset:8
	s_waitcnt lgkmcnt(1)
	v_dual_mov_b32 v5, v1 :: v_dual_mov_b32 v4, v0
.LBB150_34:
	s_or_b32 exec_lo, exec_lo, s4
	v_add_nc_u32_e32 v12, 1, v11
	v_add_nc_u32_e32 v13, 1, v10
	s_waitcnt lgkmcnt(0)
	v_cmp_lt_i64_e64 s4, v[6:7], v[4:5]
	s_delay_alu instid0(VALU_DEP_3) | instskip(NEXT) | instid1(VALU_DEP_3)
	v_cndmask_b32_e64 v15, v12, v11, s3
	v_cndmask_b32_e64 v14, v10, v13, s3
                                        ; implicit-def: $vgpr10_vgpr11
	s_delay_alu instid0(VALU_DEP_2) | instskip(NEXT) | instid1(VALU_DEP_2)
	v_cmp_ge_i32_e64 s5, v15, v22
	v_cmp_lt_i32_e64 s6, v14, v23
	s_delay_alu instid0(VALU_DEP_2)
	s_or_b32 s4, s5, s4
	s_delay_alu instid0(VALU_DEP_1) | instid1(SALU_CYCLE_1)
	s_and_b32 s4, s6, s4
	s_delay_alu instid0(SALU_CYCLE_1) | instskip(NEXT) | instid1(SALU_CYCLE_1)
	s_xor_b32 s5, s4, -1
	s_and_saveexec_b32 s6, s5
	s_delay_alu instid0(SALU_CYCLE_1)
	s_xor_b32 s5, exec_lo, s6
	s_cbranch_execz .LBB150_36
; %bb.35:
	v_lshl_add_u32 v10, v15, 3, v21
	ds_load_b64 v[10:11], v10 offset:8
.LBB150_36:
	s_or_saveexec_b32 s5, s5
	v_dual_mov_b32 v13, v7 :: v_dual_mov_b32 v12, v6
	s_xor_b32 exec_lo, exec_lo, s5
	s_cbranch_execz .LBB150_38
; %bb.37:
	s_waitcnt lgkmcnt(0)
	v_lshl_add_u32 v10, v14, 3, v21
	ds_load_b64 v[12:13], v10 offset:8
	v_dual_mov_b32 v11, v5 :: v_dual_mov_b32 v10, v4
.LBB150_38:
	s_or_b32 exec_lo, exec_lo, s5
	v_add_nc_u32_e32 v16, 1, v15
	v_add_nc_u32_e32 v17, 1, v14
	s_waitcnt lgkmcnt(0)
	v_cmp_lt_i64_e64 s5, v[12:13], v[10:11]
                                        ; implicit-def: $vgpr20
	s_delay_alu instid0(VALU_DEP_3) | instskip(NEXT) | instid1(VALU_DEP_3)
	v_cndmask_b32_e64 v24, v16, v15, s4
	v_cndmask_b32_e64 v19, v14, v17, s4
                                        ; implicit-def: $vgpr14_vgpr15
	s_delay_alu instid0(VALU_DEP_2) | instskip(NEXT) | instid1(VALU_DEP_2)
	v_cmp_ge_i32_e64 s6, v24, v22
	v_cmp_lt_i32_e64 s7, v19, v23
	s_delay_alu instid0(VALU_DEP_2)
	s_or_b32 s5, s6, s5
	s_delay_alu instid0(VALU_DEP_1) | instid1(SALU_CYCLE_1)
	s_and_b32 s5, s7, s5
	s_delay_alu instid0(SALU_CYCLE_1) | instskip(NEXT) | instid1(SALU_CYCLE_1)
	s_xor_b32 s6, s5, -1
	s_and_saveexec_b32 s7, s6
	s_delay_alu instid0(SALU_CYCLE_1)
	s_xor_b32 s6, exec_lo, s7
	s_cbranch_execz .LBB150_40
; %bb.39:
	v_lshl_add_u32 v14, v24, 3, v21
	v_add_nc_u32_e32 v20, 1, v24
                                        ; implicit-def: $vgpr24
                                        ; implicit-def: $vgpr21
	ds_load_b64 v[14:15], v14 offset:8
.LBB150_40:
	s_or_saveexec_b32 s6, s6
	v_dual_mov_b32 v17, v13 :: v_dual_mov_b32 v16, v12
	s_xor_b32 exec_lo, exec_lo, s6
	s_cbranch_execz .LBB150_42
; %bb.41:
	s_waitcnt lgkmcnt(0)
	v_lshl_add_u32 v14, v19, 3, v21
	v_dual_mov_b32 v20, v24 :: v_dual_add_nc_u32 v19, 1, v19
	ds_load_b64 v[16:17], v14 offset:8
	v_dual_mov_b32 v15, v11 :: v_dual_mov_b32 v14, v10
.LBB150_42:
	s_or_b32 exec_lo, exec_lo, s6
	v_add_co_u32 v8, s6, s10, v8
	s_delay_alu instid0(VALU_DEP_1) | instskip(NEXT) | instid1(VALU_DEP_2)
	v_add_co_ci_u32_e64 v9, s6, s11, v9, s6
	v_add_co_u32 v8, s6, v8, v18
	s_delay_alu instid0(VALU_DEP_1)
	v_add_co_ci_u32_e64 v9, s6, 0, v9, s6
	s_and_saveexec_b32 s6, vcc_lo
	s_cbranch_execnz .LBB150_47
; %bb.43:
	s_or_b32 exec_lo, exec_lo, s6
	s_and_saveexec_b32 s3, s0
	s_cbranch_execnz .LBB150_48
.LBB150_44:
	s_or_b32 exec_lo, exec_lo, s3
	s_and_saveexec_b32 s0, s1
	s_cbranch_execnz .LBB150_49
.LBB150_45:
	s_or_b32 exec_lo, exec_lo, s0
	s_and_saveexec_b32 s0, s2
	s_cbranch_execnz .LBB150_50
.LBB150_46:
	s_nop 0
	s_sendmsg sendmsg(MSG_DEALLOC_VGPRS)
	s_endpgm
.LBB150_47:
	v_cndmask_b32_e64 v1, v1, v3, s3
	v_cndmask_b32_e64 v0, v0, v2, s3
	global_store_b64 v[8:9], v[0:1], off
	s_or_b32 exec_lo, exec_lo, s6
	s_and_saveexec_b32 s3, s0
	s_cbranch_execz .LBB150_44
.LBB150_48:
	v_cndmask_b32_e64 v1, v5, v7, s4
	v_cndmask_b32_e64 v0, v4, v6, s4
	global_store_b64 v[8:9], v[0:1], off offset:8
	s_or_b32 exec_lo, exec_lo, s3
	s_and_saveexec_b32 s0, s1
	s_cbranch_execz .LBB150_45
.LBB150_49:
	v_cndmask_b32_e64 v1, v11, v13, s5
	v_cndmask_b32_e64 v0, v10, v12, s5
	global_store_b64 v[8:9], v[0:1], off offset:16
	s_or_b32 exec_lo, exec_lo, s0
	s_and_saveexec_b32 s0, s2
	s_cbranch_execz .LBB150_46
.LBB150_50:
	s_waitcnt lgkmcnt(0)
	v_cmp_lt_i64_e32 vcc_lo, v[16:17], v[14:15]
	v_cmp_ge_i32_e64 s0, v20, v22
	v_cmp_lt_i32_e64 s1, v19, v23
	s_delay_alu instid0(VALU_DEP_2)
	s_or_b32 s0, s0, vcc_lo
	s_delay_alu instid0(VALU_DEP_1) | instid1(SALU_CYCLE_1)
	s_and_b32 vcc_lo, s1, s0
	v_dual_cndmask_b32 v1, v15, v17 :: v_dual_cndmask_b32 v0, v14, v16
	global_store_b64 v[8:9], v[0:1], off offset:24
	s_nop 0
	s_sendmsg sendmsg(MSG_DEALLOC_VGPRS)
	s_endpgm
	.section	.rodata,"a",@progbits
	.p2align	6, 0x0
	.amdhsa_kernel _Z19sort_keys_segmentedILj256ELj4ELj4ExN10test_utils4lessEEvPKT2_PS2_PKjT3_
		.amdhsa_group_segment_fixed_size 8704
		.amdhsa_private_segment_fixed_size 0
		.amdhsa_kernarg_size 28
		.amdhsa_user_sgpr_count 15
		.amdhsa_user_sgpr_dispatch_ptr 0
		.amdhsa_user_sgpr_queue_ptr 0
		.amdhsa_user_sgpr_kernarg_segment_ptr 1
		.amdhsa_user_sgpr_dispatch_id 0
		.amdhsa_user_sgpr_private_segment_size 0
		.amdhsa_wavefront_size32 1
		.amdhsa_uses_dynamic_stack 0
		.amdhsa_enable_private_segment 0
		.amdhsa_system_sgpr_workgroup_id_x 1
		.amdhsa_system_sgpr_workgroup_id_y 0
		.amdhsa_system_sgpr_workgroup_id_z 0
		.amdhsa_system_sgpr_workgroup_info 0
		.amdhsa_system_vgpr_workitem_id 0
		.amdhsa_next_free_vgpr 32
		.amdhsa_next_free_sgpr 16
		.amdhsa_reserve_vcc 1
		.amdhsa_float_round_mode_32 0
		.amdhsa_float_round_mode_16_64 0
		.amdhsa_float_denorm_mode_32 3
		.amdhsa_float_denorm_mode_16_64 3
		.amdhsa_dx10_clamp 1
		.amdhsa_ieee_mode 1
		.amdhsa_fp16_overflow 0
		.amdhsa_workgroup_processor_mode 1
		.amdhsa_memory_ordered 1
		.amdhsa_forward_progress 0
		.amdhsa_shared_vgpr_count 0
		.amdhsa_exception_fp_ieee_invalid_op 0
		.amdhsa_exception_fp_denorm_src 0
		.amdhsa_exception_fp_ieee_div_zero 0
		.amdhsa_exception_fp_ieee_overflow 0
		.amdhsa_exception_fp_ieee_underflow 0
		.amdhsa_exception_fp_ieee_inexact 0
		.amdhsa_exception_int_div_zero 0
	.end_amdhsa_kernel
	.section	.text._Z19sort_keys_segmentedILj256ELj4ELj4ExN10test_utils4lessEEvPKT2_PS2_PKjT3_,"axG",@progbits,_Z19sort_keys_segmentedILj256ELj4ELj4ExN10test_utils4lessEEvPKT2_PS2_PKjT3_,comdat
.Lfunc_end150:
	.size	_Z19sort_keys_segmentedILj256ELj4ELj4ExN10test_utils4lessEEvPKT2_PS2_PKjT3_, .Lfunc_end150-_Z19sort_keys_segmentedILj256ELj4ELj4ExN10test_utils4lessEEvPKT2_PS2_PKjT3_
                                        ; -- End function
	.section	.AMDGPU.csdata,"",@progbits
; Kernel info:
; codeLenInByte = 2776
; NumSgprs: 18
; NumVgprs: 32
; ScratchSize: 0
; MemoryBound: 1
; FloatMode: 240
; IeeeMode: 1
; LDSByteSize: 8704 bytes/workgroup (compile time only)
; SGPRBlocks: 2
; VGPRBlocks: 3
; NumSGPRsForWavesPerEU: 18
; NumVGPRsForWavesPerEU: 32
; Occupancy: 16
; WaveLimiterHint : 0
; COMPUTE_PGM_RSRC2:SCRATCH_EN: 0
; COMPUTE_PGM_RSRC2:USER_SGPR: 15
; COMPUTE_PGM_RSRC2:TRAP_HANDLER: 0
; COMPUTE_PGM_RSRC2:TGID_X_EN: 1
; COMPUTE_PGM_RSRC2:TGID_Y_EN: 0
; COMPUTE_PGM_RSRC2:TGID_Z_EN: 0
; COMPUTE_PGM_RSRC2:TIDIG_COMP_CNT: 0
	.section	.text._Z20sort_pairs_segmentedILj256ELj4ELj4ExN10test_utils4lessEEvPKT2_PS2_PKjT3_,"axG",@progbits,_Z20sort_pairs_segmentedILj256ELj4ELj4ExN10test_utils4lessEEvPKT2_PS2_PKjT3_,comdat
	.protected	_Z20sort_pairs_segmentedILj256ELj4ELj4ExN10test_utils4lessEEvPKT2_PS2_PKjT3_ ; -- Begin function _Z20sort_pairs_segmentedILj256ELj4ELj4ExN10test_utils4lessEEvPKT2_PS2_PKjT3_
	.globl	_Z20sort_pairs_segmentedILj256ELj4ELj4ExN10test_utils4lessEEvPKT2_PS2_PKjT3_
	.p2align	8
	.type	_Z20sort_pairs_segmentedILj256ELj4ELj4ExN10test_utils4lessEEvPKT2_PS2_PKjT3_,@function
_Z20sort_pairs_segmentedILj256ELj4ELj4ExN10test_utils4lessEEvPKT2_PS2_PKjT3_: ; @_Z20sort_pairs_segmentedILj256ELj4ELj4ExN10test_utils4lessEEvPKT2_PS2_PKjT3_
; %bb.0:
	s_clause 0x1
	s_load_b64 s[2:3], s[0:1], 0x10
	s_load_b128 s[8:11], s[0:1], 0x0
	v_lshrrev_b32_e32 v35, 2, v0
	v_mov_b32_e32 v1, 0
	s_delay_alu instid0(VALU_DEP_2) | instskip(NEXT) | instid1(VALU_DEP_1)
	v_lshl_or_b32 v0, s15, 6, v35
	v_lshlrev_b64 v[2:3], 2, v[0:1]
	v_lshlrev_b32_e32 v0, 4, v0
	s_waitcnt lgkmcnt(0)
	s_delay_alu instid0(VALU_DEP_2) | instskip(NEXT) | instid1(VALU_DEP_3)
	v_add_co_u32 v2, vcc_lo, s2, v2
	v_add_co_ci_u32_e32 v3, vcc_lo, s3, v3, vcc_lo
	global_load_b32 v33, v[2:3], off
	v_mbcnt_lo_u32_b32 v2, -1, 0
	s_delay_alu instid0(VALU_DEP_1) | instskip(SKIP_1) | instid1(VALU_DEP_2)
	v_lshlrev_b32_e32 v36, 2, v2
	v_lshlrev_b64 v[18:19], 3, v[0:1]
	v_and_b32_e32 v34, 12, v36
	s_delay_alu instid0(VALU_DEP_2) | instskip(NEXT) | instid1(VALU_DEP_3)
	v_add_co_u32 v0, vcc_lo, s8, v18
	v_add_co_ci_u32_e32 v1, vcc_lo, s9, v19, vcc_lo
	s_delay_alu instid0(VALU_DEP_3) | instskip(NEXT) | instid1(VALU_DEP_1)
	v_lshlrev_b32_e32 v32, 3, v34
	v_add_co_u32 v8, vcc_lo, v0, v32
	s_delay_alu instid0(VALU_DEP_3)
	v_add_co_ci_u32_e32 v9, vcc_lo, 0, v1, vcc_lo
                                        ; implicit-def: $vgpr0_vgpr1_vgpr2_vgpr3_vgpr4_vgpr5_vgpr6_vgpr7
	s_waitcnt vmcnt(0)
	v_cmp_lt_u32_e32 vcc_lo, v34, v33
	s_and_saveexec_b32 s0, vcc_lo
	s_cbranch_execz .LBB151_2
; %bb.1:
	global_load_b64 v[0:1], v[8:9], off
.LBB151_2:
	s_or_b32 exec_lo, exec_lo, s0
	v_or_b32_e32 v12, 1, v34
	s_delay_alu instid0(VALU_DEP_1) | instskip(NEXT) | instid1(VALU_DEP_1)
	v_cmp_lt_u32_e64 s0, v12, v33
	s_and_saveexec_b32 s1, s0
	s_cbranch_execz .LBB151_4
; %bb.3:
	global_load_b64 v[2:3], v[8:9], off offset:8
.LBB151_4:
	s_or_b32 exec_lo, exec_lo, s1
	v_or_b32_e32 v10, 2, v34
	s_delay_alu instid0(VALU_DEP_1) | instskip(NEXT) | instid1(VALU_DEP_1)
	v_cmp_lt_u32_e64 s1, v10, v33
	s_and_saveexec_b32 s2, s1
	s_cbranch_execz .LBB151_6
; %bb.5:
	global_load_b64 v[4:5], v[8:9], off offset:16
.LBB151_6:
	;; [unrolled: 9-line block ×3, first 2 shown]
	s_or_b32 exec_lo, exec_lo, s3
	s_waitcnt vmcnt(0)
	v_add_co_u32 v20, s3, v0, 1
	s_delay_alu instid0(VALU_DEP_1) | instskip(SKIP_1) | instid1(VALU_DEP_1)
	v_add_co_ci_u32_e64 v21, s3, 0, v1, s3
	v_add_co_u32 v22, s3, v2, 1
	v_add_co_ci_u32_e64 v23, s3, 0, v3, s3
	v_add_co_u32 v24, s3, v4, 1
	s_delay_alu instid0(VALU_DEP_1)
	v_add_co_ci_u32_e64 v25, s3, 0, v5, s3
	v_cmp_lt_i32_e64 s3, v10, v33
	v_add_co_u32 v10, s5, v6, 1
	v_cmp_lt_i32_e64 s4, v11, v33
	v_add_co_ci_u32_e64 v11, s5, 0, v7, s5
	v_cmp_lt_i32_e64 s5, v12, v33
	s_mov_b32 s6, exec_lo
	s_delay_alu instid0(VALU_DEP_3)
	s_or_b32 s3, s4, s3
	v_cndmask_b32_e64 v9, 0x7fffffff, v7, s4
	v_cndmask_b32_e64 v27, 0x7fffffff, v5, s3
	v_cndmask_b32_e64 v26, -1, v4, s3
	s_or_b32 s3, s3, s5
	v_cndmask_b32_e64 v8, -1, v6, s4
	v_cndmask_b32_e64 v3, 0x7fffffff, v3, s3
	v_cndmask_b32_e64 v2, -1, v2, s3
	v_cmpx_lt_i32_e64 v34, v33
	s_cbranch_execz .LBB151_18
; %bb.9:
	s_delay_alu instid0(VALU_DEP_2) | instskip(SKIP_3) | instid1(VALU_DEP_3)
	v_cmp_lt_i64_e64 s3, v[2:3], v[0:1]
	v_dual_mov_b32 v29, v11 :: v_dual_mov_b32 v28, v10
	v_dual_mov_b32 v6, v26 :: v_dual_mov_b32 v7, v27
	s_mov_b32 s5, exec_lo
	v_cndmask_b32_e64 v5, v3, v1, s3
	v_cndmask_b32_e64 v4, v2, v0, s3
	;; [unrolled: 1-line block ×4, first 2 shown]
	v_cmpx_lt_i64_e64 v[8:9], v[26:27]
; %bb.10:
	v_dual_mov_b32 v0, v26 :: v_dual_mov_b32 v1, v27
	v_dual_mov_b32 v29, v25 :: v_dual_mov_b32 v28, v24
	;; [unrolled: 1-line block ×6, first 2 shown]
; %bb.11:
	s_or_b32 exec_lo, exec_lo, s5
	s_delay_alu instid0(VALU_DEP_3) | instskip(NEXT) | instid1(VALU_DEP_2)
	v_cmp_lt_i64_e64 s4, v[26:27], v[4:5]
	v_dual_mov_b32 v17, v9 :: v_dual_mov_b32 v16, v8
	v_cndmask_b32_e64 v31, v23, v21, s3
	v_cndmask_b32_e64 v30, v22, v20, s3
	v_dual_mov_b32 v15, v7 :: v_dual_mov_b32 v14, v6
	v_dual_mov_b32 v13, v5 :: v_dual_mov_b32 v12, v4
	;; [unrolled: 1-line block ×4, first 2 shown]
	s_and_saveexec_b32 s5, s4
	s_delay_alu instid0(SALU_CYCLE_1)
	s_xor_b32 s4, exec_lo, s5
; %bb.12:
	v_dual_mov_b32 v17, v9 :: v_dual_mov_b32 v16, v8
	s_delay_alu instid0(VALU_DEP_2)
	v_dual_mov_b32 v15, v7 :: v_dual_mov_b32 v14, v6
	v_dual_mov_b32 v13, v5 :: v_dual_mov_b32 v12, v4
	v_dual_mov_b32 v11, v3 :: v_dual_mov_b32 v10, v2
	v_dual_mov_b32 v12, v26 :: v_dual_mov_b32 v13, v27
	v_dual_mov_b32 v14, v4 :: v_dual_mov_b32 v15, v5
	v_dual_mov_b32 v16, v8 :: v_dual_mov_b32 v17, v9
	v_dual_mov_b32 v6, v30 :: v_dual_mov_b32 v7, v31
	v_dual_mov_b32 v31, v25 :: v_dual_mov_b32 v30, v24
	v_dual_mov_b32 v4, v26 :: v_dual_mov_b32 v5, v27
; %bb.13:
	s_or_b32 exec_lo, exec_lo, s4
	s_delay_alu instid0(VALU_DEP_1) | instskip(SKIP_3) | instid1(VALU_DEP_3)
	v_cmp_lt_i64_e64 s4, v[4:5], v[2:3]
	v_dual_mov_b32 v8, v16 :: v_dual_mov_b32 v9, v17
	v_dual_mov_b32 v27, v15 :: v_dual_mov_b32 v26, v14
	s_mov_b32 s7, exec_lo
	v_cndmask_b32_e64 v3, v13, v11, s4
	v_cndmask_b32_e64 v2, v12, v10, s4
	;; [unrolled: 1-line block ×4, first 2 shown]
	v_dual_mov_b32 v10, v28 :: v_dual_mov_b32 v11, v29
	v_cmpx_lt_i64_e64 v[16:17], v[14:15]
; %bb.14:
	v_dual_mov_b32 v4, v14 :: v_dual_mov_b32 v5, v15
	v_dual_mov_b32 v11, v7 :: v_dual_mov_b32 v10, v6
	;; [unrolled: 1-line block ×6, first 2 shown]
; %bb.15:
	s_or_b32 exec_lo, exec_lo, s7
	v_cndmask_b32_e64 v12, v21, v23, s3
	v_cndmask_b32_e64 v13, v20, v22, s3
	s_delay_alu instid0(VALU_DEP_2) | instskip(NEXT) | instid1(VALU_DEP_2)
	v_cndmask_b32_e64 v5, v31, v12, s4
	v_cndmask_b32_e64 v4, v30, v13, s4
	;; [unrolled: 1-line block ×4, first 2 shown]
	s_mov_b32 s4, exec_lo
	s_delay_alu instid0(VALU_DEP_3)
	v_dual_mov_b32 v23, v5 :: v_dual_mov_b32 v22, v4
	v_cmpx_lt_i64_e64 v[14:15], v[2:3]
; %bb.16:
	v_dual_mov_b32 v27, v3 :: v_dual_mov_b32 v26, v2
	v_dual_mov_b32 v2, v14 :: v_dual_mov_b32 v3, v15
	;; [unrolled: 1-line block ×4, first 2 shown]
; %bb.17:
	s_or_b32 exec_lo, exec_lo, s4
	s_delay_alu instid0(VALU_DEP_1)
	v_dual_mov_b32 v25, v7 :: v_dual_mov_b32 v24, v6
.LBB151_18:
	s_or_b32 exec_lo, exec_lo, s6
	v_dual_mov_b32 v15, v8 :: v_dual_and_b32 v4, 8, v36
	v_and_b32_e32 v6, 4, v36
	v_mul_u32_u24_e32 v30, 0x88, v35
	v_mad_u32_u24 v31, 0x88, v35, v32
	s_delay_alu instid0(VALU_DEP_4) | instskip(SKIP_3) | instid1(VALU_DEP_2)
	v_min_i32_e32 v7, v33, v4
	s_mov_b32 s5, 0
	v_min_i32_e32 v6, v33, v6
	s_mov_b32 s4, exec_lo
	v_add_nc_u32_e32 v4, 4, v7
	v_lshlrev_b32_e32 v17, 3, v7
	; wave barrier
	v_mov_b32_e32 v16, v9
	ds_store_2addr_b64 v31, v[0:1], v[2:3] offset1:1
	ds_store_2addr_b64 v31, v[26:27], v[15:16] offset0:2 offset1:3
	v_min_i32_e32 v4, v33, v4
	v_mad_u32_u24 v8, 0x88, v35, v17
	; wave barrier
	s_delay_alu instid0(VALU_DEP_2) | instskip(SKIP_1) | instid1(VALU_DEP_2)
	v_add_nc_u32_e32 v5, 4, v4
	v_sub_nc_u32_e32 v12, v4, v7
	v_min_i32_e32 v5, v33, v5
	s_delay_alu instid0(VALU_DEP_2) | instskip(NEXT) | instid1(VALU_DEP_2)
	v_min_i32_e32 v12, v6, v12
	v_sub_nc_u32_e32 v13, v5, v4
	s_delay_alu instid0(VALU_DEP_1) | instskip(SKIP_1) | instid1(VALU_DEP_1)
	v_sub_nc_u32_e32 v14, v6, v13
	v_cmp_ge_i32_e64 s3, v6, v13
	v_cndmask_b32_e64 v14, 0, v14, s3
	s_delay_alu instid0(VALU_DEP_1)
	v_cmpx_lt_i32_e64 v14, v12
	s_cbranch_execz .LBB151_22
; %bb.19:
	v_lshlrev_b32_e32 v0, 3, v4
	v_lshlrev_b32_e32 v1, 3, v6
	s_delay_alu instid0(VALU_DEP_1)
	v_add3_u32 v0, v30, v0, v1
	.p2align	6
.LBB151_20:                             ; =>This Inner Loop Header: Depth=1
	v_sub_nc_u32_e32 v1, v12, v14
	s_delay_alu instid0(VALU_DEP_1) | instskip(NEXT) | instid1(VALU_DEP_1)
	v_lshrrev_b32_e32 v2, 31, v1
	v_add_nc_u32_e32 v1, v1, v2
	s_delay_alu instid0(VALU_DEP_1) | instskip(NEXT) | instid1(VALU_DEP_1)
	v_ashrrev_i32_e32 v1, 1, v1
	v_add_nc_u32_e32 v3, v1, v14
	s_delay_alu instid0(VALU_DEP_1) | instskip(SKIP_1) | instid1(VALU_DEP_2)
	v_not_b32_e32 v1, v3
	v_lshl_add_u32 v2, v3, 3, v8
	v_lshl_add_u32 v9, v1, 3, v0
	ds_load_b64 v[1:2], v2
	ds_load_b64 v[15:16], v9
	s_waitcnt lgkmcnt(0)
	v_cmp_lt_i64_e64 s3, v[15:16], v[1:2]
	v_add_nc_u32_e32 v1, 1, v3
	s_delay_alu instid0(VALU_DEP_2) | instskip(NEXT) | instid1(VALU_DEP_2)
	v_cndmask_b32_e64 v12, v12, v3, s3
	v_cndmask_b32_e64 v14, v1, v14, s3
	s_delay_alu instid0(VALU_DEP_1) | instskip(NEXT) | instid1(VALU_DEP_1)
	v_cmp_ge_i32_e64 s3, v14, v12
	s_or_b32 s5, s3, s5
	s_delay_alu instid0(SALU_CYCLE_1)
	s_and_not1_b32 exec_lo, exec_lo, s5
	s_cbranch_execnz .LBB151_20
; %bb.21:
	s_or_b32 exec_lo, exec_lo, s5
.LBB151_22:
	s_delay_alu instid0(SALU_CYCLE_1) | instskip(SKIP_3) | instid1(VALU_DEP_3)
	s_or_b32 exec_lo, exec_lo, s4
	v_add_nc_u32_e32 v0, v4, v6
	v_lshl_add_u32 v1, v14, 3, v8
	v_add_nc_u32_e32 v7, v14, v7
	v_sub_nc_u32_e32 v6, v0, v14
                                        ; implicit-def: $vgpr14_vgpr15
	s_delay_alu instid0(VALU_DEP_2) | instskip(NEXT) | instid1(VALU_DEP_2)
	v_cmp_le_i32_e64 s4, v4, v7
	v_lshl_add_u32 v0, v6, 3, v30
	v_cmp_gt_i32_e64 s5, v5, v6
	ds_load_b64 v[8:9], v1
	ds_load_b64 v[12:13], v0
	s_waitcnt lgkmcnt(0)
	v_cmp_lt_i64_e64 s3, v[12:13], v[8:9]
	s_delay_alu instid0(VALU_DEP_1) | instskip(NEXT) | instid1(SALU_CYCLE_1)
	s_or_b32 s3, s4, s3
	s_and_b32 s3, s5, s3
	s_delay_alu instid0(SALU_CYCLE_1) | instskip(NEXT) | instid1(SALU_CYCLE_1)
	s_xor_b32 s4, s3, -1
	s_and_saveexec_b32 s5, s4
	s_delay_alu instid0(SALU_CYCLE_1)
	s_xor_b32 s4, exec_lo, s5
	s_cbranch_execz .LBB151_24
; %bb.23:
	ds_load_b64 v[14:15], v1 offset:8
                                        ; implicit-def: $vgpr0
.LBB151_24:
	s_or_saveexec_b32 s4, s4
	v_dual_mov_b32 v17, v13 :: v_dual_mov_b32 v16, v12
	s_xor_b32 exec_lo, exec_lo, s4
	s_cbranch_execz .LBB151_26
; %bb.25:
	ds_load_b64 v[16:17], v0 offset:8
	s_waitcnt lgkmcnt(1)
	v_dual_mov_b32 v15, v9 :: v_dual_mov_b32 v14, v8
.LBB151_26:
	s_or_b32 exec_lo, exec_lo, s4
	v_add_nc_u32_e32 v0, 1, v7
	v_add_nc_u32_e32 v1, 1, v6
	s_waitcnt lgkmcnt(0)
	v_cmp_lt_i64_e64 s4, v[16:17], v[14:15]
	s_delay_alu instid0(VALU_DEP_3) | instskip(NEXT) | instid1(VALU_DEP_3)
	v_cndmask_b32_e64 v35, v0, v7, s3
	v_cndmask_b32_e64 v36, v6, v1, s3
                                        ; implicit-def: $vgpr0_vgpr1
	s_delay_alu instid0(VALU_DEP_2) | instskip(NEXT) | instid1(VALU_DEP_2)
	v_cmp_ge_i32_e64 s5, v35, v4
	v_cmp_lt_i32_e64 s6, v36, v5
	s_delay_alu instid0(VALU_DEP_2)
	s_or_b32 s4, s5, s4
	s_delay_alu instid0(VALU_DEP_1) | instid1(SALU_CYCLE_1)
	s_and_b32 s4, s6, s4
	s_delay_alu instid0(SALU_CYCLE_1) | instskip(NEXT) | instid1(SALU_CYCLE_1)
	s_xor_b32 s5, s4, -1
	s_and_saveexec_b32 s6, s5
	s_delay_alu instid0(SALU_CYCLE_1)
	s_xor_b32 s5, exec_lo, s6
	s_cbranch_execz .LBB151_28
; %bb.27:
	v_lshl_add_u32 v0, v35, 3, v30
	ds_load_b64 v[0:1], v0 offset:8
.LBB151_28:
	s_or_saveexec_b32 s5, s5
	v_dual_mov_b32 v2, v16 :: v_dual_mov_b32 v3, v17
	s_xor_b32 exec_lo, exec_lo, s5
	s_cbranch_execz .LBB151_30
; %bb.29:
	s_waitcnt lgkmcnt(0)
	v_lshl_add_u32 v0, v36, 3, v30
	ds_load_b64 v[2:3], v0 offset:8
	v_dual_mov_b32 v0, v14 :: v_dual_mov_b32 v1, v15
.LBB151_30:
	s_or_b32 exec_lo, exec_lo, s5
	v_add_nc_u32_e32 v26, 1, v35
	v_add_nc_u32_e32 v27, 1, v36
	s_waitcnt lgkmcnt(0)
	v_cmp_lt_i64_e64 s5, v[2:3], v[0:1]
	s_delay_alu instid0(VALU_DEP_3) | instskip(NEXT) | instid1(VALU_DEP_3)
	v_cndmask_b32_e64 v38, v26, v35, s4
	v_cndmask_b32_e64 v37, v36, v27, s4
                                        ; implicit-def: $vgpr26_vgpr27
	s_delay_alu instid0(VALU_DEP_2) | instskip(NEXT) | instid1(VALU_DEP_2)
	v_cmp_ge_i32_e64 s6, v38, v4
	v_cmp_lt_i32_e64 s7, v37, v5
	s_delay_alu instid0(VALU_DEP_2)
	s_or_b32 s5, s6, s5
	s_delay_alu instid0(VALU_DEP_1) | instid1(SALU_CYCLE_1)
	s_and_b32 s5, s7, s5
	s_delay_alu instid0(SALU_CYCLE_1) | instskip(NEXT) | instid1(SALU_CYCLE_1)
	s_xor_b32 s6, s5, -1
	s_and_saveexec_b32 s7, s6
	s_delay_alu instid0(SALU_CYCLE_1)
	s_xor_b32 s6, exec_lo, s7
	s_cbranch_execz .LBB151_32
; %bb.31:
	v_lshl_add_u32 v26, v38, 3, v30
	ds_load_b64 v[26:27], v26 offset:8
.LBB151_32:
	s_or_saveexec_b32 s6, s6
	v_dual_mov_b32 v29, v3 :: v_dual_mov_b32 v28, v2
	s_xor_b32 exec_lo, exec_lo, s6
	s_cbranch_execz .LBB151_34
; %bb.33:
	s_waitcnt lgkmcnt(0)
	v_lshl_add_u32 v26, v37, 3, v30
	ds_load_b64 v[28:29], v26 offset:8
	v_dual_mov_b32 v27, v1 :: v_dual_mov_b32 v26, v0
.LBB151_34:
	s_or_b32 exec_lo, exec_lo, s6
	v_add_nc_u32_e32 v41, 1, v38
	v_cndmask_b32_e64 v40, v1, v3, s5
	v_add_nc_u32_e32 v1, 1, v37
	v_cndmask_b32_e64 v39, v0, v2, s5
	v_cndmask_b32_e64 v0, v38, v37, s5
	;; [unrolled: 1-line block ×3, first 2 shown]
	v_min_i32_e32 v38, 0, v33
	v_cndmask_b32_e64 v1, v37, v1, s5
	s_waitcnt lgkmcnt(0)
	v_cmp_lt_i64_e64 s5, v[28:29], v[26:27]
	v_cndmask_b32_e64 v3, v35, v36, s4
	v_cmp_ge_i32_e64 s6, v2, v4
	v_add_nc_u32_e32 v4, 8, v38
	v_cmp_lt_i32_e64 s7, v1, v5
	v_cndmask_b32_e64 v5, v7, v6, s3
	v_lshl_add_u32 v0, v0, 3, v30
	s_or_b32 s5, s6, s5
	v_min_i32_e32 v35, v33, v4
	s_and_b32 s5, s7, s5
	v_lshl_add_u32 v4, v5, 3, v30
	v_cndmask_b32_e64 v1, v2, v1, s5
	v_cndmask_b32_e64 v29, v27, v29, s5
	v_add_nc_u32_e32 v2, 8, v35
	; wave barrier
	ds_store_2addr_b64 v31, v[20:21], v[22:23] offset1:1
	ds_store_2addr_b64 v31, v[24:25], v[10:11] offset0:2 offset1:3
	v_min_i32_e32 v27, v33, v2
	v_lshl_add_u32 v2, v3, 3, v30
	v_lshl_add_u32 v3, v1, 3, v30
	; wave barrier
	ds_load_b64 v[4:5], v4
	ds_load_b64 v[6:7], v2
	;; [unrolled: 1-line block ×4, first 2 shown]
	v_min_i32_e32 v10, v33, v34
	v_sub_nc_u32_e32 v11, v27, v35
	v_cndmask_b32_e64 v15, v15, v17, s4
	v_cndmask_b32_e64 v14, v14, v16, s4
	v_sub_nc_u32_e32 v21, v35, v38
	v_cndmask_b32_e64 v17, v9, v13, s3
	v_sub_nc_u32_e32 v20, v10, v11
	v_cndmask_b32_e64 v16, v8, v12, s3
	v_cmp_ge_i32_e64 s3, v10, v11
	v_min_i32_e32 v9, v10, v21
	v_lshl_add_u32 v8, v38, 3, v30
	v_cndmask_b32_e64 v28, v26, v28, s5
	s_mov_b32 s5, 0
	v_cndmask_b32_e64 v12, 0, v20, s3
	s_mov_b32 s4, exec_lo
	; wave barrier
	ds_store_2addr_b64 v31, v[16:17], v[14:15] offset1:1
	ds_store_2addr_b64 v31, v[39:40], v[28:29] offset0:2 offset1:3
	; wave barrier
	v_cmpx_lt_i32_e64 v12, v9
	s_cbranch_execz .LBB151_38
; %bb.35:
	v_lshlrev_b32_e32 v11, 3, v35
	v_lshlrev_b32_e32 v13, 3, v10
	s_delay_alu instid0(VALU_DEP_1)
	v_add3_u32 v11, v30, v11, v13
	.p2align	6
.LBB151_36:                             ; =>This Inner Loop Header: Depth=1
	v_sub_nc_u32_e32 v13, v9, v12
	s_delay_alu instid0(VALU_DEP_1) | instskip(NEXT) | instid1(VALU_DEP_1)
	v_lshrrev_b32_e32 v14, 31, v13
	v_add_nc_u32_e32 v13, v13, v14
	s_delay_alu instid0(VALU_DEP_1) | instskip(NEXT) | instid1(VALU_DEP_1)
	v_ashrrev_i32_e32 v13, 1, v13
	v_add_nc_u32_e32 v17, v13, v12
	s_delay_alu instid0(VALU_DEP_1) | instskip(SKIP_1) | instid1(VALU_DEP_2)
	v_not_b32_e32 v13, v17
	v_lshl_add_u32 v14, v17, 3, v8
	v_lshl_add_u32 v15, v13, 3, v11
	ds_load_b64 v[13:14], v14
	ds_load_b64 v[15:16], v15
	s_waitcnt lgkmcnt(0)
	v_cmp_lt_i64_e64 s3, v[15:16], v[13:14]
	v_add_nc_u32_e32 v13, 1, v17
	s_delay_alu instid0(VALU_DEP_2) | instskip(NEXT) | instid1(VALU_DEP_2)
	v_cndmask_b32_e64 v9, v9, v17, s3
	v_cndmask_b32_e64 v12, v13, v12, s3
	s_delay_alu instid0(VALU_DEP_1) | instskip(NEXT) | instid1(VALU_DEP_1)
	v_cmp_ge_i32_e64 s3, v12, v9
	s_or_b32 s5, s3, s5
	s_delay_alu instid0(SALU_CYCLE_1)
	s_and_not1_b32 exec_lo, exec_lo, s5
	s_cbranch_execnz .LBB151_36
; %bb.37:
	s_or_b32 exec_lo, exec_lo, s5
.LBB151_38:
	s_delay_alu instid0(SALU_CYCLE_1) | instskip(SKIP_3) | instid1(VALU_DEP_3)
	s_or_b32 exec_lo, exec_lo, s4
	v_add_nc_u32_e32 v9, v35, v10
	v_lshl_add_u32 v14, v12, 3, v8
	v_add_nc_u32_e32 v28, v12, v38
	v_sub_nc_u32_e32 v26, v9, v12
                                        ; implicit-def: $vgpr12_vgpr13
	s_delay_alu instid0(VALU_DEP_2) | instskip(NEXT) | instid1(VALU_DEP_2)
	v_cmp_le_i32_e64 s4, v35, v28
	v_lshl_add_u32 v16, v26, 3, v30
	v_cmp_gt_i32_e64 s5, v27, v26
	ds_load_b64 v[8:9], v14
	ds_load_b64 v[10:11], v16
	s_waitcnt lgkmcnt(0)
	v_cmp_lt_i64_e64 s3, v[10:11], v[8:9]
	s_delay_alu instid0(VALU_DEP_1) | instskip(NEXT) | instid1(SALU_CYCLE_1)
	s_or_b32 s3, s4, s3
	s_and_b32 s3, s5, s3
	s_delay_alu instid0(SALU_CYCLE_1) | instskip(NEXT) | instid1(SALU_CYCLE_1)
	s_xor_b32 s4, s3, -1
	s_and_saveexec_b32 s5, s4
	s_delay_alu instid0(SALU_CYCLE_1)
	s_xor_b32 s4, exec_lo, s5
	s_cbranch_execz .LBB151_40
; %bb.39:
	ds_load_b64 v[12:13], v14 offset:8
                                        ; implicit-def: $vgpr16
.LBB151_40:
	s_or_saveexec_b32 s4, s4
	v_dual_mov_b32 v15, v11 :: v_dual_mov_b32 v14, v10
	s_xor_b32 exec_lo, exec_lo, s4
	s_cbranch_execz .LBB151_42
; %bb.41:
	ds_load_b64 v[14:15], v16 offset:8
	s_waitcnt lgkmcnt(1)
	v_dual_mov_b32 v13, v9 :: v_dual_mov_b32 v12, v8
.LBB151_42:
	s_or_b32 exec_lo, exec_lo, s4
	v_add_nc_u32_e32 v16, 1, v28
	v_add_nc_u32_e32 v17, 1, v26
	s_waitcnt lgkmcnt(0)
	v_cmp_lt_i64_e64 s4, v[14:15], v[12:13]
	s_delay_alu instid0(VALU_DEP_3) | instskip(NEXT) | instid1(VALU_DEP_3)
	v_cndmask_b32_e64 v29, v16, v28, s3
	v_cndmask_b32_e64 v33, v26, v17, s3
                                        ; implicit-def: $vgpr16_vgpr17
	s_delay_alu instid0(VALU_DEP_2) | instskip(NEXT) | instid1(VALU_DEP_2)
	v_cmp_ge_i32_e64 s5, v29, v35
	v_cmp_lt_i32_e64 s6, v33, v27
	s_delay_alu instid0(VALU_DEP_2)
	s_or_b32 s4, s5, s4
	s_delay_alu instid0(VALU_DEP_1) | instid1(SALU_CYCLE_1)
	s_and_b32 s4, s6, s4
	s_delay_alu instid0(SALU_CYCLE_1) | instskip(NEXT) | instid1(SALU_CYCLE_1)
	s_xor_b32 s5, s4, -1
	s_and_saveexec_b32 s6, s5
	s_delay_alu instid0(SALU_CYCLE_1)
	s_xor_b32 s5, exec_lo, s6
	s_cbranch_execz .LBB151_44
; %bb.43:
	v_lshl_add_u32 v16, v29, 3, v30
	ds_load_b64 v[16:17], v16 offset:8
.LBB151_44:
	s_or_saveexec_b32 s5, s5
	v_dual_mov_b32 v21, v15 :: v_dual_mov_b32 v20, v14
	s_xor_b32 exec_lo, exec_lo, s5
	s_cbranch_execz .LBB151_46
; %bb.45:
	s_waitcnt lgkmcnt(0)
	v_lshl_add_u32 v16, v33, 3, v30
	ds_load_b64 v[20:21], v16 offset:8
	v_dual_mov_b32 v17, v13 :: v_dual_mov_b32 v16, v12
.LBB151_46:
	s_or_b32 exec_lo, exec_lo, s5
	v_add_nc_u32_e32 v22, 1, v29
	v_add_nc_u32_e32 v23, 1, v33
	s_waitcnt lgkmcnt(0)
	v_cmp_lt_i64_e64 s5, v[20:21], v[16:17]
                                        ; implicit-def: $vgpr37
	s_delay_alu instid0(VALU_DEP_3) | instskip(NEXT) | instid1(VALU_DEP_3)
	v_cndmask_b32_e64 v38, v22, v29, s4
	v_cndmask_b32_e64 v34, v33, v23, s4
                                        ; implicit-def: $vgpr22_vgpr23
	s_delay_alu instid0(VALU_DEP_2) | instskip(NEXT) | instid1(VALU_DEP_2)
	v_cmp_ge_i32_e64 s6, v38, v35
	v_cmp_lt_i32_e64 s7, v34, v27
	s_delay_alu instid0(VALU_DEP_2)
	s_or_b32 s5, s6, s5
	s_delay_alu instid0(VALU_DEP_1) | instid1(SALU_CYCLE_1)
	s_and_b32 s5, s7, s5
	s_delay_alu instid0(SALU_CYCLE_1) | instskip(NEXT) | instid1(SALU_CYCLE_1)
	s_xor_b32 s6, s5, -1
	s_and_saveexec_b32 s7, s6
	s_delay_alu instid0(SALU_CYCLE_1)
	s_xor_b32 s6, exec_lo, s7
	s_cbranch_execz .LBB151_48
; %bb.47:
	v_lshl_add_u32 v22, v38, 3, v30
	v_add_nc_u32_e32 v37, 1, v38
	ds_load_b64 v[22:23], v22 offset:8
.LBB151_48:
	s_or_saveexec_b32 s6, s6
	v_dual_mov_b32 v36, v38 :: v_dual_mov_b32 v25, v21
	v_mov_b32_e32 v24, v20
	s_xor_b32 exec_lo, exec_lo, s6
	s_cbranch_execz .LBB151_50
; %bb.49:
	s_waitcnt lgkmcnt(0)
	v_lshl_add_u32 v22, v34, 3, v30
	v_mov_b32_e32 v36, v34
	v_mov_b32_e32 v37, v38
	ds_load_b64 v[24:25], v22 offset:8
	v_add_nc_u32_e32 v22, 1, v34
	s_delay_alu instid0(VALU_DEP_1)
	v_dual_mov_b32 v34, v22 :: v_dual_mov_b32 v23, v17
	v_mov_b32_e32 v22, v16
.LBB151_50:
	s_or_b32 exec_lo, exec_lo, s6
	s_waitcnt lgkmcnt(0)
	s_delay_alu instid0(VALU_DEP_1) | instskip(SKIP_3) | instid1(VALU_DEP_3)
	v_cmp_lt_i64_e64 s6, v[24:25], v[22:23]
	v_cmp_ge_i32_e64 s7, v37, v35
	v_cmp_lt_i32_e64 s8, v34, v27
	v_cndmask_b32_e64 v27, v29, v33, s4
	; wave barrier
	s_or_b32 s6, s7, s6
	ds_store_2addr_b64 v31, v[4:5], v[6:7] offset1:1
	ds_store_2addr_b64 v31, v[0:1], v[2:3] offset0:2 offset1:3
	s_and_b32 s6, s8, s6
	v_lshl_add_u32 v0, v27, 3, v30
	v_cndmask_b32_e64 v23, v23, v25, s6
	v_cndmask_b32_e64 v25, v37, v34, s6
	v_lshl_add_u32 v1, v36, 3, v30
	; wave barrier
	s_delay_alu instid0(VALU_DEP_2)
	v_lshl_add_u32 v2, v25, 3, v30
	ds_load_b64 v[6:7], v0
	ds_load_b64 v[4:5], v1
	;; [unrolled: 1-line block ×3, first 2 shown]
	v_cndmask_b32_e64 v1, v9, v11, s3
	v_cndmask_b32_e64 v0, v8, v10, s3
	v_cndmask_b32_e64 v9, v13, v15, s4
	v_cndmask_b32_e64 v8, v12, v14, s4
	v_cndmask_b32_e64 v12, v17, v21, s5
	v_cndmask_b32_e64 v11, v16, v20, s5
	v_cndmask_b32_e64 v10, v22, v24, s6
	s_and_saveexec_b32 s4, vcc_lo
	s_cbranch_execz .LBB151_52
; %bb.51:
	v_cndmask_b32_e64 v13, v28, v26, s3
	s_delay_alu instid0(VALU_DEP_1) | instskip(SKIP_3) | instid1(VALU_DEP_1)
	v_lshl_add_u32 v13, v13, 3, v30
	ds_load_b64 v[13:14], v13
	s_waitcnt lgkmcnt(0)
	v_add_co_u32 v0, s3, v13, v0
	v_add_co_ci_u32_e64 v1, s3, v14, v1, s3
.LBB151_52:
	s_or_b32 exec_lo, exec_lo, s4
	s_waitcnt lgkmcnt(2)
	v_add_co_u32 v6, s3, v8, v6
	s_delay_alu instid0(VALU_DEP_1) | instskip(SKIP_2) | instid1(VALU_DEP_1)
	v_add_co_ci_u32_e64 v7, s3, v9, v7, s3
	s_waitcnt lgkmcnt(1)
	v_add_co_u32 v4, s3, v11, v4
	v_add_co_ci_u32_e64 v5, s3, v12, v5, s3
	s_waitcnt lgkmcnt(0)
	v_add_co_u32 v2, s3, v10, v2
	s_delay_alu instid0(VALU_DEP_1)
	v_add_co_ci_u32_e64 v3, s3, v23, v3, s3
	v_cndmask_b32_e64 v8, v8, v6, s0
	v_cndmask_b32_e64 v6, v11, v4, s1
	v_add_co_u32 v4, s3, s10, v18
	v_cndmask_b32_e64 v9, v9, v7, s0
	v_cndmask_b32_e64 v7, v12, v5, s1
	v_add_co_ci_u32_e64 v5, s3, s11, v19, s3
	s_delay_alu instid0(VALU_DEP_4) | instskip(SKIP_2) | instid1(VALU_DEP_4)
	v_add_co_u32 v4, s3, v4, v32
	v_cndmask_b32_e64 v3, v23, v3, s2
	v_cndmask_b32_e64 v2, v10, v2, s2
	v_add_co_ci_u32_e64 v5, s3, 0, v5, s3
	s_and_saveexec_b32 s3, vcc_lo
	s_delay_alu instid0(SALU_CYCLE_1)
	s_xor_b32 s3, exec_lo, s3
	s_cbranch_execnz .LBB151_57
; %bb.53:
	s_or_b32 exec_lo, exec_lo, s3
	s_and_saveexec_b32 s3, s0
	s_cbranch_execnz .LBB151_58
.LBB151_54:
	s_or_b32 exec_lo, exec_lo, s3
	s_and_saveexec_b32 s0, s1
	s_cbranch_execnz .LBB151_59
.LBB151_55:
	s_or_b32 exec_lo, exec_lo, s0
	s_and_saveexec_b32 s0, s2
	s_cbranch_execnz .LBB151_60
.LBB151_56:
	s_nop 0
	s_sendmsg sendmsg(MSG_DEALLOC_VGPRS)
	s_endpgm
.LBB151_57:
	global_store_b64 v[4:5], v[0:1], off
	s_or_b32 exec_lo, exec_lo, s3
	s_and_saveexec_b32 s3, s0
	s_cbranch_execz .LBB151_54
.LBB151_58:
	global_store_b64 v[4:5], v[8:9], off offset:8
	s_or_b32 exec_lo, exec_lo, s3
	s_and_saveexec_b32 s0, s1
	s_cbranch_execz .LBB151_55
.LBB151_59:
	global_store_b64 v[4:5], v[6:7], off offset:16
	s_or_b32 exec_lo, exec_lo, s0
	s_and_saveexec_b32 s0, s2
	s_cbranch_execz .LBB151_56
.LBB151_60:
	global_store_b64 v[4:5], v[2:3], off offset:24
	s_nop 0
	s_sendmsg sendmsg(MSG_DEALLOC_VGPRS)
	s_endpgm
	.section	.rodata,"a",@progbits
	.p2align	6, 0x0
	.amdhsa_kernel _Z20sort_pairs_segmentedILj256ELj4ELj4ExN10test_utils4lessEEvPKT2_PS2_PKjT3_
		.amdhsa_group_segment_fixed_size 8704
		.amdhsa_private_segment_fixed_size 0
		.amdhsa_kernarg_size 28
		.amdhsa_user_sgpr_count 15
		.amdhsa_user_sgpr_dispatch_ptr 0
		.amdhsa_user_sgpr_queue_ptr 0
		.amdhsa_user_sgpr_kernarg_segment_ptr 1
		.amdhsa_user_sgpr_dispatch_id 0
		.amdhsa_user_sgpr_private_segment_size 0
		.amdhsa_wavefront_size32 1
		.amdhsa_uses_dynamic_stack 0
		.amdhsa_enable_private_segment 0
		.amdhsa_system_sgpr_workgroup_id_x 1
		.amdhsa_system_sgpr_workgroup_id_y 0
		.amdhsa_system_sgpr_workgroup_id_z 0
		.amdhsa_system_sgpr_workgroup_info 0
		.amdhsa_system_vgpr_workitem_id 0
		.amdhsa_next_free_vgpr 42
		.amdhsa_next_free_sgpr 16
		.amdhsa_reserve_vcc 1
		.amdhsa_float_round_mode_32 0
		.amdhsa_float_round_mode_16_64 0
		.amdhsa_float_denorm_mode_32 3
		.amdhsa_float_denorm_mode_16_64 3
		.amdhsa_dx10_clamp 1
		.amdhsa_ieee_mode 1
		.amdhsa_fp16_overflow 0
		.amdhsa_workgroup_processor_mode 1
		.amdhsa_memory_ordered 1
		.amdhsa_forward_progress 0
		.amdhsa_shared_vgpr_count 0
		.amdhsa_exception_fp_ieee_invalid_op 0
		.amdhsa_exception_fp_denorm_src 0
		.amdhsa_exception_fp_ieee_div_zero 0
		.amdhsa_exception_fp_ieee_overflow 0
		.amdhsa_exception_fp_ieee_underflow 0
		.amdhsa_exception_fp_ieee_inexact 0
		.amdhsa_exception_int_div_zero 0
	.end_amdhsa_kernel
	.section	.text._Z20sort_pairs_segmentedILj256ELj4ELj4ExN10test_utils4lessEEvPKT2_PS2_PKjT3_,"axG",@progbits,_Z20sort_pairs_segmentedILj256ELj4ELj4ExN10test_utils4lessEEvPKT2_PS2_PKjT3_,comdat
.Lfunc_end151:
	.size	_Z20sort_pairs_segmentedILj256ELj4ELj4ExN10test_utils4lessEEvPKT2_PS2_PKjT3_, .Lfunc_end151-_Z20sort_pairs_segmentedILj256ELj4ELj4ExN10test_utils4lessEEvPKT2_PS2_PKjT3_
                                        ; -- End function
	.section	.AMDGPU.csdata,"",@progbits
; Kernel info:
; codeLenInByte = 3424
; NumSgprs: 18
; NumVgprs: 42
; ScratchSize: 0
; MemoryBound: 1
; FloatMode: 240
; IeeeMode: 1
; LDSByteSize: 8704 bytes/workgroup (compile time only)
; SGPRBlocks: 2
; VGPRBlocks: 5
; NumSGPRsForWavesPerEU: 18
; NumVGPRsForWavesPerEU: 42
; Occupancy: 16
; WaveLimiterHint : 0
; COMPUTE_PGM_RSRC2:SCRATCH_EN: 0
; COMPUTE_PGM_RSRC2:USER_SGPR: 15
; COMPUTE_PGM_RSRC2:TRAP_HANDLER: 0
; COMPUTE_PGM_RSRC2:TGID_X_EN: 1
; COMPUTE_PGM_RSRC2:TGID_Y_EN: 0
; COMPUTE_PGM_RSRC2:TGID_Z_EN: 0
; COMPUTE_PGM_RSRC2:TIDIG_COMP_CNT: 0
	.section	.text._Z9sort_keysILj256ELj4ELj8ExN10test_utils4lessEEvPKT2_PS2_T3_,"axG",@progbits,_Z9sort_keysILj256ELj4ELj8ExN10test_utils4lessEEvPKT2_PS2_T3_,comdat
	.protected	_Z9sort_keysILj256ELj4ELj8ExN10test_utils4lessEEvPKT2_PS2_T3_ ; -- Begin function _Z9sort_keysILj256ELj4ELj8ExN10test_utils4lessEEvPKT2_PS2_T3_
	.globl	_Z9sort_keysILj256ELj4ELj8ExN10test_utils4lessEEvPKT2_PS2_T3_
	.p2align	8
	.type	_Z9sort_keysILj256ELj4ELj8ExN10test_utils4lessEEvPKT2_PS2_T3_,@function
_Z9sort_keysILj256ELj4ELj8ExN10test_utils4lessEEvPKT2_PS2_T3_: ; @_Z9sort_keysILj256ELj4ELj8ExN10test_utils4lessEEvPKT2_PS2_T3_
; %bb.0:
	s_load_b128 s[8:11], s[0:1], 0x0
	s_mov_b32 s7, 0
	s_lshl_b32 s6, s15, 11
	v_lshlrev_b32_e32 v1, 6, v0
	s_lshl_b64 s[12:13], s[6:7], 3
	v_lshlrev_b32_e32 v32, 3, v0
	s_waitcnt lgkmcnt(0)
	s_add_u32 s0, s8, s12
	s_addc_u32 s1, s9, s13
	s_clause 0x3
	global_load_b128 v[10:13], v1, s[0:1]
	global_load_b128 v[14:17], v1, s[0:1] offset:16
	global_load_b128 v[18:21], v1, s[0:1] offset:32
	;; [unrolled: 1-line block ×3, first 2 shown]
	v_mbcnt_lo_u32_b32 v1, -1, 0
	; wave barrier
	s_delay_alu instid0(VALU_DEP_1) | instskip(SKIP_1) | instid1(VALU_DEP_2)
	v_lshlrev_b32_e32 v2, 3, v1
	v_lshrrev_b32_e32 v1, 2, v0
	v_and_b32_e32 v8, 16, v2
	v_and_b32_e32 v4, 8, v2
	s_delay_alu instid0(VALU_DEP_2) | instskip(SKIP_1) | instid1(VALU_DEP_1)
	v_or_b32_e32 v37, 8, v8
	v_add_nc_u32_e32 v36, 16, v8
	v_sub_nc_u32_e32 v5, v36, v37
	s_delay_alu instid0(VALU_DEP_1) | instskip(SKIP_1) | instid1(VALU_DEP_2)
	v_sub_nc_u32_e32 v6, v4, v5
	v_cmp_ge_i32_e32 vcc_lo, v4, v5
	v_cndmask_b32_e32 v9, 0, v6, vcc_lo
	s_waitcnt vmcnt(3)
	v_cmp_gt_i64_e32 vcc_lo, v[12:13], v[10:11]
	v_cmp_lt_i64_e64 s0, v[12:13], v[10:11]
	s_waitcnt vmcnt(2)
	v_cmp_gt_i64_e64 s1, v[16:17], v[14:15]
	v_cmp_lt_i64_e64 s2, v[16:17], v[14:15]
	s_waitcnt vmcnt(1)
	v_cmp_lt_i64_e64 s3, v[20:21], v[18:19]
	v_cmp_gt_i64_e64 s4, v[20:21], v[18:19]
	s_waitcnt vmcnt(0)
	v_cmp_lt_i64_e64 s5, v[24:25], v[22:23]
	v_cndmask_b32_e32 v6, v11, v13, vcc_lo
	v_cndmask_b32_e64 v11, v11, v13, s0
	v_cndmask_b32_e64 v13, v15, v17, s1
	v_cndmask_b32_e64 v15, v15, v17, s2
	v_cmp_gt_i64_e64 s6, v[24:25], v[22:23]
	v_cndmask_b32_e32 v5, v10, v12, vcc_lo
	v_cndmask_b32_e64 v10, v10, v12, s0
	v_cndmask_b32_e64 v12, v14, v16, s1
	v_cndmask_b32_e64 v14, v14, v16, s2
	v_cndmask_b32_e64 v17, v19, v21, s3
	v_cndmask_b32_e64 v19, v19, v21, s4
	v_cndmask_b32_e64 v21, v23, v25, s5
	v_cndmask_b32_e64 v16, v18, v20, s3
	v_cndmask_b32_e64 v18, v18, v20, s4
	v_cndmask_b32_e64 v20, v22, v24, s5
	v_cmp_gt_i64_e32 vcc_lo, v[14:15], v[5:6]
	v_cndmask_b32_e64 v23, v23, v25, s6
	v_cndmask_b32_e64 v22, v22, v24, s6
	v_and_b32_e32 v34, 24, v2
	v_cmp_gt_i64_e64 s4, v[20:21], v[18:19]
	v_cmp_lt_i64_e64 s1, v[16:17], v[12:13]
	v_cndmask_b32_e32 v25, v6, v15, vcc_lo
	v_cmp_gt_i64_e64 s2, v[16:17], v[12:13]
	v_cmp_lt_i64_e64 s3, v[20:21], v[18:19]
	v_cndmask_b32_e32 v24, v5, v14, vcc_lo
	v_cmp_gt_i64_e32 vcc_lo, v[18:19], v[22:23]
	v_cndmask_b32_e64 v28, v18, v20, s4
	v_lshlrev_b32_e32 v3, 3, v34
	v_cmp_lt_i64_e64 s0, v[14:15], v[5:6]
	v_lshlrev_b32_e32 v2, 3, v8
	v_cndmask_b32_e64 v7, v13, v17, s1
	v_cndmask_b32_e64 v13, v13, v17, s2
	;; [unrolled: 1-line block ×4, first 2 shown]
	v_cndmask_b32_e32 v26, v28, v22, vcc_lo
	v_cndmask_b32_e32 v22, v22, v28, vcc_lo
	v_mad_u32_u24 v35, 0x108, v1, v3
	v_sub_nc_u32_e32 v3, v37, v8
	v_mad_u32_u24 v0, 0x108, v1, v2
	v_cndmask_b32_e32 v27, v21, v23, vcc_lo
	v_cndmask_b32_e32 v23, v23, v21, vcc_lo
	s_delay_alu instid0(VALU_DEP_4)
	v_min_i32_e32 v2, v4, v3
	v_cndmask_b32_e64 v3, v5, v14, s0
	v_cndmask_b32_e64 v5, v6, v15, s0
	;; [unrolled: 1-line block ×5, first 2 shown]
	v_cmp_lt_i64_e64 s0, v[14:15], v[10:11]
	s_delay_alu instid0(VALU_DEP_4) | instskip(SKIP_1) | instid1(VALU_DEP_4)
	v_cmp_gt_i64_e64 s1, v[6:7], v[24:25]
	v_cmp_lt_i64_e64 s2, v[6:7], v[24:25]
	v_cmp_lt_i64_e64 s3, v[16:17], v[12:13]
	v_cmp_gt_i64_e64 s4, v[16:17], v[12:13]
	v_cndmask_b32_e64 v14, v5, v11, s0
	v_cndmask_b32_e64 v11, v11, v5, s0
	;; [unrolled: 1-line block ×9, first 2 shown]
	s_delay_alu instid0(VALU_DEP_2)
	v_cmp_gt_i64_e32 vcc_lo, v[19:20], v[13:14]
	v_cmp_lt_i64_e64 s0, v[19:20], v[13:14]
	v_cndmask_b32_e32 v15, v14, v20, vcc_lo
	v_cndmask_b32_e64 v17, v24, v6, s1
	v_cndmask_b32_e64 v6, v12, v16, s3
	;; [unrolled: 1-line block ×4, first 2 shown]
	v_cndmask_b32_e32 v14, v13, v19, vcc_lo
	v_cndmask_b32_e64 v19, v13, v19, s0
	v_cmp_lt_i64_e64 s1, v[6:7], v[17:18]
	v_cmp_gt_i64_e64 s2, v[6:7], v[17:18]
	v_cmp_lt_i64_e64 s3, v[26:27], v[24:25]
	v_cmp_gt_i64_e64 s4, v[26:27], v[24:25]
	v_cmp_gt_i64_e32 vcc_lo, v[19:20], v[10:11]
	v_cmp_lt_i64_e64 s0, v[19:20], v[10:11]
	v_cndmask_b32_e64 v28, v18, v7, s1
	v_cndmask_b32_e64 v7, v18, v7, s2
	;; [unrolled: 1-line block ×8, first 2 shown]
	v_cndmask_b32_e32 v12, v11, v20, vcc_lo
	v_cmp_gt_i64_e64 s1, v[27:28], v[14:15]
	v_cmp_lt_i64_e64 s2, v[27:28], v[14:15]
	v_cmp_lt_i64_e64 s3, v[17:18], v[6:7]
	v_cmp_gt_i64_e64 s4, v[17:18], v[6:7]
	v_cmp_lt_i64_e64 s5, v[22:23], v[24:25]
	v_cmp_gt_i64_e64 s6, v[22:23], v[24:25]
	v_cndmask_b32_e64 v16, v11, v20, s0
	v_cndmask_b32_e64 v20, v15, v28, s1
	;; [unrolled: 1-line block ×7, first 2 shown]
	v_cndmask_b32_e32 v11, v10, v19, vcc_lo
	v_cndmask_b32_e64 v15, v10, v19, s0
	v_cndmask_b32_e64 v19, v14, v27, s1
	;; [unrolled: 1-line block ×7, first 2 shown]
	v_cmp_lt_i64_e64 s0, v[25:26], v[11:12]
	v_cmp_lt_i64_e64 s1, v[27:28], v[19:20]
	v_cmp_gt_i64_e64 s2, v[27:28], v[19:20]
	v_cmp_gt_i64_e32 vcc_lo, v[25:26], v[11:12]
	v_cmp_lt_i64_e64 s3, v[17:18], v[6:7]
	v_cmp_gt_i64_e64 s4, v[17:18], v[6:7]
	v_cndmask_b32_e64 v21, v12, v26, s0
	v_cndmask_b32_e64 v29, v20, v28, s1
	;; [unrolled: 1-line block ×5, first 2 shown]
	v_cndmask_b32_e32 v13, v12, v26, vcc_lo
	v_cndmask_b32_e64 v39, v7, v18, s3
	v_cndmask_b32_e64 v28, v19, v27, s1
	v_cmp_gt_i64_e64 s2, v[20:21], v[15:16]
	v_cndmask_b32_e64 v38, v6, v17, s3
	v_cndmask_b32_e64 v3, v6, v17, s4
	;; [unrolled: 1-line block ×3, first 2 shown]
	v_cmp_lt_i64_e64 s0, v[25:26], v[15:16]
	v_cmp_lt_i64_e64 s1, v[20:21], v[15:16]
	v_cndmask_b32_e64 v10, v15, v20, s2
	v_cndmask_b32_e32 v12, v11, v25, vcc_lo
	v_cmp_lt_i64_e64 s5, v[38:39], v[30:31]
	v_cmp_gt_i64_e32 vcc_lo, v[6:7], v[22:23]
	v_cmp_gt_i64_e64 s6, v[38:39], v[30:31]
	v_cndmask_b32_e64 v6, v16, v21, s1
	v_cmp_gt_i64_e64 s3, v[28:29], v[12:13]
	v_cmp_lt_i64_e64 s4, v[28:29], v[12:13]
	v_cndmask_b32_e64 v11, v16, v21, s2
	v_cndmask_b32_e64 v19, v31, v39, s5
	;; [unrolled: 1-line block ×9, first 2 shown]
	v_dual_cndmask_b32 v26, v5, v23 :: v_dual_cndmask_b32 v25, v3, v22
	v_cndmask_b32_e32 v40, v23, v5, vcc_lo
	v_cndmask_b32_e64 v23, v30, v38, s6
	v_cndmask_b32_e64 v7, v20, v15, s0
	v_cndmask_b32_e32 v39, v22, v3, vcc_lo
	v_cndmask_b32_e64 v5, v15, v20, s1
	v_cmp_gt_i64_e32 vcc_lo, v[16:17], v[10:11]
	v_cmp_lt_i64_e64 s0, v[16:17], v[10:11]
	v_cmp_lt_i64_e64 s1, v[18:19], v[13:14]
	v_cmp_gt_i64_e64 s2, v[18:19], v[13:14]
	v_cmp_lt_i64_e64 s3, v[25:26], v[23:24]
	v_cmp_gt_i64_e64 s4, v[25:26], v[23:24]
	v_dual_cndmask_b32 v12, v11, v17 :: v_dual_cndmask_b32 v11, v10, v16
	v_cndmask_b32_e64 v15, v21, v17, s0
	v_cndmask_b32_e64 v17, v14, v19, s1
	;; [unrolled: 1-line block ×10, first 2 shown]
	s_mov_b32 s0, exec_lo
	ds_store_2addr_b64 v35, v[5:6], v[14:15] offset1:1
	ds_store_2addr_b64 v35, v[11:12], v[16:17] offset0:2 offset1:3
	ds_store_2addr_b64 v35, v[18:19], v[20:21] offset0:4 offset1:5
	;; [unrolled: 1-line block ×3, first 2 shown]
	; wave barrier
	v_cmpx_lt_i32_e64 v9, v2
	s_cbranch_execz .LBB152_4
; %bb.1:
	v_lshlrev_b32_e32 v3, 3, v4
	s_delay_alu instid0(VALU_DEP_1)
	v_add3_u32 v3, v0, v3, 64
	.p2align	6
.LBB152_2:                              ; =>This Inner Loop Header: Depth=1
	v_sub_nc_u32_e32 v5, v2, v9
	s_delay_alu instid0(VALU_DEP_1) | instskip(NEXT) | instid1(VALU_DEP_1)
	v_lshrrev_b32_e32 v6, 31, v5
	v_add_nc_u32_e32 v5, v5, v6
	s_delay_alu instid0(VALU_DEP_1) | instskip(NEXT) | instid1(VALU_DEP_1)
	v_ashrrev_i32_e32 v5, 1, v5
	v_add_nc_u32_e32 v7, v5, v9
	s_delay_alu instid0(VALU_DEP_1) | instskip(SKIP_1) | instid1(VALU_DEP_2)
	v_not_b32_e32 v5, v7
	v_lshl_add_u32 v6, v7, 3, v0
	v_lshl_add_u32 v10, v5, 3, v3
	ds_load_b64 v[5:6], v6
	ds_load_b64 v[10:11], v10
	s_waitcnt lgkmcnt(0)
	v_cmp_lt_i64_e32 vcc_lo, v[10:11], v[5:6]
	v_add_nc_u32_e32 v5, 1, v7
	s_delay_alu instid0(VALU_DEP_1) | instskip(NEXT) | instid1(VALU_DEP_1)
	v_dual_cndmask_b32 v2, v2, v7 :: v_dual_cndmask_b32 v9, v5, v9
	v_cmp_ge_i32_e32 vcc_lo, v9, v2
	s_or_b32 s7, vcc_lo, s7
	s_delay_alu instid0(SALU_CYCLE_1)
	s_and_not1_b32 exec_lo, exec_lo, s7
	s_cbranch_execnz .LBB152_2
; %bb.3:
	s_or_b32 exec_lo, exec_lo, s7
.LBB152_4:
	s_delay_alu instid0(SALU_CYCLE_1)
	s_or_b32 exec_lo, exec_lo, s0
	v_mul_u32_u24_e32 v33, 0x108, v1
	v_add_nc_u32_e32 v1, v8, v4
	v_lshl_add_u32 v6, v9, 3, v0
	v_add_nc_u32_e32 v4, v37, v4
	v_cmp_lt_i32_e64 s0, 7, v9
	s_delay_alu instid0(VALU_DEP_4) | instskip(NEXT) | instid1(VALU_DEP_3)
	v_sub_nc_u32_e32 v1, v1, v9
	v_sub_nc_u32_e32 v10, v4, v9
                                        ; implicit-def: $vgpr4_vgpr5
	s_delay_alu instid0(VALU_DEP_2)
	v_lshl_add_u32 v11, v1, 3, v33
	ds_load_b64 v[0:1], v6
	ds_load_b64 v[2:3], v11 offset:64
	v_cmp_gt_i32_e64 s1, v36, v10
	s_waitcnt lgkmcnt(0)
	v_cmp_lt_i64_e32 vcc_lo, v[2:3], v[0:1]
	s_or_b32 s0, s0, vcc_lo
	s_delay_alu instid0(VALU_DEP_2) | instid1(SALU_CYCLE_1)
	s_and_b32 vcc_lo, s1, s0
	s_delay_alu instid0(SALU_CYCLE_1) | instskip(NEXT) | instid1(SALU_CYCLE_1)
	s_xor_b32 s0, vcc_lo, -1
	s_and_saveexec_b32 s1, s0
	s_delay_alu instid0(SALU_CYCLE_1)
	s_xor_b32 s0, exec_lo, s1
	s_cbranch_execz .LBB152_6
; %bb.5:
	ds_load_b64 v[4:5], v6 offset:8
                                        ; implicit-def: $vgpr11
.LBB152_6:
	s_or_saveexec_b32 s0, s0
	v_dual_mov_b32 v7, v3 :: v_dual_mov_b32 v6, v2
	s_xor_b32 exec_lo, exec_lo, s0
	s_cbranch_execz .LBB152_8
; %bb.7:
	ds_load_b64 v[6:7], v11 offset:72
	s_waitcnt lgkmcnt(1)
	v_dual_mov_b32 v5, v1 :: v_dual_mov_b32 v4, v0
.LBB152_8:
	s_or_b32 exec_lo, exec_lo, s0
	v_add_nc_u32_e32 v8, v9, v8
	v_add_nc_u32_e32 v11, 1, v10
	s_waitcnt lgkmcnt(0)
	v_cmp_lt_i64_e64 s0, v[6:7], v[4:5]
	s_delay_alu instid0(VALU_DEP_2) | instskip(NEXT) | instid1(VALU_DEP_1)
	v_dual_cndmask_b32 v12, v10, v11 :: v_dual_add_nc_u32 v9, 1, v8
	v_cndmask_b32_e32 v13, v9, v8, vcc_lo
	s_delay_alu instid0(VALU_DEP_2) | instskip(NEXT) | instid1(VALU_DEP_2)
	v_cmp_lt_i32_e64 s2, v12, v36
                                        ; implicit-def: $vgpr8_vgpr9
	v_cmp_ge_i32_e64 s1, v13, v37
	s_delay_alu instid0(VALU_DEP_1)
	s_or_b32 s0, s1, s0
	s_delay_alu instid0(VALU_DEP_2) | instid1(SALU_CYCLE_1)
	s_and_b32 s0, s2, s0
	s_delay_alu instid0(SALU_CYCLE_1) | instskip(NEXT) | instid1(SALU_CYCLE_1)
	s_xor_b32 s1, s0, -1
	s_and_saveexec_b32 s2, s1
	s_delay_alu instid0(SALU_CYCLE_1)
	s_xor_b32 s1, exec_lo, s2
	s_cbranch_execz .LBB152_10
; %bb.9:
	v_lshl_add_u32 v8, v13, 3, v33
	ds_load_b64 v[8:9], v8 offset:8
.LBB152_10:
	s_or_saveexec_b32 s1, s1
	v_dual_mov_b32 v11, v7 :: v_dual_mov_b32 v10, v6
	s_xor_b32 exec_lo, exec_lo, s1
	s_cbranch_execz .LBB152_12
; %bb.11:
	s_waitcnt lgkmcnt(0)
	v_lshl_add_u32 v8, v12, 3, v33
	ds_load_b64 v[10:11], v8 offset:8
	v_dual_mov_b32 v9, v5 :: v_dual_mov_b32 v8, v4
.LBB152_12:
	s_or_b32 exec_lo, exec_lo, s1
	v_add_nc_u32_e32 v14, 1, v13
	v_add_nc_u32_e32 v15, 1, v12
	s_waitcnt lgkmcnt(0)
	v_cmp_lt_i64_e64 s1, v[10:11], v[8:9]
	s_delay_alu instid0(VALU_DEP_3) | instskip(NEXT) | instid1(VALU_DEP_3)
	v_cndmask_b32_e64 v17, v14, v13, s0
	v_cndmask_b32_e64 v16, v12, v15, s0
                                        ; implicit-def: $vgpr12_vgpr13
	s_delay_alu instid0(VALU_DEP_2) | instskip(NEXT) | instid1(VALU_DEP_2)
	v_cmp_ge_i32_e64 s2, v17, v37
	v_cmp_lt_i32_e64 s3, v16, v36
	s_delay_alu instid0(VALU_DEP_2)
	s_or_b32 s1, s2, s1
	s_delay_alu instid0(VALU_DEP_1) | instid1(SALU_CYCLE_1)
	s_and_b32 s1, s3, s1
	s_delay_alu instid0(SALU_CYCLE_1) | instskip(NEXT) | instid1(SALU_CYCLE_1)
	s_xor_b32 s2, s1, -1
	s_and_saveexec_b32 s3, s2
	s_delay_alu instid0(SALU_CYCLE_1)
	s_xor_b32 s2, exec_lo, s3
	s_cbranch_execz .LBB152_14
; %bb.13:
	v_lshl_add_u32 v12, v17, 3, v33
	ds_load_b64 v[12:13], v12 offset:8
.LBB152_14:
	s_or_saveexec_b32 s2, s2
	v_dual_mov_b32 v15, v11 :: v_dual_mov_b32 v14, v10
	s_xor_b32 exec_lo, exec_lo, s2
	s_cbranch_execz .LBB152_16
; %bb.15:
	s_waitcnt lgkmcnt(0)
	v_lshl_add_u32 v12, v16, 3, v33
	ds_load_b64 v[14:15], v12 offset:8
	v_dual_mov_b32 v13, v9 :: v_dual_mov_b32 v12, v8
.LBB152_16:
	s_or_b32 exec_lo, exec_lo, s2
	v_add_nc_u32_e32 v18, 1, v17
	v_add_nc_u32_e32 v19, 1, v16
	s_waitcnt lgkmcnt(0)
	v_cmp_lt_i64_e64 s2, v[14:15], v[12:13]
	s_delay_alu instid0(VALU_DEP_3) | instskip(NEXT) | instid1(VALU_DEP_3)
	v_cndmask_b32_e64 v21, v18, v17, s1
	v_cndmask_b32_e64 v20, v16, v19, s1
                                        ; implicit-def: $vgpr16_vgpr17
	s_delay_alu instid0(VALU_DEP_2) | instskip(NEXT) | instid1(VALU_DEP_2)
	v_cmp_ge_i32_e64 s3, v21, v37
	v_cmp_lt_i32_e64 s4, v20, v36
	s_delay_alu instid0(VALU_DEP_2)
	s_or_b32 s2, s3, s2
	s_delay_alu instid0(VALU_DEP_1) | instid1(SALU_CYCLE_1)
	s_and_b32 s2, s4, s2
	s_delay_alu instid0(SALU_CYCLE_1) | instskip(NEXT) | instid1(SALU_CYCLE_1)
	s_xor_b32 s3, s2, -1
	s_and_saveexec_b32 s4, s3
	s_delay_alu instid0(SALU_CYCLE_1)
	s_xor_b32 s3, exec_lo, s4
	s_cbranch_execz .LBB152_18
; %bb.17:
	v_lshl_add_u32 v16, v21, 3, v33
	ds_load_b64 v[16:17], v16 offset:8
.LBB152_18:
	s_or_saveexec_b32 s3, s3
	v_dual_mov_b32 v19, v15 :: v_dual_mov_b32 v18, v14
	s_xor_b32 exec_lo, exec_lo, s3
	s_cbranch_execz .LBB152_20
; %bb.19:
	s_waitcnt lgkmcnt(0)
	v_lshl_add_u32 v16, v20, 3, v33
	ds_load_b64 v[18:19], v16 offset:8
	v_dual_mov_b32 v17, v13 :: v_dual_mov_b32 v16, v12
.LBB152_20:
	s_or_b32 exec_lo, exec_lo, s3
	v_add_nc_u32_e32 v22, 1, v21
	v_add_nc_u32_e32 v23, 1, v20
	s_waitcnt lgkmcnt(0)
	v_cmp_lt_i64_e64 s3, v[18:19], v[16:17]
	s_delay_alu instid0(VALU_DEP_3) | instskip(NEXT) | instid1(VALU_DEP_3)
	v_cndmask_b32_e64 v25, v22, v21, s2
	v_cndmask_b32_e64 v24, v20, v23, s2
                                        ; implicit-def: $vgpr20_vgpr21
	s_delay_alu instid0(VALU_DEP_2) | instskip(NEXT) | instid1(VALU_DEP_2)
	v_cmp_ge_i32_e64 s4, v25, v37
	v_cmp_lt_i32_e64 s5, v24, v36
	s_delay_alu instid0(VALU_DEP_2)
	s_or_b32 s3, s4, s3
	s_delay_alu instid0(VALU_DEP_1) | instid1(SALU_CYCLE_1)
	s_and_b32 s3, s5, s3
	s_delay_alu instid0(SALU_CYCLE_1) | instskip(NEXT) | instid1(SALU_CYCLE_1)
	s_xor_b32 s4, s3, -1
	s_and_saveexec_b32 s5, s4
	s_delay_alu instid0(SALU_CYCLE_1)
	s_xor_b32 s4, exec_lo, s5
	s_cbranch_execz .LBB152_22
; %bb.21:
	v_lshl_add_u32 v20, v25, 3, v33
	ds_load_b64 v[20:21], v20 offset:8
.LBB152_22:
	s_or_saveexec_b32 s4, s4
	v_dual_mov_b32 v23, v19 :: v_dual_mov_b32 v22, v18
	s_xor_b32 exec_lo, exec_lo, s4
	s_cbranch_execz .LBB152_24
; %bb.23:
	s_waitcnt lgkmcnt(0)
	v_lshl_add_u32 v20, v24, 3, v33
	ds_load_b64 v[22:23], v20 offset:8
	v_dual_mov_b32 v21, v17 :: v_dual_mov_b32 v20, v16
.LBB152_24:
	s_or_b32 exec_lo, exec_lo, s4
	v_add_nc_u32_e32 v26, 1, v25
	v_add_nc_u32_e32 v27, 1, v24
	s_waitcnt lgkmcnt(0)
	v_cmp_lt_i64_e64 s4, v[22:23], v[20:21]
	s_delay_alu instid0(VALU_DEP_3) | instskip(NEXT) | instid1(VALU_DEP_3)
	v_cndmask_b32_e64 v29, v26, v25, s3
	v_cndmask_b32_e64 v28, v24, v27, s3
                                        ; implicit-def: $vgpr24_vgpr25
	s_delay_alu instid0(VALU_DEP_2) | instskip(NEXT) | instid1(VALU_DEP_2)
	v_cmp_ge_i32_e64 s5, v29, v37
	v_cmp_lt_i32_e64 s6, v28, v36
	s_delay_alu instid0(VALU_DEP_2)
	s_or_b32 s4, s5, s4
	s_delay_alu instid0(VALU_DEP_1) | instid1(SALU_CYCLE_1)
	s_and_b32 s4, s6, s4
	s_delay_alu instid0(SALU_CYCLE_1) | instskip(NEXT) | instid1(SALU_CYCLE_1)
	s_xor_b32 s5, s4, -1
	s_and_saveexec_b32 s6, s5
	s_delay_alu instid0(SALU_CYCLE_1)
	s_xor_b32 s5, exec_lo, s6
	s_cbranch_execz .LBB152_26
; %bb.25:
	v_lshl_add_u32 v24, v29, 3, v33
	ds_load_b64 v[24:25], v24 offset:8
.LBB152_26:
	s_or_saveexec_b32 s5, s5
	v_dual_mov_b32 v27, v23 :: v_dual_mov_b32 v26, v22
	s_xor_b32 exec_lo, exec_lo, s5
	s_cbranch_execz .LBB152_28
; %bb.27:
	s_waitcnt lgkmcnt(0)
	v_lshl_add_u32 v24, v28, 3, v33
	ds_load_b64 v[26:27], v24 offset:8
	v_dual_mov_b32 v25, v21 :: v_dual_mov_b32 v24, v20
.LBB152_28:
	s_or_b32 exec_lo, exec_lo, s5
	v_add_nc_u32_e32 v30, 1, v29
	v_add_nc_u32_e32 v31, 1, v28
	s_waitcnt lgkmcnt(0)
	v_cmp_lt_i64_e64 s5, v[26:27], v[24:25]
	s_delay_alu instid0(VALU_DEP_3) | instskip(NEXT) | instid1(VALU_DEP_3)
	v_cndmask_b32_e64 v38, v30, v29, s4
	v_cndmask_b32_e64 v39, v28, v31, s4
                                        ; implicit-def: $vgpr28_vgpr29
	s_delay_alu instid0(VALU_DEP_2) | instskip(NEXT) | instid1(VALU_DEP_2)
	v_cmp_ge_i32_e64 s6, v38, v37
	v_cmp_lt_i32_e64 s7, v39, v36
	s_delay_alu instid0(VALU_DEP_2)
	s_or_b32 s5, s6, s5
	s_delay_alu instid0(VALU_DEP_1) | instid1(SALU_CYCLE_1)
	s_and_b32 s5, s7, s5
	s_delay_alu instid0(SALU_CYCLE_1) | instskip(NEXT) | instid1(SALU_CYCLE_1)
	s_xor_b32 s6, s5, -1
	s_and_saveexec_b32 s7, s6
	s_delay_alu instid0(SALU_CYCLE_1)
	s_xor_b32 s6, exec_lo, s7
	s_cbranch_execz .LBB152_30
; %bb.29:
	v_lshl_add_u32 v28, v38, 3, v33
	ds_load_b64 v[28:29], v28 offset:8
.LBB152_30:
	s_or_saveexec_b32 s6, s6
	v_dual_mov_b32 v31, v27 :: v_dual_mov_b32 v30, v26
	s_xor_b32 exec_lo, exec_lo, s6
	s_cbranch_execz .LBB152_32
; %bb.31:
	s_waitcnt lgkmcnt(0)
	v_lshl_add_u32 v28, v39, 3, v33
	ds_load_b64 v[30:31], v28 offset:8
	v_dual_mov_b32 v29, v25 :: v_dual_mov_b32 v28, v24
.LBB152_32:
	s_or_b32 exec_lo, exec_lo, s6
	v_add_nc_u32_e32 v41, 1, v38
	v_add_nc_u32_e32 v40, 1, v39
	v_cndmask_b32_e64 v25, v25, v27, s5
	v_cndmask_b32_e64 v24, v24, v26, s5
	;; [unrolled: 1-line block ×6, first 2 shown]
	s_waitcnt lgkmcnt(0)
	v_cmp_lt_i64_e64 s1, v[30:31], v[28:29]
	v_cndmask_b32_e64 v13, v13, v15, s2
	v_cndmask_b32_e64 v12, v12, v14, s2
	v_cmp_ge_i32_e64 s2, v27, v37
	v_cndmask_b32_e64 v17, v17, v19, s3
	v_cndmask_b32_e64 v16, v16, v18, s3
	v_cmp_lt_i32_e64 s3, v26, v36
	v_cndmask_b32_e64 v5, v5, v7, s0
	v_cndmask_b32_e64 v4, v4, v6, s0
	s_or_b32 s0, s2, s1
	v_dual_cndmask_b32 v3, v1, v3 :: v_dual_cndmask_b32 v2, v0, v2
	v_sub_nc_u32_e64 v0, v34, 16 clamp
	v_min_i32_e32 v1, 16, v34
	s_and_b32 vcc_lo, s3, s0
	v_cndmask_b32_e64 v21, v21, v23, s4
	v_cndmask_b32_e64 v20, v20, v22, s4
	v_dual_cndmask_b32 v7, v29, v31 :: v_dual_cndmask_b32 v6, v28, v30
	s_mov_b32 s0, exec_lo
	; wave barrier
	ds_store_2addr_b64 v35, v[2:3], v[4:5] offset1:1
	ds_store_2addr_b64 v35, v[8:9], v[12:13] offset0:2 offset1:3
	ds_store_2addr_b64 v35, v[16:17], v[20:21] offset0:4 offset1:5
	;; [unrolled: 1-line block ×3, first 2 shown]
	; wave barrier
	v_cmpx_lt_u32_e64 v0, v1
	s_cbranch_execz .LBB152_36
; %bb.33:
	v_add_nc_u32_e32 v2, 0x80, v35
	s_mov_b32 s1, 0
	.p2align	6
.LBB152_34:                             ; =>This Inner Loop Header: Depth=1
	v_sub_nc_u32_e32 v3, v1, v0
	s_delay_alu instid0(VALU_DEP_1) | instskip(NEXT) | instid1(VALU_DEP_1)
	v_lshrrev_b32_e32 v4, 31, v3
	v_add_nc_u32_e32 v3, v3, v4
	s_delay_alu instid0(VALU_DEP_1) | instskip(NEXT) | instid1(VALU_DEP_1)
	v_ashrrev_i32_e32 v3, 1, v3
	v_add_nc_u32_e32 v7, v3, v0
	s_delay_alu instid0(VALU_DEP_1) | instskip(SKIP_1) | instid1(VALU_DEP_2)
	v_not_b32_e32 v3, v7
	v_lshl_add_u32 v4, v7, 3, v33
	v_lshl_add_u32 v5, v3, 3, v2
	ds_load_b64 v[3:4], v4
	ds_load_b64 v[5:6], v5
	s_waitcnt lgkmcnt(0)
	v_cmp_lt_i64_e32 vcc_lo, v[5:6], v[3:4]
	v_add_nc_u32_e32 v3, 1, v7
	s_delay_alu instid0(VALU_DEP_1) | instskip(NEXT) | instid1(VALU_DEP_1)
	v_dual_cndmask_b32 v1, v1, v7 :: v_dual_cndmask_b32 v0, v3, v0
	v_cmp_ge_i32_e32 vcc_lo, v0, v1
	s_or_b32 s1, vcc_lo, s1
	s_delay_alu instid0(SALU_CYCLE_1)
	s_and_not1_b32 exec_lo, exec_lo, s1
	s_cbranch_execnz .LBB152_34
; %bb.35:
	s_or_b32 exec_lo, exec_lo, s1
.LBB152_36:
	s_delay_alu instid0(SALU_CYCLE_1) | instskip(SKIP_3) | instid1(VALU_DEP_3)
	s_or_b32 exec_lo, exec_lo, s0
	v_sub_nc_u32_e32 v1, v34, v0
	v_lshl_add_u32 v8, v0, 3, v33
	v_cmp_lt_i32_e64 s0, 15, v0
                                        ; implicit-def: $vgpr6_vgpr7
	v_lshl_add_u32 v10, v1, 3, v33
	v_add_nc_u32_e32 v1, 16, v1
	ds_load_b64 v[2:3], v8
	ds_load_b64 v[4:5], v10 offset:128
	v_cmp_gt_i32_e64 s1, 32, v1
	s_waitcnt lgkmcnt(0)
	v_cmp_lt_i64_e32 vcc_lo, v[4:5], v[2:3]
	s_or_b32 s0, s0, vcc_lo
	s_delay_alu instid0(VALU_DEP_2) | instid1(SALU_CYCLE_1)
	s_and_b32 vcc_lo, s1, s0
	s_delay_alu instid0(SALU_CYCLE_1) | instskip(NEXT) | instid1(SALU_CYCLE_1)
	s_xor_b32 s0, vcc_lo, -1
	s_and_saveexec_b32 s1, s0
	s_delay_alu instid0(SALU_CYCLE_1)
	s_xor_b32 s0, exec_lo, s1
	s_cbranch_execz .LBB152_38
; %bb.37:
	ds_load_b64 v[6:7], v8 offset:8
                                        ; implicit-def: $vgpr10
.LBB152_38:
	s_or_saveexec_b32 s0, s0
	v_dual_mov_b32 v9, v5 :: v_dual_mov_b32 v8, v4
	s_xor_b32 exec_lo, exec_lo, s0
	s_cbranch_execz .LBB152_40
; %bb.39:
	ds_load_b64 v[8:9], v10 offset:136
	s_waitcnt lgkmcnt(1)
	v_dual_mov_b32 v7, v3 :: v_dual_mov_b32 v6, v2
.LBB152_40:
	s_or_b32 exec_lo, exec_lo, s0
	v_add_nc_u32_e32 v10, 1, v0
	v_add_nc_u32_e32 v11, 1, v1
	s_waitcnt lgkmcnt(0)
	v_cmp_lt_i64_e64 s0, v[8:9], v[6:7]
	s_delay_alu instid0(VALU_DEP_3) | instskip(NEXT) | instid1(VALU_DEP_3)
	v_cndmask_b32_e32 v14, v10, v0, vcc_lo
	v_cndmask_b32_e32 v0, v1, v11, vcc_lo
                                        ; implicit-def: $vgpr10_vgpr11
	s_delay_alu instid0(VALU_DEP_2) | instskip(NEXT) | instid1(VALU_DEP_2)
	v_cmp_lt_i32_e64 s1, 15, v14
	v_cmp_gt_i32_e64 s2, 32, v0
	s_delay_alu instid0(VALU_DEP_2)
	s_or_b32 s0, s1, s0
	s_delay_alu instid0(VALU_DEP_1) | instid1(SALU_CYCLE_1)
	s_and_b32 s0, s2, s0
	s_delay_alu instid0(SALU_CYCLE_1) | instskip(NEXT) | instid1(SALU_CYCLE_1)
	s_xor_b32 s1, s0, -1
	s_and_saveexec_b32 s2, s1
	s_delay_alu instid0(SALU_CYCLE_1)
	s_xor_b32 s1, exec_lo, s2
	s_cbranch_execz .LBB152_42
; %bb.41:
	v_lshl_add_u32 v1, v14, 3, v33
	ds_load_b64 v[10:11], v1 offset:8
.LBB152_42:
	s_or_saveexec_b32 s1, s1
	v_dual_mov_b32 v13, v9 :: v_dual_mov_b32 v12, v8
	s_xor_b32 exec_lo, exec_lo, s1
	s_cbranch_execz .LBB152_44
; %bb.43:
	v_lshl_add_u32 v1, v0, 3, v33
	s_waitcnt lgkmcnt(0)
	v_dual_mov_b32 v11, v7 :: v_dual_mov_b32 v10, v6
	ds_load_b64 v[12:13], v1 offset:8
.LBB152_44:
	s_or_b32 exec_lo, exec_lo, s1
	v_add_nc_u32_e32 v1, 1, v14
	v_add_nc_u32_e32 v15, 1, v0
	s_waitcnt lgkmcnt(0)
	v_cmp_lt_i64_e64 s1, v[12:13], v[10:11]
	s_delay_alu instid0(VALU_DEP_3) | instskip(NEXT) | instid1(VALU_DEP_3)
	v_cndmask_b32_e64 v1, v1, v14, s0
	v_cndmask_b32_e64 v0, v0, v15, s0
                                        ; implicit-def: $vgpr14_vgpr15
	s_delay_alu instid0(VALU_DEP_2) | instskip(NEXT) | instid1(VALU_DEP_2)
	v_cmp_lt_i32_e64 s2, 15, v1
	v_cmp_gt_i32_e64 s3, 32, v0
	s_delay_alu instid0(VALU_DEP_2)
	s_or_b32 s1, s2, s1
	s_delay_alu instid0(VALU_DEP_1) | instid1(SALU_CYCLE_1)
	s_and_b32 s1, s3, s1
	s_delay_alu instid0(SALU_CYCLE_1) | instskip(NEXT) | instid1(SALU_CYCLE_1)
	s_xor_b32 s2, s1, -1
	s_and_saveexec_b32 s3, s2
	s_delay_alu instid0(SALU_CYCLE_1)
	s_xor_b32 s2, exec_lo, s3
	s_cbranch_execz .LBB152_46
; %bb.45:
	v_lshl_add_u32 v14, v1, 3, v33
	ds_load_b64 v[14:15], v14 offset:8
.LBB152_46:
	s_or_saveexec_b32 s2, s2
	v_dual_mov_b32 v17, v13 :: v_dual_mov_b32 v16, v12
	s_xor_b32 exec_lo, exec_lo, s2
	s_cbranch_execz .LBB152_48
; %bb.47:
	s_waitcnt lgkmcnt(0)
	v_lshl_add_u32 v14, v0, 3, v33
	ds_load_b64 v[16:17], v14 offset:8
	v_dual_mov_b32 v15, v11 :: v_dual_mov_b32 v14, v10
.LBB152_48:
	s_or_b32 exec_lo, exec_lo, s2
	v_add_nc_u32_e32 v18, 1, v1
	v_add_nc_u32_e32 v19, 1, v0
	s_waitcnt lgkmcnt(0)
	v_cmp_lt_i64_e64 s2, v[16:17], v[14:15]
	s_delay_alu instid0(VALU_DEP_3) | instskip(NEXT) | instid1(VALU_DEP_3)
	v_cndmask_b32_e64 v1, v18, v1, s1
	v_cndmask_b32_e64 v0, v0, v19, s1
                                        ; implicit-def: $vgpr18_vgpr19
	s_delay_alu instid0(VALU_DEP_2) | instskip(NEXT) | instid1(VALU_DEP_2)
	v_cmp_lt_i32_e64 s3, 15, v1
	v_cmp_gt_i32_e64 s4, 32, v0
	s_delay_alu instid0(VALU_DEP_2)
	s_or_b32 s2, s3, s2
	s_delay_alu instid0(VALU_DEP_1) | instid1(SALU_CYCLE_1)
	s_and_b32 s2, s4, s2
	s_delay_alu instid0(SALU_CYCLE_1) | instskip(NEXT) | instid1(SALU_CYCLE_1)
	s_xor_b32 s3, s2, -1
	s_and_saveexec_b32 s4, s3
	s_delay_alu instid0(SALU_CYCLE_1)
	s_xor_b32 s3, exec_lo, s4
	s_cbranch_execz .LBB152_50
; %bb.49:
	v_lshl_add_u32 v18, v1, 3, v33
	ds_load_b64 v[18:19], v18 offset:8
.LBB152_50:
	s_or_saveexec_b32 s3, s3
	v_dual_mov_b32 v21, v17 :: v_dual_mov_b32 v20, v16
	s_xor_b32 exec_lo, exec_lo, s3
	s_cbranch_execz .LBB152_52
; %bb.51:
	s_waitcnt lgkmcnt(0)
	v_lshl_add_u32 v18, v0, 3, v33
	ds_load_b64 v[20:21], v18 offset:8
	v_dual_mov_b32 v19, v15 :: v_dual_mov_b32 v18, v14
.LBB152_52:
	s_or_b32 exec_lo, exec_lo, s3
	v_add_nc_u32_e32 v22, 1, v1
	v_add_nc_u32_e32 v23, 1, v0
	s_waitcnt lgkmcnt(0)
	v_cmp_lt_i64_e64 s3, v[20:21], v[18:19]
	s_delay_alu instid0(VALU_DEP_3) | instskip(NEXT) | instid1(VALU_DEP_3)
	v_cndmask_b32_e64 v1, v22, v1, s2
	v_cndmask_b32_e64 v0, v0, v23, s2
                                        ; implicit-def: $vgpr22_vgpr23
	s_delay_alu instid0(VALU_DEP_2) | instskip(NEXT) | instid1(VALU_DEP_2)
	v_cmp_lt_i32_e64 s4, 15, v1
	v_cmp_gt_i32_e64 s5, 32, v0
	s_delay_alu instid0(VALU_DEP_2)
	s_or_b32 s3, s4, s3
	s_delay_alu instid0(VALU_DEP_1) | instid1(SALU_CYCLE_1)
	s_and_b32 s3, s5, s3
	s_delay_alu instid0(SALU_CYCLE_1) | instskip(NEXT) | instid1(SALU_CYCLE_1)
	s_xor_b32 s4, s3, -1
	s_and_saveexec_b32 s5, s4
	s_delay_alu instid0(SALU_CYCLE_1)
	s_xor_b32 s4, exec_lo, s5
	s_cbranch_execz .LBB152_54
; %bb.53:
	v_lshl_add_u32 v22, v1, 3, v33
	ds_load_b64 v[22:23], v22 offset:8
.LBB152_54:
	s_or_saveexec_b32 s4, s4
	v_dual_mov_b32 v25, v21 :: v_dual_mov_b32 v24, v20
	s_xor_b32 exec_lo, exec_lo, s4
	s_cbranch_execz .LBB152_56
; %bb.55:
	s_waitcnt lgkmcnt(0)
	v_lshl_add_u32 v22, v0, 3, v33
	ds_load_b64 v[24:25], v22 offset:8
	v_dual_mov_b32 v23, v19 :: v_dual_mov_b32 v22, v18
.LBB152_56:
	s_or_b32 exec_lo, exec_lo, s4
	v_add_nc_u32_e32 v26, 1, v1
	v_add_nc_u32_e32 v27, 1, v0
	s_waitcnt lgkmcnt(0)
	v_cmp_lt_i64_e64 s4, v[24:25], v[22:23]
                                        ; implicit-def: $vgpr28_vgpr29
	s_delay_alu instid0(VALU_DEP_3) | instskip(NEXT) | instid1(VALU_DEP_3)
	v_cndmask_b32_e64 v1, v26, v1, s3
	v_cndmask_b32_e64 v0, v0, v27, s3
	s_delay_alu instid0(VALU_DEP_2) | instskip(NEXT) | instid1(VALU_DEP_2)
	v_cmp_lt_i32_e64 s5, 15, v1
	v_cmp_gt_i32_e64 s6, 32, v0
	s_delay_alu instid0(VALU_DEP_2)
	s_or_b32 s4, s5, s4
	s_delay_alu instid0(VALU_DEP_1) | instid1(SALU_CYCLE_1)
	s_and_b32 s4, s6, s4
	s_delay_alu instid0(SALU_CYCLE_1) | instskip(NEXT) | instid1(SALU_CYCLE_1)
	s_xor_b32 s5, s4, -1
	s_and_saveexec_b32 s6, s5
	s_delay_alu instid0(SALU_CYCLE_1)
	s_xor_b32 s5, exec_lo, s6
	s_cbranch_execz .LBB152_58
; %bb.57:
	v_lshl_add_u32 v26, v1, 3, v33
	ds_load_b64 v[28:29], v26 offset:8
.LBB152_58:
	s_or_saveexec_b32 s5, s5
	v_dual_mov_b32 v27, v25 :: v_dual_mov_b32 v26, v24
	s_xor_b32 exec_lo, exec_lo, s5
	s_cbranch_execz .LBB152_60
; %bb.59:
	v_lshl_add_u32 v26, v0, 3, v33
	s_waitcnt lgkmcnt(0)
	v_dual_mov_b32 v29, v23 :: v_dual_mov_b32 v28, v22
	ds_load_b64 v[26:27], v26 offset:8
.LBB152_60:
	s_or_b32 exec_lo, exec_lo, s5
	v_add_nc_u32_e32 v30, 1, v1
	v_add_nc_u32_e32 v31, 1, v0
	s_waitcnt lgkmcnt(0)
	v_cmp_ge_i64_e64 s5, v[26:27], v[28:29]
                                        ; implicit-def: $vgpr35
	s_delay_alu instid0(VALU_DEP_3) | instskip(NEXT) | instid1(VALU_DEP_3)
	v_cndmask_b32_e64 v36, v30, v1, s4
	v_cndmask_b32_e64 v34, v0, v31, s4
                                        ; implicit-def: $vgpr30_vgpr31
	s_delay_alu instid0(VALU_DEP_2) | instskip(NEXT) | instid1(VALU_DEP_2)
	v_cmp_gt_i32_e64 s6, 16, v36
	v_cmp_lt_i32_e64 s7, 31, v34
	s_delay_alu instid0(VALU_DEP_2)
	s_and_b32 s5, s6, s5
	s_delay_alu instid0(VALU_DEP_1) | instid1(SALU_CYCLE_1)
	s_or_b32 s5, s7, s5
	s_delay_alu instid0(SALU_CYCLE_1) | instskip(NEXT) | instid1(SALU_CYCLE_1)
	s_and_saveexec_b32 s6, s5
	s_xor_b32 s5, exec_lo, s6
	s_cbranch_execz .LBB152_62
; %bb.61:
	v_lshl_add_u32 v0, v36, 3, v33
	v_add_nc_u32_e32 v35, 1, v36
                                        ; implicit-def: $vgpr36
                                        ; implicit-def: $vgpr33
	ds_load_b64 v[30:31], v0 offset:8
.LBB152_62:
	s_or_saveexec_b32 s5, s5
	v_dual_mov_b32 v0, v28 :: v_dual_mov_b32 v1, v29
	s_xor_b32 exec_lo, exec_lo, s5
	s_cbranch_execz .LBB152_64
; %bb.63:
	v_lshl_add_u32 v0, v34, 3, v33
	s_waitcnt lgkmcnt(0)
	v_dual_mov_b32 v31, v29 :: v_dual_add_nc_u32 v34, 1, v34
	v_mov_b32_e32 v30, v28
	v_mov_b32_e32 v35, v36
	ds_load_b64 v[37:38], v0 offset:8
	v_dual_mov_b32 v0, v26 :: v_dual_mov_b32 v1, v27
	s_waitcnt lgkmcnt(0)
	v_dual_mov_b32 v26, v37 :: v_dual_mov_b32 v27, v38
.LBB152_64:
	s_or_b32 exec_lo, exec_lo, s5
	v_cndmask_b32_e64 v13, v11, v13, s1
	v_cndmask_b32_e64 v12, v10, v12, s1
	s_waitcnt lgkmcnt(0)
	v_cmp_lt_i64_e64 s1, v[26:27], v[30:31]
	v_cndmask_b32_e64 v15, v15, v17, s2
	v_cndmask_b32_e64 v14, v14, v16, s2
	v_cmp_lt_i32_e64 s2, 15, v35
	v_cndmask_b32_e64 v21, v19, v21, s3
	v_cndmask_b32_e64 v20, v18, v20, s3
	v_cmp_gt_i32_e64 s3, 32, v34
	v_cndmask_b32_e64 v7, v7, v9, s0
	v_cndmask_b32_e64 v6, v6, v8, s0
	s_or_b32 s0, s2, s1
	v_dual_cndmask_b32 v5, v3, v5 :: v_dual_cndmask_b32 v4, v2, v4
	s_and_b32 vcc_lo, s3, s0
	v_dual_cndmask_b32 v3, v31, v27 :: v_dual_lshlrev_b32 v8, 3, v32
	v_cndmask_b32_e64 v23, v23, v25, s4
	v_cndmask_b32_e64 v22, v22, v24, s4
	s_add_u32 s0, s10, s12
	v_cndmask_b32_e32 v2, v30, v26, vcc_lo
	s_addc_u32 s1, s11, s13
	s_clause 0x3
	global_store_b128 v8, v[4:7], s[0:1]
	global_store_b128 v8, v[12:15], s[0:1] offset:16
	global_store_b128 v8, v[20:23], s[0:1] offset:32
	;; [unrolled: 1-line block ×3, first 2 shown]
	s_nop 0
	s_sendmsg sendmsg(MSG_DEALLOC_VGPRS)
	s_endpgm
	.section	.rodata,"a",@progbits
	.p2align	6, 0x0
	.amdhsa_kernel _Z9sort_keysILj256ELj4ELj8ExN10test_utils4lessEEvPKT2_PS2_T3_
		.amdhsa_group_segment_fixed_size 16896
		.amdhsa_private_segment_fixed_size 0
		.amdhsa_kernarg_size 20
		.amdhsa_user_sgpr_count 15
		.amdhsa_user_sgpr_dispatch_ptr 0
		.amdhsa_user_sgpr_queue_ptr 0
		.amdhsa_user_sgpr_kernarg_segment_ptr 1
		.amdhsa_user_sgpr_dispatch_id 0
		.amdhsa_user_sgpr_private_segment_size 0
		.amdhsa_wavefront_size32 1
		.amdhsa_uses_dynamic_stack 0
		.amdhsa_enable_private_segment 0
		.amdhsa_system_sgpr_workgroup_id_x 1
		.amdhsa_system_sgpr_workgroup_id_y 0
		.amdhsa_system_sgpr_workgroup_id_z 0
		.amdhsa_system_sgpr_workgroup_info 0
		.amdhsa_system_vgpr_workitem_id 0
		.amdhsa_next_free_vgpr 42
		.amdhsa_next_free_sgpr 16
		.amdhsa_reserve_vcc 1
		.amdhsa_float_round_mode_32 0
		.amdhsa_float_round_mode_16_64 0
		.amdhsa_float_denorm_mode_32 3
		.amdhsa_float_denorm_mode_16_64 3
		.amdhsa_dx10_clamp 1
		.amdhsa_ieee_mode 1
		.amdhsa_fp16_overflow 0
		.amdhsa_workgroup_processor_mode 1
		.amdhsa_memory_ordered 1
		.amdhsa_forward_progress 0
		.amdhsa_shared_vgpr_count 0
		.amdhsa_exception_fp_ieee_invalid_op 0
		.amdhsa_exception_fp_denorm_src 0
		.amdhsa_exception_fp_ieee_div_zero 0
		.amdhsa_exception_fp_ieee_overflow 0
		.amdhsa_exception_fp_ieee_underflow 0
		.amdhsa_exception_fp_ieee_inexact 0
		.amdhsa_exception_int_div_zero 0
	.end_amdhsa_kernel
	.section	.text._Z9sort_keysILj256ELj4ELj8ExN10test_utils4lessEEvPKT2_PS2_T3_,"axG",@progbits,_Z9sort_keysILj256ELj4ELj8ExN10test_utils4lessEEvPKT2_PS2_T3_,comdat
.Lfunc_end152:
	.size	_Z9sort_keysILj256ELj4ELj8ExN10test_utils4lessEEvPKT2_PS2_T3_, .Lfunc_end152-_Z9sort_keysILj256ELj4ELj8ExN10test_utils4lessEEvPKT2_PS2_T3_
                                        ; -- End function
	.section	.AMDGPU.csdata,"",@progbits
; Kernel info:
; codeLenInByte = 4544
; NumSgprs: 18
; NumVgprs: 42
; ScratchSize: 0
; MemoryBound: 0
; FloatMode: 240
; IeeeMode: 1
; LDSByteSize: 16896 bytes/workgroup (compile time only)
; SGPRBlocks: 2
; VGPRBlocks: 5
; NumSGPRsForWavesPerEU: 18
; NumVGPRsForWavesPerEU: 42
; Occupancy: 14
; WaveLimiterHint : 0
; COMPUTE_PGM_RSRC2:SCRATCH_EN: 0
; COMPUTE_PGM_RSRC2:USER_SGPR: 15
; COMPUTE_PGM_RSRC2:TRAP_HANDLER: 0
; COMPUTE_PGM_RSRC2:TGID_X_EN: 1
; COMPUTE_PGM_RSRC2:TGID_Y_EN: 0
; COMPUTE_PGM_RSRC2:TGID_Z_EN: 0
; COMPUTE_PGM_RSRC2:TIDIG_COMP_CNT: 0
	.section	.text._Z10sort_pairsILj256ELj4ELj8ExN10test_utils4lessEEvPKT2_PS2_T3_,"axG",@progbits,_Z10sort_pairsILj256ELj4ELj8ExN10test_utils4lessEEvPKT2_PS2_T3_,comdat
	.protected	_Z10sort_pairsILj256ELj4ELj8ExN10test_utils4lessEEvPKT2_PS2_T3_ ; -- Begin function _Z10sort_pairsILj256ELj4ELj8ExN10test_utils4lessEEvPKT2_PS2_T3_
	.globl	_Z10sort_pairsILj256ELj4ELj8ExN10test_utils4lessEEvPKT2_PS2_T3_
	.p2align	8
	.type	_Z10sort_pairsILj256ELj4ELj8ExN10test_utils4lessEEvPKT2_PS2_T3_,@function
_Z10sort_pairsILj256ELj4ELj8ExN10test_utils4lessEEvPKT2_PS2_T3_: ; @_Z10sort_pairsILj256ELj4ELj8ExN10test_utils4lessEEvPKT2_PS2_T3_
; %bb.0:
	s_load_b128 s[8:11], s[0:1], 0x0
	s_mov_b32 s1, 0
	s_lshl_b32 s0, s15, 11
	v_lshlrev_b32_e32 v9, 6, v0
	s_lshl_b64 s[12:13], s[0:1], 3
	s_waitcnt lgkmcnt(0)
	s_add_u32 s0, s8, s12
	s_addc_u32 s1, s9, s13
	s_clause 0x3
	global_load_b128 v[1:4], v9, s[0:1]
	global_load_b128 v[13:16], v9, s[0:1] offset:16
	global_load_b128 v[5:8], v9, s[0:1] offset:48
	;; [unrolled: 1-line block ×3, first 2 shown]
	s_mov_b32 s0, exec_lo
	s_waitcnt vmcnt(3)
	v_mov_b32_e32 v20, v4
	v_add_co_u32 v23, vcc_lo, v3, 1
	v_add_co_ci_u32_e32 v24, vcc_lo, 0, v4, vcc_lo
	v_add_co_u32 v17, vcc_lo, v1, 1
	s_delay_alu instid0(VALU_DEP_3) | instskip(SKIP_1) | instid1(VALU_DEP_4)
	v_mov_b32_e32 v21, v23
	v_add_co_ci_u32_e32 v18, vcc_lo, 0, v2, vcc_lo
	v_dual_mov_b32 v19, v3 :: v_dual_mov_b32 v22, v24
	v_cmpx_lt_i64_e64 v[3:4], v[1:2]
; %bb.1:
	v_dual_mov_b32 v20, v2 :: v_dual_mov_b32 v19, v1
	v_dual_mov_b32 v1, v3 :: v_dual_mov_b32 v2, v4
	;; [unrolled: 1-line block ×4, first 2 shown]
; %bb.2:
	s_or_b32 exec_lo, exec_lo, s0
	s_waitcnt vmcnt(2)
	v_add_co_u32 v25, vcc_lo, v15, 1
	v_add_co_ci_u32_e32 v26, vcc_lo, 0, v16, vcc_lo
	v_add_co_u32 v31, vcc_lo, v13, 1
	v_add_co_ci_u32_e32 v32, vcc_lo, 0, v14, vcc_lo
	v_dual_mov_b32 v3, v15 :: v_dual_mov_b32 v4, v16
	s_delay_alu instid0(VALU_DEP_4)
	v_dual_mov_b32 v23, v25 :: v_dual_mov_b32 v24, v26
	s_mov_b32 s0, exec_lo
	v_cmpx_lt_i64_e64 v[15:16], v[13:14]
; %bb.3:
	v_dual_mov_b32 v3, v13 :: v_dual_mov_b32 v4, v14
	v_dual_mov_b32 v13, v15 :: v_dual_mov_b32 v14, v16
	v_dual_mov_b32 v23, v31 :: v_dual_mov_b32 v24, v32
	v_dual_mov_b32 v32, v26 :: v_dual_mov_b32 v31, v25
; %bb.4:
	s_or_b32 exec_lo, exec_lo, s0
	s_waitcnt vmcnt(0)
	v_add_co_u32 v27, vcc_lo, v11, 1
	v_add_co_ci_u32_e32 v28, vcc_lo, 0, v12, vcc_lo
	v_add_co_u32 v35, vcc_lo, v9, 1
	v_add_co_ci_u32_e32 v36, vcc_lo, 0, v10, vcc_lo
	v_dual_mov_b32 v16, v12 :: v_dual_mov_b32 v15, v11
	s_delay_alu instid0(VALU_DEP_4)
	v_dual_mov_b32 v25, v27 :: v_dual_mov_b32 v26, v28
	s_mov_b32 s0, exec_lo
	v_cmpx_lt_i64_e64 v[11:12], v[9:10]
; %bb.5:
	v_dual_mov_b32 v16, v10 :: v_dual_mov_b32 v15, v9
	v_dual_mov_b32 v9, v11 :: v_dual_mov_b32 v10, v12
	;; [unrolled: 1-line block ×4, first 2 shown]
; %bb.6:
	s_or_b32 exec_lo, exec_lo, s0
	v_add_co_u32 v29, vcc_lo, v7, 1
	v_add_co_ci_u32_e32 v30, vcc_lo, 0, v8, vcc_lo
	v_add_co_u32 v37, vcc_lo, v5, 1
	v_add_co_ci_u32_e32 v38, vcc_lo, 0, v6, vcc_lo
	v_dual_mov_b32 v12, v8 :: v_dual_mov_b32 v11, v7
	s_delay_alu instid0(VALU_DEP_4)
	v_dual_mov_b32 v27, v29 :: v_dual_mov_b32 v28, v30
	s_mov_b32 s0, exec_lo
	v_cmpx_lt_i64_e64 v[7:8], v[5:6]
; %bb.7:
	v_dual_mov_b32 v12, v6 :: v_dual_mov_b32 v11, v5
	v_dual_mov_b32 v5, v7 :: v_dual_mov_b32 v6, v8
	v_dual_mov_b32 v27, v37 :: v_dual_mov_b32 v28, v38
	v_dual_mov_b32 v38, v30 :: v_dual_mov_b32 v37, v29
; %bb.8:
	s_or_b32 exec_lo, exec_lo, s0
	v_dual_mov_b32 v7, v13 :: v_dual_mov_b32 v8, v14
	v_dual_mov_b32 v29, v31 :: v_dual_mov_b32 v30, v32
	s_mov_b32 s0, exec_lo
	v_cmpx_lt_i64_e64 v[13:14], v[19:20]
	s_xor_b32 s0, exec_lo, s0
; %bb.9:
	v_dual_mov_b32 v7, v19 :: v_dual_mov_b32 v8, v20
	v_dual_mov_b32 v20, v14 :: v_dual_mov_b32 v19, v13
	v_dual_mov_b32 v30, v22 :: v_dual_mov_b32 v29, v21
	v_dual_mov_b32 v21, v31 :: v_dual_mov_b32 v22, v32
; %bb.10:
	s_or_b32 exec_lo, exec_lo, s0
	v_dual_mov_b32 v14, v10 :: v_dual_mov_b32 v13, v9
	v_dual_mov_b32 v33, v35 :: v_dual_mov_b32 v34, v36
	s_mov_b32 s0, exec_lo
	v_cmpx_lt_i64_e64 v[9:10], v[3:4]
; %bb.11:
	v_dual_mov_b32 v14, v4 :: v_dual_mov_b32 v13, v3
	v_dual_mov_b32 v3, v9 :: v_dual_mov_b32 v4, v10
	v_dual_mov_b32 v34, v24 :: v_dual_mov_b32 v33, v23
	v_dual_mov_b32 v23, v35 :: v_dual_mov_b32 v24, v36
; %bb.12:
	s_or_b32 exec_lo, exec_lo, s0
	v_dual_mov_b32 v10, v6 :: v_dual_mov_b32 v9, v5
	v_dual_mov_b32 v35, v37 :: v_dual_mov_b32 v36, v38
	s_mov_b32 s0, exec_lo
	v_cmpx_lt_i64_e64 v[5:6], v[15:16]
	;; [unrolled: 11-line block ×23, first 2 shown]
; %bb.55:
	v_dual_mov_b32 v32, v24 :: v_dual_mov_b32 v31, v23
	v_dual_mov_b32 v23, v29 :: v_dual_mov_b32 v24, v30
	;; [unrolled: 1-line block ×4, first 2 shown]
; %bb.56:
	s_or_b32 exec_lo, exec_lo, s0
	v_mbcnt_lo_u32_b32 v29, -1, 0
	v_lshlrev_b32_e32 v49, 3, v0
	v_lshrrev_b32_e32 v35, 2, v0
	; wave barrier
	s_delay_alu instid0(VALU_DEP_3) | instskip(SKIP_2) | instid1(VALU_DEP_1)
	v_lshlrev_b32_e32 v30, 3, v29
	s_mov_b32 s0, 0
	s_mov_b32 s1, exec_lo
	v_and_b32_e32 v29, 16, v30
	v_and_b32_e32 v52, 24, v30
	;; [unrolled: 1-line block ×3, first 2 shown]
	s_delay_alu instid0(VALU_DEP_3) | instskip(SKIP_1) | instid1(VALU_DEP_4)
	v_or_b32_e32 v54, 8, v29
	v_add_nc_u32_e32 v53, 16, v29
	v_lshlrev_b32_e32 v0, 3, v52
	s_delay_alu instid0(VALU_DEP_2) | instskip(NEXT) | instid1(VALU_DEP_2)
	v_sub_nc_u32_e32 v36, v53, v54
	v_mad_u32_u24 v50, 0x108, v35, v0
	ds_store_2addr_b64 v50, v[1:2], v[19:20] offset1:1
	ds_store_2addr_b64 v50, v[33:34], v[21:22] offset0:2 offset1:3
	v_sub_nc_u32_e32 v37, v30, v36
	v_cmp_ge_i32_e32 vcc_lo, v30, v36
	ds_store_2addr_b64 v50, v[27:28], v[23:24] offset0:4 offset1:5
	ds_store_2addr_b64 v50, v[31:32], v[25:26] offset0:6 offset1:7
	; wave barrier
	v_cndmask_b32_e32 v0, 0, v37, vcc_lo
	v_sub_nc_u32_e32 v38, v54, v29
	v_lshlrev_b32_e32 v39, 3, v29
	s_delay_alu instid0(VALU_DEP_2) | instskip(NEXT) | instid1(VALU_DEP_2)
	v_min_i32_e32 v36, v30, v38
	v_mad_u32_u24 v1, 0x108, v35, v39
	s_delay_alu instid0(VALU_DEP_2)
	v_cmpx_lt_i32_e64 v0, v36
	s_cbranch_execz .LBB153_60
; %bb.57:
	v_lshlrev_b32_e32 v2, 3, v30
	s_delay_alu instid0(VALU_DEP_1)
	v_add3_u32 v2, v1, v2, 64
	.p2align	6
.LBB153_58:                             ; =>This Inner Loop Header: Depth=1
	v_sub_nc_u32_e32 v19, v36, v0
	s_delay_alu instid0(VALU_DEP_1) | instskip(NEXT) | instid1(VALU_DEP_1)
	v_lshrrev_b32_e32 v20, 31, v19
	v_add_nc_u32_e32 v19, v19, v20
	s_delay_alu instid0(VALU_DEP_1) | instskip(NEXT) | instid1(VALU_DEP_1)
	v_ashrrev_i32_e32 v19, 1, v19
	v_add_nc_u32_e32 v23, v19, v0
	s_delay_alu instid0(VALU_DEP_1) | instskip(SKIP_1) | instid1(VALU_DEP_2)
	v_not_b32_e32 v19, v23
	v_lshl_add_u32 v20, v23, 3, v1
	v_lshl_add_u32 v21, v19, 3, v2
	ds_load_b64 v[19:20], v20
	ds_load_b64 v[21:22], v21
	s_waitcnt lgkmcnt(0)
	v_cmp_lt_i64_e32 vcc_lo, v[21:22], v[19:20]
	v_add_nc_u32_e32 v19, 1, v23
	v_cndmask_b32_e32 v36, v36, v23, vcc_lo
	s_delay_alu instid0(VALU_DEP_2) | instskip(NEXT) | instid1(VALU_DEP_1)
	v_cndmask_b32_e32 v0, v19, v0, vcc_lo
	v_cmp_ge_i32_e32 vcc_lo, v0, v36
	s_or_b32 s0, vcc_lo, s0
	s_delay_alu instid0(SALU_CYCLE_1)
	s_and_not1_b32 exec_lo, exec_lo, s0
	s_cbranch_execnz .LBB153_58
; %bb.59:
	s_or_b32 exec_lo, exec_lo, s0
.LBB153_60:
	s_delay_alu instid0(SALU_CYCLE_1) | instskip(SKIP_4) | instid1(VALU_DEP_4)
	s_or_b32 exec_lo, exec_lo, s1
	v_add_nc_u32_e32 v2, v29, v30
	v_mul_u32_u24_e32 v51, 0x108, v35
	v_lshl_add_u32 v25, v0, 3, v1
	v_cmp_lt_i32_e64 s0, 7, v0
                                        ; implicit-def: $vgpr23_vgpr24
	v_sub_nc_u32_e32 v2, v2, v0
	s_delay_alu instid0(VALU_DEP_1) | instskip(SKIP_4) | instid1(VALU_DEP_1)
	v_lshl_add_u32 v1, v2, 3, v51
	v_add_nc_u32_e32 v2, v54, v30
	ds_load_b64 v[19:20], v25
	ds_load_b64 v[21:22], v1 offset:64
	v_sub_nc_u32_e32 v2, v2, v0
	v_cmp_gt_i32_e64 s1, v53, v2
	s_waitcnt lgkmcnt(0)
	v_cmp_lt_i64_e32 vcc_lo, v[21:22], v[19:20]
	s_or_b32 s0, s0, vcc_lo
	s_delay_alu instid0(VALU_DEP_2) | instid1(SALU_CYCLE_1)
	s_and_b32 vcc_lo, s1, s0
	s_delay_alu instid0(SALU_CYCLE_1) | instskip(NEXT) | instid1(SALU_CYCLE_1)
	s_xor_b32 s0, vcc_lo, -1
	s_and_saveexec_b32 s1, s0
	s_delay_alu instid0(SALU_CYCLE_1)
	s_xor_b32 s0, exec_lo, s1
	s_cbranch_execz .LBB153_62
; %bb.61:
	ds_load_b64 v[23:24], v25 offset:8
                                        ; implicit-def: $vgpr1
.LBB153_62:
	s_or_saveexec_b32 s0, s0
	v_dual_mov_b32 v26, v22 :: v_dual_mov_b32 v25, v21
	s_xor_b32 exec_lo, exec_lo, s0
	s_cbranch_execz .LBB153_64
; %bb.63:
	ds_load_b64 v[25:26], v1 offset:72
	s_waitcnt lgkmcnt(1)
	v_dual_mov_b32 v24, v20 :: v_dual_mov_b32 v23, v19
.LBB153_64:
	s_or_b32 exec_lo, exec_lo, s0
	v_add_nc_u32_e32 v55, v0, v29
	v_add_nc_u32_e32 v1, 1, v2
	s_waitcnt lgkmcnt(0)
	v_cmp_lt_i64_e64 s0, v[25:26], v[23:24]
                                        ; implicit-def: $vgpr27_vgpr28
	s_delay_alu instid0(VALU_DEP_2) | instskip(NEXT) | instid1(VALU_DEP_1)
	v_dual_cndmask_b32 v57, v2, v1 :: v_dual_add_nc_u32 v0, 1, v55
	v_cndmask_b32_e32 v56, v0, v55, vcc_lo
	s_delay_alu instid0(VALU_DEP_2) | instskip(NEXT) | instid1(VALU_DEP_2)
	v_cmp_lt_i32_e64 s2, v57, v53
	v_cmp_ge_i32_e64 s1, v56, v54
	s_delay_alu instid0(VALU_DEP_1)
	s_or_b32 s0, s1, s0
	s_delay_alu instid0(VALU_DEP_2) | instid1(SALU_CYCLE_1)
	s_and_b32 s0, s2, s0
	s_delay_alu instid0(SALU_CYCLE_1) | instskip(NEXT) | instid1(SALU_CYCLE_1)
	s_xor_b32 s1, s0, -1
	s_and_saveexec_b32 s2, s1
	s_delay_alu instid0(SALU_CYCLE_1)
	s_xor_b32 s1, exec_lo, s2
	s_cbranch_execz .LBB153_66
; %bb.65:
	v_lshl_add_u32 v0, v56, 3, v51
	ds_load_b64 v[27:28], v0 offset:8
.LBB153_66:
	s_or_saveexec_b32 s1, s1
	v_dual_mov_b32 v30, v26 :: v_dual_mov_b32 v29, v25
	s_xor_b32 exec_lo, exec_lo, s1
	s_cbranch_execz .LBB153_68
; %bb.67:
	v_lshl_add_u32 v0, v57, 3, v51
	s_waitcnt lgkmcnt(0)
	v_dual_mov_b32 v28, v24 :: v_dual_mov_b32 v27, v23
	ds_load_b64 v[29:30], v0 offset:8
.LBB153_68:
	s_or_b32 exec_lo, exec_lo, s1
	v_add_nc_u32_e32 v0, 1, v56
	v_add_nc_u32_e32 v1, 1, v57
	s_waitcnt lgkmcnt(0)
	v_cmp_lt_i64_e64 s1, v[29:30], v[27:28]
                                        ; implicit-def: $vgpr31_vgpr32
	s_delay_alu instid0(VALU_DEP_3) | instskip(NEXT) | instid1(VALU_DEP_3)
	v_cndmask_b32_e64 v58, v0, v56, s0
	v_cndmask_b32_e64 v59, v57, v1, s0
	s_delay_alu instid0(VALU_DEP_2) | instskip(NEXT) | instid1(VALU_DEP_2)
	v_cmp_ge_i32_e64 s2, v58, v54
	v_cmp_lt_i32_e64 s3, v59, v53
	s_delay_alu instid0(VALU_DEP_2)
	s_or_b32 s1, s2, s1
	s_delay_alu instid0(VALU_DEP_1) | instid1(SALU_CYCLE_1)
	s_and_b32 s1, s3, s1
	s_delay_alu instid0(SALU_CYCLE_1) | instskip(NEXT) | instid1(SALU_CYCLE_1)
	s_xor_b32 s2, s1, -1
	s_and_saveexec_b32 s3, s2
	s_delay_alu instid0(SALU_CYCLE_1)
	s_xor_b32 s2, exec_lo, s3
	s_cbranch_execz .LBB153_70
; %bb.69:
	v_lshl_add_u32 v0, v58, 3, v51
	ds_load_b64 v[31:32], v0 offset:8
.LBB153_70:
	s_or_saveexec_b32 s2, s2
	v_dual_mov_b32 v34, v30 :: v_dual_mov_b32 v33, v29
	s_xor_b32 exec_lo, exec_lo, s2
	s_cbranch_execz .LBB153_72
; %bb.71:
	v_lshl_add_u32 v0, v59, 3, v51
	s_waitcnt lgkmcnt(0)
	v_dual_mov_b32 v32, v28 :: v_dual_mov_b32 v31, v27
	ds_load_b64 v[33:34], v0 offset:8
.LBB153_72:
	s_or_b32 exec_lo, exec_lo, s2
	v_add_nc_u32_e32 v0, 1, v58
	v_add_nc_u32_e32 v1, 1, v59
	s_waitcnt lgkmcnt(0)
	v_cmp_lt_i64_e64 s2, v[33:34], v[31:32]
	s_delay_alu instid0(VALU_DEP_3) | instskip(NEXT) | instid1(VALU_DEP_3)
	v_cndmask_b32_e64 v60, v0, v58, s1
	v_cndmask_b32_e64 v61, v59, v1, s1
                                        ; implicit-def: $vgpr0_vgpr1
	s_delay_alu instid0(VALU_DEP_2) | instskip(NEXT) | instid1(VALU_DEP_2)
	v_cmp_ge_i32_e64 s3, v60, v54
	v_cmp_lt_i32_e64 s4, v61, v53
	s_delay_alu instid0(VALU_DEP_2)
	s_or_b32 s2, s3, s2
	s_delay_alu instid0(VALU_DEP_1) | instid1(SALU_CYCLE_1)
	s_and_b32 s2, s4, s2
	s_delay_alu instid0(SALU_CYCLE_1) | instskip(NEXT) | instid1(SALU_CYCLE_1)
	s_xor_b32 s3, s2, -1
	s_and_saveexec_b32 s4, s3
	s_delay_alu instid0(SALU_CYCLE_1)
	s_xor_b32 s3, exec_lo, s4
	s_cbranch_execz .LBB153_74
; %bb.73:
	v_lshl_add_u32 v0, v60, 3, v51
	ds_load_b64 v[0:1], v0 offset:8
.LBB153_74:
	s_or_saveexec_b32 s3, s3
	v_dual_mov_b32 v36, v34 :: v_dual_mov_b32 v35, v33
	s_xor_b32 exec_lo, exec_lo, s3
	s_cbranch_execz .LBB153_76
; %bb.75:
	s_waitcnt lgkmcnt(0)
	v_lshl_add_u32 v0, v61, 3, v51
	ds_load_b64 v[35:36], v0 offset:8
	v_dual_mov_b32 v0, v31 :: v_dual_mov_b32 v1, v32
.LBB153_76:
	s_or_b32 exec_lo, exec_lo, s3
	v_add_nc_u32_e32 v37, 1, v60
	v_add_nc_u32_e32 v38, 1, v61
	s_waitcnt lgkmcnt(0)
	v_cmp_lt_i64_e64 s3, v[35:36], v[0:1]
                                        ; implicit-def: $vgpr39_vgpr40
	s_delay_alu instid0(VALU_DEP_3) | instskip(NEXT) | instid1(VALU_DEP_3)
	v_cndmask_b32_e64 v62, v37, v60, s2
	v_cndmask_b32_e64 v63, v61, v38, s2
	s_delay_alu instid0(VALU_DEP_2) | instskip(NEXT) | instid1(VALU_DEP_2)
	v_cmp_ge_i32_e64 s4, v62, v54
	v_cmp_lt_i32_e64 s5, v63, v53
	s_delay_alu instid0(VALU_DEP_2)
	s_or_b32 s3, s4, s3
	s_delay_alu instid0(VALU_DEP_1) | instid1(SALU_CYCLE_1)
	s_and_b32 s3, s5, s3
	s_delay_alu instid0(SALU_CYCLE_1) | instskip(NEXT) | instid1(SALU_CYCLE_1)
	s_xor_b32 s4, s3, -1
	s_and_saveexec_b32 s5, s4
	s_delay_alu instid0(SALU_CYCLE_1)
	s_xor_b32 s4, exec_lo, s5
	s_cbranch_execz .LBB153_78
; %bb.77:
	v_lshl_add_u32 v37, v62, 3, v51
	ds_load_b64 v[39:40], v37 offset:8
.LBB153_78:
	s_or_saveexec_b32 s4, s4
	v_dual_mov_b32 v44, v36 :: v_dual_mov_b32 v43, v35
	s_xor_b32 exec_lo, exec_lo, s4
	s_cbranch_execz .LBB153_80
; %bb.79:
	v_lshl_add_u32 v37, v63, 3, v51
	s_waitcnt lgkmcnt(0)
	v_dual_mov_b32 v40, v1 :: v_dual_mov_b32 v39, v0
	ds_load_b64 v[43:44], v37 offset:8
.LBB153_80:
	s_or_b32 exec_lo, exec_lo, s4
	v_add_nc_u32_e32 v37, 1, v62
	v_add_nc_u32_e32 v38, 1, v63
	s_waitcnt lgkmcnt(0)
	v_cmp_lt_i64_e64 s4, v[43:44], v[39:40]
                                        ; implicit-def: $vgpr45_vgpr46
	s_delay_alu instid0(VALU_DEP_3) | instskip(NEXT) | instid1(VALU_DEP_3)
	v_cndmask_b32_e64 v64, v37, v62, s3
	v_cndmask_b32_e64 v65, v63, v38, s3
	s_delay_alu instid0(VALU_DEP_2) | instskip(NEXT) | instid1(VALU_DEP_2)
	v_cmp_ge_i32_e64 s5, v64, v54
	v_cmp_lt_i32_e64 s6, v65, v53
	s_delay_alu instid0(VALU_DEP_2)
	s_or_b32 s4, s5, s4
	s_delay_alu instid0(VALU_DEP_1) | instid1(SALU_CYCLE_1)
	s_and_b32 s4, s6, s4
	s_delay_alu instid0(SALU_CYCLE_1) | instskip(NEXT) | instid1(SALU_CYCLE_1)
	s_xor_b32 s5, s4, -1
	s_and_saveexec_b32 s6, s5
	s_delay_alu instid0(SALU_CYCLE_1)
	s_xor_b32 s5, exec_lo, s6
	s_cbranch_execz .LBB153_82
; %bb.81:
	v_lshl_add_u32 v37, v64, 3, v51
	ds_load_b64 v[45:46], v37 offset:8
.LBB153_82:
	s_or_saveexec_b32 s5, s5
	v_dual_mov_b32 v48, v44 :: v_dual_mov_b32 v47, v43
	s_xor_b32 exec_lo, exec_lo, s5
	s_cbranch_execz .LBB153_84
; %bb.83:
	v_lshl_add_u32 v37, v65, 3, v51
	s_waitcnt lgkmcnt(0)
	v_dual_mov_b32 v46, v40 :: v_dual_mov_b32 v45, v39
	ds_load_b64 v[47:48], v37 offset:8
.LBB153_84:
	s_or_b32 exec_lo, exec_lo, s5
	v_add_nc_u32_e32 v37, 1, v64
	v_add_nc_u32_e32 v38, 1, v65
	s_waitcnt lgkmcnt(0)
	v_cmp_lt_i64_e64 s5, v[47:48], v[45:46]
	s_delay_alu instid0(VALU_DEP_3) | instskip(NEXT) | instid1(VALU_DEP_3)
	v_cndmask_b32_e64 v66, v37, v64, s4
	v_cndmask_b32_e64 v67, v65, v38, s4
                                        ; implicit-def: $vgpr37_vgpr38
	s_delay_alu instid0(VALU_DEP_2) | instskip(NEXT) | instid1(VALU_DEP_2)
	v_cmp_ge_i32_e64 s6, v66, v54
	v_cmp_lt_i32_e64 s7, v67, v53
	s_delay_alu instid0(VALU_DEP_2)
	s_or_b32 s5, s6, s5
	s_delay_alu instid0(VALU_DEP_1) | instid1(SALU_CYCLE_1)
	s_and_b32 s5, s7, s5
	s_delay_alu instid0(SALU_CYCLE_1) | instskip(NEXT) | instid1(SALU_CYCLE_1)
	s_xor_b32 s6, s5, -1
	s_and_saveexec_b32 s7, s6
	s_delay_alu instid0(SALU_CYCLE_1)
	s_xor_b32 s6, exec_lo, s7
	s_cbranch_execz .LBB153_86
; %bb.85:
	v_lshl_add_u32 v37, v66, 3, v51
	ds_load_b64 v[37:38], v37 offset:8
.LBB153_86:
	s_or_saveexec_b32 s6, s6
	v_dual_mov_b32 v41, v47 :: v_dual_mov_b32 v42, v48
	s_xor_b32 exec_lo, exec_lo, s6
	s_cbranch_execz .LBB153_88
; %bb.87:
	s_waitcnt lgkmcnt(0)
	v_lshl_add_u32 v37, v67, 3, v51
	ds_load_b64 v[41:42], v37 offset:8
	v_dual_mov_b32 v37, v45 :: v_dual_mov_b32 v38, v46
.LBB153_88:
	s_or_b32 exec_lo, exec_lo, s6
	v_add_nc_u32_e32 v69, 1, v66
	v_dual_cndmask_b32 v19, v19, v21 :: v_dual_add_nc_u32 v68, 1, v67
	v_cndmask_b32_e64 v46, v46, v48, s5
	v_cndmask_b32_e64 v45, v45, v47, s5
	s_delay_alu instid0(VALU_DEP_4) | instskip(NEXT) | instid1(VALU_DEP_4)
	v_cndmask_b32_e64 v48, v69, v66, s5
	v_cndmask_b32_e64 v47, v67, v68, s5
	;; [unrolled: 1-line block ×5, first 2 shown]
	s_waitcnt lgkmcnt(0)
	v_cmp_lt_i64_e64 s3, v[41:42], v[37:38]
	v_cndmask_b32_e64 v40, v40, v44, s4
	v_cndmask_b32_e64 v39, v39, v43, s4
	;; [unrolled: 1-line block ×3, first 2 shown]
	v_cmp_ge_i32_e64 s4, v48, v54
	v_cndmask_b32_e64 v66, v66, v67, s5
	v_cmp_lt_i32_e64 s5, v47, v53
	v_cndmask_b32_e32 v2, v55, v2, vcc_lo
	v_cndmask_b32_e64 v53, v56, v57, s0
	s_or_b32 s3, s4, s3
	v_cndmask_b32_e64 v44, v58, v59, s1
	s_and_b32 s3, s5, s3
	v_cndmask_b32_e64 v1, v60, v61, s2
	v_cndmask_b32_e64 v32, v32, v34, s2
	;; [unrolled: 1-line block ×4, first 2 shown]
	v_lshl_add_u32 v2, v2, 3, v51
	; wave barrier
	ds_store_2addr_b64 v50, v[17:18], v[3:4] offset1:1
	ds_store_2addr_b64 v50, v[11:12], v[5:6] offset0:2 offset1:3
	ds_store_2addr_b64 v50, v[13:14], v[7:8] offset0:4 offset1:5
	;; [unrolled: 1-line block ×3, first 2 shown]
	v_lshl_add_u32 v3, v53, 3, v51
	v_lshl_add_u32 v4, v44, 3, v51
	;; [unrolled: 1-line block ×7, first 2 shown]
	; wave barrier
	ds_load_b64 v[12:13], v2
	ds_load_b64 v[14:15], v3
	;; [unrolled: 1-line block ×8, first 2 shown]
	v_cndmask_b32_e64 v24, v24, v26, s0
	v_cndmask_b32_e64 v23, v23, v25, s0
	v_cndmask_b32_e32 v20, v20, v22, vcc_lo
	v_sub_nc_u32_e64 v48, v52, 16 clamp
	v_min_i32_e32 v16, 16, v52
	v_cndmask_b32_e64 v31, v31, v33, s2
	v_cndmask_b32_e64 v18, v28, v30, s1
	;; [unrolled: 1-line block ×4, first 2 shown]
	s_mov_b32 s0, exec_lo
	; wave barrier
	ds_store_2addr_b64 v50, v[19:20], v[23:24] offset1:1
	ds_store_2addr_b64 v50, v[17:18], v[31:32] offset0:2 offset1:3
	ds_store_2addr_b64 v50, v[35:36], v[39:40] offset0:4 offset1:5
	;; [unrolled: 1-line block ×3, first 2 shown]
	; wave barrier
	v_cmpx_lt_u32_e64 v48, v16
	s_cbranch_execz .LBB153_92
; %bb.89:
	v_add_nc_u32_e32 v17, 0x80, v50
	s_mov_b32 s1, 0
	.p2align	6
.LBB153_90:                             ; =>This Inner Loop Header: Depth=1
	v_sub_nc_u32_e32 v18, v16, v48
	s_delay_alu instid0(VALU_DEP_1) | instskip(NEXT) | instid1(VALU_DEP_1)
	v_lshrrev_b32_e32 v19, 31, v18
	v_add_nc_u32_e32 v18, v18, v19
	s_delay_alu instid0(VALU_DEP_1) | instskip(NEXT) | instid1(VALU_DEP_1)
	v_ashrrev_i32_e32 v18, 1, v18
	v_add_nc_u32_e32 v22, v18, v48
	s_delay_alu instid0(VALU_DEP_1) | instskip(SKIP_1) | instid1(VALU_DEP_2)
	v_not_b32_e32 v18, v22
	v_lshl_add_u32 v19, v22, 3, v51
	v_lshl_add_u32 v20, v18, 3, v17
	ds_load_b64 v[18:19], v19
	ds_load_b64 v[20:21], v20
	s_waitcnt lgkmcnt(0)
	v_cmp_lt_i64_e32 vcc_lo, v[20:21], v[18:19]
	v_add_nc_u32_e32 v18, 1, v22
	v_cndmask_b32_e32 v16, v16, v22, vcc_lo
	s_delay_alu instid0(VALU_DEP_2) | instskip(NEXT) | instid1(VALU_DEP_1)
	v_cndmask_b32_e32 v48, v18, v48, vcc_lo
	v_cmp_ge_i32_e32 vcc_lo, v48, v16
	s_or_b32 s1, vcc_lo, s1
	s_delay_alu instid0(SALU_CYCLE_1)
	s_and_not1_b32 exec_lo, exec_lo, s1
	s_cbranch_execnz .LBB153_90
; %bb.91:
	s_or_b32 exec_lo, exec_lo, s1
.LBB153_92:
	s_delay_alu instid0(SALU_CYCLE_1) | instskip(SKIP_3) | instid1(VALU_DEP_3)
	s_or_b32 exec_lo, exec_lo, s0
	v_sub_nc_u32_e32 v20, v52, v48
	v_lshl_add_u32 v22, v48, 3, v51
	v_cmp_lt_i32_e64 s0, 15, v48
	v_lshl_add_u32 v24, v20, 3, v51
	v_add_nc_u32_e32 v52, 16, v20
                                        ; implicit-def: $vgpr20_vgpr21
	ds_load_b64 v[16:17], v22
	ds_load_b64 v[18:19], v24 offset:128
	v_cmp_gt_i32_e64 s1, 32, v52
	s_waitcnt lgkmcnt(0)
	v_cmp_lt_i64_e32 vcc_lo, v[18:19], v[16:17]
	s_or_b32 s0, s0, vcc_lo
	s_delay_alu instid0(VALU_DEP_2) | instid1(SALU_CYCLE_1)
	s_and_b32 vcc_lo, s1, s0
	s_delay_alu instid0(SALU_CYCLE_1) | instskip(NEXT) | instid1(SALU_CYCLE_1)
	s_xor_b32 s0, vcc_lo, -1
	s_and_saveexec_b32 s1, s0
	s_delay_alu instid0(SALU_CYCLE_1)
	s_xor_b32 s0, exec_lo, s1
	s_cbranch_execz .LBB153_94
; %bb.93:
	ds_load_b64 v[20:21], v22 offset:8
                                        ; implicit-def: $vgpr24
.LBB153_94:
	s_or_saveexec_b32 s0, s0
	v_dual_mov_b32 v23, v19 :: v_dual_mov_b32 v22, v18
	s_xor_b32 exec_lo, exec_lo, s0
	s_cbranch_execz .LBB153_96
; %bb.95:
	ds_load_b64 v[22:23], v24 offset:136
	s_waitcnt lgkmcnt(1)
	v_dual_mov_b32 v21, v17 :: v_dual_mov_b32 v20, v16
.LBB153_96:
	s_or_b32 exec_lo, exec_lo, s0
	v_add_nc_u32_e32 v24, 1, v48
	v_add_nc_u32_e32 v25, 1, v52
	s_waitcnt lgkmcnt(0)
	v_cmp_lt_i64_e64 s0, v[22:23], v[20:21]
	s_delay_alu instid0(VALU_DEP_3) | instskip(NEXT) | instid1(VALU_DEP_3)
	v_cndmask_b32_e32 v53, v24, v48, vcc_lo
	v_cndmask_b32_e32 v54, v52, v25, vcc_lo
                                        ; implicit-def: $vgpr24_vgpr25
	s_delay_alu instid0(VALU_DEP_2) | instskip(NEXT) | instid1(VALU_DEP_2)
	v_cmp_lt_i32_e64 s1, 15, v53
	v_cmp_gt_i32_e64 s2, 32, v54
	s_delay_alu instid0(VALU_DEP_2)
	s_or_b32 s0, s1, s0
	s_delay_alu instid0(VALU_DEP_1) | instid1(SALU_CYCLE_1)
	s_and_b32 s0, s2, s0
	s_delay_alu instid0(SALU_CYCLE_1) | instskip(NEXT) | instid1(SALU_CYCLE_1)
	s_xor_b32 s1, s0, -1
	s_and_saveexec_b32 s2, s1
	s_delay_alu instid0(SALU_CYCLE_1)
	s_xor_b32 s1, exec_lo, s2
	s_cbranch_execz .LBB153_98
; %bb.97:
	v_lshl_add_u32 v24, v53, 3, v51
	ds_load_b64 v[24:25], v24 offset:8
.LBB153_98:
	s_or_saveexec_b32 s1, s1
	v_dual_mov_b32 v27, v23 :: v_dual_mov_b32 v26, v22
	s_xor_b32 exec_lo, exec_lo, s1
	s_cbranch_execz .LBB153_100
; %bb.99:
	s_waitcnt lgkmcnt(0)
	v_lshl_add_u32 v24, v54, 3, v51
	ds_load_b64 v[26:27], v24 offset:8
	v_dual_mov_b32 v25, v21 :: v_dual_mov_b32 v24, v20
.LBB153_100:
	s_or_b32 exec_lo, exec_lo, s1
	v_add_nc_u32_e32 v28, 1, v53
	v_add_nc_u32_e32 v29, 1, v54
	s_waitcnt lgkmcnt(0)
	v_cmp_lt_i64_e64 s1, v[26:27], v[24:25]
	s_delay_alu instid0(VALU_DEP_3) | instskip(NEXT) | instid1(VALU_DEP_3)
	v_cndmask_b32_e64 v55, v28, v53, s0
	v_cndmask_b32_e64 v56, v54, v29, s0
                                        ; implicit-def: $vgpr28_vgpr29
	s_delay_alu instid0(VALU_DEP_2) | instskip(NEXT) | instid1(VALU_DEP_2)
	v_cmp_lt_i32_e64 s2, 15, v55
	v_cmp_gt_i32_e64 s3, 32, v56
	s_delay_alu instid0(VALU_DEP_2)
	s_or_b32 s1, s2, s1
	s_delay_alu instid0(VALU_DEP_1) | instid1(SALU_CYCLE_1)
	s_and_b32 s1, s3, s1
	s_delay_alu instid0(SALU_CYCLE_1) | instskip(NEXT) | instid1(SALU_CYCLE_1)
	s_xor_b32 s2, s1, -1
	s_and_saveexec_b32 s3, s2
	s_delay_alu instid0(SALU_CYCLE_1)
	s_xor_b32 s2, exec_lo, s3
	s_cbranch_execz .LBB153_102
; %bb.101:
	v_lshl_add_u32 v28, v55, 3, v51
	ds_load_b64 v[28:29], v28 offset:8
.LBB153_102:
	s_or_saveexec_b32 s2, s2
	v_dual_mov_b32 v31, v27 :: v_dual_mov_b32 v30, v26
	s_xor_b32 exec_lo, exec_lo, s2
	s_cbranch_execz .LBB153_104
; %bb.103:
	s_waitcnt lgkmcnt(0)
	v_lshl_add_u32 v28, v56, 3, v51
	ds_load_b64 v[30:31], v28 offset:8
	v_dual_mov_b32 v29, v25 :: v_dual_mov_b32 v28, v24
.LBB153_104:
	s_or_b32 exec_lo, exec_lo, s2
	v_add_nc_u32_e32 v32, 1, v55
	v_add_nc_u32_e32 v33, 1, v56
	s_waitcnt lgkmcnt(0)
	v_cmp_lt_i64_e64 s2, v[30:31], v[28:29]
	s_delay_alu instid0(VALU_DEP_3) | instskip(NEXT) | instid1(VALU_DEP_3)
	v_cndmask_b32_e64 v57, v32, v55, s1
	v_cndmask_b32_e64 v58, v56, v33, s1
                                        ; implicit-def: $vgpr32_vgpr33
	s_delay_alu instid0(VALU_DEP_2) | instskip(NEXT) | instid1(VALU_DEP_2)
	v_cmp_lt_i32_e64 s3, 15, v57
	v_cmp_gt_i32_e64 s4, 32, v58
	s_delay_alu instid0(VALU_DEP_2)
	s_or_b32 s2, s3, s2
	s_delay_alu instid0(VALU_DEP_1) | instid1(SALU_CYCLE_1)
	s_and_b32 s2, s4, s2
	s_delay_alu instid0(SALU_CYCLE_1) | instskip(NEXT) | instid1(SALU_CYCLE_1)
	s_xor_b32 s3, s2, -1
	s_and_saveexec_b32 s4, s3
	s_delay_alu instid0(SALU_CYCLE_1)
	s_xor_b32 s3, exec_lo, s4
	s_cbranch_execz .LBB153_106
; %bb.105:
	v_lshl_add_u32 v32, v57, 3, v51
	ds_load_b64 v[32:33], v32 offset:8
.LBB153_106:
	s_or_saveexec_b32 s3, s3
	v_dual_mov_b32 v35, v31 :: v_dual_mov_b32 v34, v30
	s_xor_b32 exec_lo, exec_lo, s3
	s_cbranch_execz .LBB153_108
; %bb.107:
	s_waitcnt lgkmcnt(0)
	v_lshl_add_u32 v32, v58, 3, v51
	ds_load_b64 v[34:35], v32 offset:8
	v_dual_mov_b32 v33, v29 :: v_dual_mov_b32 v32, v28
.LBB153_108:
	s_or_b32 exec_lo, exec_lo, s3
	v_add_nc_u32_e32 v36, 1, v57
	v_add_nc_u32_e32 v37, 1, v58
	s_waitcnt lgkmcnt(0)
	v_cmp_lt_i64_e64 s3, v[34:35], v[32:33]
                                        ; implicit-def: $vgpr38_vgpr39
	s_delay_alu instid0(VALU_DEP_3) | instskip(NEXT) | instid1(VALU_DEP_3)
	v_cndmask_b32_e64 v59, v36, v57, s2
	v_cndmask_b32_e64 v60, v58, v37, s2
	s_delay_alu instid0(VALU_DEP_2) | instskip(NEXT) | instid1(VALU_DEP_2)
	v_cmp_lt_i32_e64 s4, 15, v59
	v_cmp_gt_i32_e64 s5, 32, v60
	s_delay_alu instid0(VALU_DEP_2)
	s_or_b32 s3, s4, s3
	s_delay_alu instid0(VALU_DEP_1) | instid1(SALU_CYCLE_1)
	s_and_b32 s3, s5, s3
	s_delay_alu instid0(SALU_CYCLE_1) | instskip(NEXT) | instid1(SALU_CYCLE_1)
	s_xor_b32 s4, s3, -1
	s_and_saveexec_b32 s5, s4
	s_delay_alu instid0(SALU_CYCLE_1)
	s_xor_b32 s4, exec_lo, s5
	s_cbranch_execz .LBB153_110
; %bb.109:
	v_lshl_add_u32 v36, v59, 3, v51
	ds_load_b64 v[38:39], v36 offset:8
.LBB153_110:
	s_or_saveexec_b32 s4, s4
	v_dual_mov_b32 v45, v35 :: v_dual_mov_b32 v44, v34
	s_xor_b32 exec_lo, exec_lo, s4
	s_cbranch_execz .LBB153_112
; %bb.111:
	v_lshl_add_u32 v36, v60, 3, v51
	s_waitcnt lgkmcnt(0)
	v_dual_mov_b32 v39, v33 :: v_dual_mov_b32 v38, v32
	ds_load_b64 v[44:45], v36 offset:8
.LBB153_112:
	s_or_b32 exec_lo, exec_lo, s4
	v_add_nc_u32_e32 v36, 1, v59
	v_add_nc_u32_e32 v37, 1, v60
	s_waitcnt lgkmcnt(0)
	v_cmp_lt_i64_e64 s4, v[44:45], v[38:39]
                                        ; implicit-def: $vgpr46_vgpr47
	s_delay_alu instid0(VALU_DEP_3) | instskip(NEXT) | instid1(VALU_DEP_3)
	v_cndmask_b32_e64 v63, v36, v59, s3
	v_cndmask_b32_e64 v64, v60, v37, s3
	s_delay_alu instid0(VALU_DEP_2) | instskip(NEXT) | instid1(VALU_DEP_2)
	v_cmp_lt_i32_e64 s5, 15, v63
	v_cmp_gt_i32_e64 s6, 32, v64
	s_delay_alu instid0(VALU_DEP_2)
	s_or_b32 s4, s5, s4
	s_delay_alu instid0(VALU_DEP_1) | instid1(SALU_CYCLE_1)
	s_and_b32 s4, s6, s4
	s_delay_alu instid0(SALU_CYCLE_1) | instskip(NEXT) | instid1(SALU_CYCLE_1)
	s_xor_b32 s5, s4, -1
	s_and_saveexec_b32 s6, s5
	s_delay_alu instid0(SALU_CYCLE_1)
	s_xor_b32 s5, exec_lo, s6
	s_cbranch_execz .LBB153_114
; %bb.113:
	v_lshl_add_u32 v36, v63, 3, v51
	ds_load_b64 v[46:47], v36 offset:8
.LBB153_114:
	s_or_saveexec_b32 s5, s5
	v_dual_mov_b32 v36, v44 :: v_dual_mov_b32 v37, v45
	s_xor_b32 exec_lo, exec_lo, s5
	s_cbranch_execz .LBB153_116
; %bb.115:
	v_lshl_add_u32 v36, v64, 3, v51
	s_waitcnt lgkmcnt(0)
	v_dual_mov_b32 v47, v39 :: v_dual_mov_b32 v46, v38
	ds_load_b64 v[36:37], v36 offset:8
.LBB153_116:
	s_or_b32 exec_lo, exec_lo, s5
	v_add_nc_u32_e32 v40, 1, v63
	v_add_nc_u32_e32 v41, 1, v64
	s_waitcnt lgkmcnt(0)
	v_cmp_ge_i64_e64 s5, v[36:37], v[46:47]
                                        ; implicit-def: $vgpr62
	s_delay_alu instid0(VALU_DEP_3) | instskip(NEXT) | instid1(VALU_DEP_3)
	v_cndmask_b32_e64 v66, v40, v63, s4
	v_cndmask_b32_e64 v61, v64, v41, s4
                                        ; implicit-def: $vgpr40_vgpr41
	s_delay_alu instid0(VALU_DEP_2) | instskip(NEXT) | instid1(VALU_DEP_2)
	v_cmp_gt_i32_e64 s6, 16, v66
	v_cmp_lt_i32_e64 s7, 31, v61
	s_delay_alu instid0(VALU_DEP_2)
	s_and_b32 s5, s6, s5
	s_delay_alu instid0(VALU_DEP_1) | instid1(SALU_CYCLE_1)
	s_or_b32 s5, s7, s5
	s_delay_alu instid0(SALU_CYCLE_1) | instskip(NEXT) | instid1(SALU_CYCLE_1)
	s_and_saveexec_b32 s6, s5
	s_xor_b32 s5, exec_lo, s6
	s_cbranch_execz .LBB153_118
; %bb.117:
	v_lshl_add_u32 v40, v66, 3, v51
	v_add_nc_u32_e32 v62, 1, v66
	ds_load_b64 v[40:41], v40 offset:8
.LBB153_118:
	s_or_saveexec_b32 s5, s5
	v_dual_mov_b32 v42, v46 :: v_dual_mov_b32 v43, v47
	v_mov_b32_e32 v65, v66
	s_xor_b32 exec_lo, exec_lo, s5
	s_cbranch_execz .LBB153_120
; %bb.119:
	s_waitcnt lgkmcnt(0)
	v_lshl_add_u32 v40, v61, 3, v51
	v_dual_mov_b32 v43, v37 :: v_dual_mov_b32 v42, v36
	v_mov_b32_e32 v65, v61
	ds_load_b64 v[67:68], v40 offset:8
	v_add_nc_u32_e32 v40, 1, v61
	s_delay_alu instid0(VALU_DEP_1)
	v_dual_mov_b32 v62, v66 :: v_dual_mov_b32 v61, v40
	v_dual_mov_b32 v40, v46 :: v_dual_mov_b32 v41, v47
	s_waitcnt lgkmcnt(0)
	v_dual_mov_b32 v36, v67 :: v_dual_mov_b32 v37, v68
.LBB153_120:
	s_or_b32 exec_lo, exec_lo, s5
	v_cndmask_b32_e64 v25, v25, v27, s1
	v_cndmask_b32_e64 v24, v24, v26, s1
	v_cndmask_b32_e64 v21, v21, v23, s0
	v_cndmask_b32_e64 v23, v55, v56, s1
	s_waitcnt lgkmcnt(0)
	v_cmp_lt_i64_e64 s1, v[36:37], v[40:41]
	v_cndmask_b32_e64 v20, v20, v22, s0
	v_cndmask_b32_e64 v26, v53, v54, s0
	v_cmp_lt_i32_e64 s0, 15, v62
	v_dual_cndmask_b32 v17, v17, v19 :: v_dual_cndmask_b32 v16, v16, v18
	v_cndmask_b32_e32 v27, v48, v52, vcc_lo
	v_cmp_gt_i32_e32 vcc_lo, 32, v61
	v_cndmask_b32_e64 v22, v57, v58, s2
	s_or_b32 s0, s0, s1
	; wave barrier
	s_delay_alu instid0(SALU_CYCLE_1)
	s_and_b32 vcc_lo, vcc_lo, s0
	ds_store_2addr_b64 v50, v[12:13], v[14:15] offset1:1
	ds_store_2addr_b64 v50, v[8:9], v[10:11] offset0:2 offset1:3
	ds_store_2addr_b64 v50, v[0:1], v[4:5] offset0:4 offset1:5
	;; [unrolled: 1-line block ×3, first 2 shown]
	v_lshl_add_u32 v6, v22, 3, v51
	v_cndmask_b32_e32 v22, v41, v37, vcc_lo
	v_lshl_add_u32 v8, v27, 3, v51
	v_lshl_add_u32 v2, v26, 3, v51
	; wave barrier
	v_lshl_add_u32 v4, v23, 3, v51
	ds_load_b64 v[0:1], v8
	ds_load_b64 v[2:3], v2
	v_cndmask_b32_e64 v19, v59, v60, s3
	v_cndmask_b32_e64 v18, v63, v64, s4
	ds_load_b64 v[4:5], v4
	ds_load_b64 v[6:7], v6
	v_cndmask_b32_e32 v8, v62, v61, vcc_lo
	v_lshl_add_u32 v12, v65, 3, v51
	v_lshl_add_u32 v9, v19, 3, v51
	;; [unrolled: 1-line block ×3, first 2 shown]
	v_cndmask_b32_e32 v18, v40, v36, vcc_lo
	v_lshl_add_u32 v14, v8, 3, v51
	ds_load_b64 v[8:9], v9
	ds_load_b64 v[10:11], v10
	;; [unrolled: 1-line block ×4, first 2 shown]
	v_cndmask_b32_e64 v28, v28, v30, s2
	v_cndmask_b32_e64 v29, v29, v31, s2
	;; [unrolled: 1-line block ×6, first 2 shown]
	s_add_u32 s0, s10, s12
	s_waitcnt lgkmcnt(7)
	v_add_co_u32 v0, vcc_lo, v0, v16
	v_add_co_ci_u32_e32 v1, vcc_lo, v1, v17, vcc_lo
	s_waitcnt lgkmcnt(6)
	v_add_co_u32 v2, vcc_lo, v2, v20
	v_add_co_ci_u32_e32 v3, vcc_lo, v3, v21, vcc_lo
	;; [unrolled: 3-line block ×7, first 2 shown]
	v_lshlrev_b32_e32 v16, 3, v49
	s_waitcnt lgkmcnt(0)
	v_add_co_u32 v14, vcc_lo, v14, v18
	v_add_co_ci_u32_e32 v15, vcc_lo, v15, v22, vcc_lo
	s_addc_u32 s1, s11, s13
	s_clause 0x3
	global_store_b128 v16, v[0:3], s[0:1]
	global_store_b128 v16, v[4:7], s[0:1] offset:16
	global_store_b128 v16, v[8:11], s[0:1] offset:32
	;; [unrolled: 1-line block ×3, first 2 shown]
	s_nop 0
	s_sendmsg sendmsg(MSG_DEALLOC_VGPRS)
	s_endpgm
	.section	.rodata,"a",@progbits
	.p2align	6, 0x0
	.amdhsa_kernel _Z10sort_pairsILj256ELj4ELj8ExN10test_utils4lessEEvPKT2_PS2_T3_
		.amdhsa_group_segment_fixed_size 16896
		.amdhsa_private_segment_fixed_size 0
		.amdhsa_kernarg_size 20
		.amdhsa_user_sgpr_count 15
		.amdhsa_user_sgpr_dispatch_ptr 0
		.amdhsa_user_sgpr_queue_ptr 0
		.amdhsa_user_sgpr_kernarg_segment_ptr 1
		.amdhsa_user_sgpr_dispatch_id 0
		.amdhsa_user_sgpr_private_segment_size 0
		.amdhsa_wavefront_size32 1
		.amdhsa_uses_dynamic_stack 0
		.amdhsa_enable_private_segment 0
		.amdhsa_system_sgpr_workgroup_id_x 1
		.amdhsa_system_sgpr_workgroup_id_y 0
		.amdhsa_system_sgpr_workgroup_id_z 0
		.amdhsa_system_sgpr_workgroup_info 0
		.amdhsa_system_vgpr_workitem_id 0
		.amdhsa_next_free_vgpr 70
		.amdhsa_next_free_sgpr 16
		.amdhsa_reserve_vcc 1
		.amdhsa_float_round_mode_32 0
		.amdhsa_float_round_mode_16_64 0
		.amdhsa_float_denorm_mode_32 3
		.amdhsa_float_denorm_mode_16_64 3
		.amdhsa_dx10_clamp 1
		.amdhsa_ieee_mode 1
		.amdhsa_fp16_overflow 0
		.amdhsa_workgroup_processor_mode 1
		.amdhsa_memory_ordered 1
		.amdhsa_forward_progress 0
		.amdhsa_shared_vgpr_count 0
		.amdhsa_exception_fp_ieee_invalid_op 0
		.amdhsa_exception_fp_denorm_src 0
		.amdhsa_exception_fp_ieee_div_zero 0
		.amdhsa_exception_fp_ieee_overflow 0
		.amdhsa_exception_fp_ieee_underflow 0
		.amdhsa_exception_fp_ieee_inexact 0
		.amdhsa_exception_int_div_zero 0
	.end_amdhsa_kernel
	.section	.text._Z10sort_pairsILj256ELj4ELj8ExN10test_utils4lessEEvPKT2_PS2_T3_,"axG",@progbits,_Z10sort_pairsILj256ELj4ELj8ExN10test_utils4lessEEvPKT2_PS2_T3_,comdat
.Lfunc_end153:
	.size	_Z10sort_pairsILj256ELj4ELj8ExN10test_utils4lessEEvPKT2_PS2_T3_, .Lfunc_end153-_Z10sort_pairsILj256ELj4ELj8ExN10test_utils4lessEEvPKT2_PS2_T3_
                                        ; -- End function
	.section	.AMDGPU.csdata,"",@progbits
; Kernel info:
; codeLenInByte = 5796
; NumSgprs: 18
; NumVgprs: 70
; ScratchSize: 0
; MemoryBound: 1
; FloatMode: 240
; IeeeMode: 1
; LDSByteSize: 16896 bytes/workgroup (compile time only)
; SGPRBlocks: 2
; VGPRBlocks: 8
; NumSGPRsForWavesPerEU: 18
; NumVGPRsForWavesPerEU: 70
; Occupancy: 14
; WaveLimiterHint : 0
; COMPUTE_PGM_RSRC2:SCRATCH_EN: 0
; COMPUTE_PGM_RSRC2:USER_SGPR: 15
; COMPUTE_PGM_RSRC2:TRAP_HANDLER: 0
; COMPUTE_PGM_RSRC2:TGID_X_EN: 1
; COMPUTE_PGM_RSRC2:TGID_Y_EN: 0
; COMPUTE_PGM_RSRC2:TGID_Z_EN: 0
; COMPUTE_PGM_RSRC2:TIDIG_COMP_CNT: 0
	.section	.text._Z19sort_keys_segmentedILj256ELj4ELj8ExN10test_utils4lessEEvPKT2_PS2_PKjT3_,"axG",@progbits,_Z19sort_keys_segmentedILj256ELj4ELj8ExN10test_utils4lessEEvPKT2_PS2_PKjT3_,comdat
	.protected	_Z19sort_keys_segmentedILj256ELj4ELj8ExN10test_utils4lessEEvPKT2_PS2_PKjT3_ ; -- Begin function _Z19sort_keys_segmentedILj256ELj4ELj8ExN10test_utils4lessEEvPKT2_PS2_PKjT3_
	.globl	_Z19sort_keys_segmentedILj256ELj4ELj8ExN10test_utils4lessEEvPKT2_PS2_PKjT3_
	.p2align	8
	.type	_Z19sort_keys_segmentedILj256ELj4ELj8ExN10test_utils4lessEEvPKT2_PS2_PKjT3_,@function
_Z19sort_keys_segmentedILj256ELj4ELj8ExN10test_utils4lessEEvPKT2_PS2_PKjT3_: ; @_Z19sort_keys_segmentedILj256ELj4ELj8ExN10test_utils4lessEEvPKT2_PS2_PKjT3_
; %bb.0:
	s_clause 0x1
	s_load_b64 s[2:3], s[0:1], 0x10
	s_load_b128 s[16:19], s[0:1], 0x0
	v_lshrrev_b32_e32 v24, 2, v0
	s_delay_alu instid0(VALU_DEP_1) | instskip(SKIP_1) | instid1(VALU_DEP_1)
	v_lshl_or_b32 v0, s15, 6, v24
	v_mov_b32_e32 v1, 0
	v_lshlrev_b64 v[2:3], 2, v[0:1]
	v_lshlrev_b32_e32 v0, 5, v0
	s_delay_alu instid0(VALU_DEP_1) | instskip(SKIP_1) | instid1(VALU_DEP_3)
	v_lshlrev_b64 v[0:1], 3, v[0:1]
	s_waitcnt lgkmcnt(0)
	v_add_co_u32 v2, vcc_lo, s2, v2
	s_delay_alu instid0(VALU_DEP_4) | instskip(SKIP_2) | instid1(VALU_DEP_1)
	v_add_co_ci_u32_e32 v3, vcc_lo, s3, v3, vcc_lo
	global_load_b32 v35, v[2:3], off
	v_mbcnt_lo_u32_b32 v2, -1, 0
	v_lshlrev_b32_e32 v25, 3, v2
	v_add_co_u32 v2, vcc_lo, s16, v0
	v_add_co_ci_u32_e32 v3, vcc_lo, s17, v1, vcc_lo
	s_delay_alu instid0(VALU_DEP_3) | instskip(NEXT) | instid1(VALU_DEP_1)
	v_and_b32_e32 v36, 24, v25
	v_lshlrev_b32_e32 v34, 3, v36
	s_delay_alu instid0(VALU_DEP_1) | instskip(NEXT) | instid1(VALU_DEP_4)
	v_add_co_u32 v4, vcc_lo, v2, v34
	v_add_co_ci_u32_e32 v5, vcc_lo, 0, v3, vcc_lo
                                        ; implicit-def: $vgpr2_vgpr3
	s_waitcnt vmcnt(0)
	v_cmp_lt_u32_e32 vcc_lo, v36, v35
	s_and_saveexec_b32 s0, vcc_lo
	s_cbranch_execz .LBB154_2
; %bb.1:
	global_load_b64 v[2:3], v[4:5], off
.LBB154_2:
	s_or_b32 exec_lo, exec_lo, s0
	v_or_b32_e32 v10, 1, v36
                                        ; implicit-def: $vgpr6_vgpr7
	s_delay_alu instid0(VALU_DEP_1) | instskip(NEXT) | instid1(VALU_DEP_1)
	v_cmp_lt_u32_e64 s0, v10, v35
	s_and_saveexec_b32 s1, s0
	s_cbranch_execz .LBB154_4
; %bb.3:
	global_load_b64 v[6:7], v[4:5], off offset:8
.LBB154_4:
	s_or_b32 exec_lo, exec_lo, s1
	v_or_b32_e32 v11, 2, v36
                                        ; implicit-def: $vgpr8_vgpr9
	s_delay_alu instid0(VALU_DEP_1) | instskip(NEXT) | instid1(VALU_DEP_1)
	v_cmp_lt_u32_e64 s1, v11, v35
	s_and_saveexec_b32 s2, s1
	s_cbranch_execz .LBB154_6
; %bb.5:
	global_load_b64 v[8:9], v[4:5], off offset:16
.LBB154_6:
	s_or_b32 exec_lo, exec_lo, s2
	v_or_b32_e32 v14, 3, v36
                                        ; implicit-def: $vgpr12_vgpr13
	s_delay_alu instid0(VALU_DEP_1) | instskip(NEXT) | instid1(VALU_DEP_1)
	v_cmp_lt_u32_e64 s2, v14, v35
	s_and_saveexec_b32 s3, s2
	s_cbranch_execz .LBB154_8
; %bb.7:
	global_load_b64 v[12:13], v[4:5], off offset:24
.LBB154_8:
	s_or_b32 exec_lo, exec_lo, s3
	v_or_b32_e32 v15, 4, v36
                                        ; implicit-def: $vgpr16_vgpr17
	s_delay_alu instid0(VALU_DEP_1) | instskip(NEXT) | instid1(VALU_DEP_1)
	v_cmp_lt_u32_e64 s3, v15, v35
	s_and_saveexec_b32 s4, s3
	s_cbranch_execz .LBB154_10
; %bb.9:
	global_load_b64 v[16:17], v[4:5], off offset:32
.LBB154_10:
	s_or_b32 exec_lo, exec_lo, s4
	v_or_b32_e32 v26, 5, v36
                                        ; implicit-def: $vgpr18_vgpr19
	s_delay_alu instid0(VALU_DEP_1) | instskip(NEXT) | instid1(VALU_DEP_1)
	v_cmp_lt_u32_e64 s4, v26, v35
	s_and_saveexec_b32 s5, s4
	s_cbranch_execz .LBB154_12
; %bb.11:
	global_load_b64 v[18:19], v[4:5], off offset:40
.LBB154_12:
	s_or_b32 exec_lo, exec_lo, s5
	v_or_b32_e32 v27, 6, v36
                                        ; implicit-def: $vgpr20_vgpr21
	s_delay_alu instid0(VALU_DEP_1) | instskip(NEXT) | instid1(VALU_DEP_1)
	v_cmp_lt_u32_e64 s5, v27, v35
	s_and_saveexec_b32 s6, s5
	s_cbranch_execz .LBB154_14
; %bb.13:
	global_load_b64 v[20:21], v[4:5], off offset:48
.LBB154_14:
	s_or_b32 exec_lo, exec_lo, s6
	v_or_b32_e32 v28, 7, v36
                                        ; implicit-def: $vgpr22_vgpr23
	s_delay_alu instid0(VALU_DEP_1) | instskip(NEXT) | instid1(VALU_DEP_1)
	v_cmp_lt_u32_e64 s6, v28, v35
	s_and_saveexec_b32 s7, s6
	s_cbranch_execz .LBB154_16
; %bb.15:
	global_load_b64 v[22:23], v[4:5], off offset:56
.LBB154_16:
	s_or_b32 exec_lo, exec_lo, s7
	v_cmp_lt_i32_e64 s7, v10, v35
	v_cmp_lt_i32_e64 s8, v11, v35
	;; [unrolled: 1-line block ×3, first 2 shown]
	s_mov_b32 s10, exec_lo
	s_waitcnt vmcnt(0)
	v_cndmask_b32_e64 v11, 0x7fffffff, v7, s7
	v_cndmask_b32_e64 v10, -1, v6, s7
	v_cmp_lt_i32_e64 s7, v15, v35
	v_cndmask_b32_e64 v7, 0x7fffffff, v9, s8
	v_cndmask_b32_e64 v6, -1, v8, s8
	v_cndmask_b32_e64 v15, 0x7fffffff, v13, s9
	v_cndmask_b32_e64 v14, -1, v12, s9
	v_cndmask_b32_e64 v9, 0x7fffffff, v17, s7
	v_cmp_lt_i32_e64 s8, v26, v35
	v_cndmask_b32_e64 v8, -1, v16, s7
	v_cmp_lt_i32_e64 s7, v27, v35
	v_cmp_lt_i32_e64 s9, v28, v35
	s_delay_alu instid0(VALU_DEP_4) | instskip(SKIP_1) | instid1(VALU_DEP_4)
	v_cndmask_b32_e64 v17, 0x7fffffff, v19, s8
	v_cndmask_b32_e64 v16, -1, v18, s8
	v_cndmask_b32_e64 v13, 0x7fffffff, v21, s7
	v_cndmask_b32_e64 v12, -1, v20, s7
	;; [unrolled: 2-line block ×3, first 2 shown]
	v_cmpx_lt_i32_e64 v36, v35
	s_cbranch_execz .LBB154_18
; %bb.17:
	v_cmp_gt_i64_e64 s7, v[10:11], v[2:3]
	v_cmp_lt_i64_e64 s8, v[10:11], v[2:3]
	v_cmp_gt_i64_e64 s9, v[14:15], v[6:7]
	s_delay_alu instid0(VALU_DEP_3)
	v_cndmask_b32_e64 v19, v3, v11, s7
	v_cndmask_b32_e64 v18, v2, v10, s7
	v_cmp_lt_i64_e64 s7, v[14:15], v[6:7]
	v_cndmask_b32_e64 v3, v3, v11, s8
	v_cndmask_b32_e64 v2, v2, v10, s8
	v_cmp_gt_i64_e64 s8, v[16:17], v[8:9]
	v_cndmask_b32_e64 v11, v7, v15, s9
	v_cndmask_b32_e64 v10, v6, v14, s9
	;; [unrolled: 1-line block ×3, first 2 shown]
	v_cmp_lt_i64_e64 s9, v[16:17], v[8:9]
	v_cndmask_b32_e64 v6, v6, v14, s7
	v_cmp_gt_i64_e64 s7, v[4:5], v[12:13]
	v_cndmask_b32_e64 v15, v9, v17, s8
	v_cndmask_b32_e64 v14, v8, v16, s8
	v_cmp_lt_i64_e64 s8, v[4:5], v[12:13]
	v_cndmask_b32_e64 v9, v9, v17, s9
	v_cndmask_b32_e64 v8, v8, v16, s9
	;; [unrolled: 1-line block ×4, first 2 shown]
	v_cmp_gt_i64_e64 s7, v[6:7], v[18:19]
	v_cndmask_b32_e64 v5, v13, v5, s8
	v_cmp_lt_i64_e64 s9, v[6:7], v[18:19]
	v_cndmask_b32_e64 v4, v12, v4, s8
	v_cmp_gt_i64_e64 s8, v[8:9], v[10:11]
	v_cndmask_b32_e64 v13, v19, v7, s7
	v_cndmask_b32_e64 v12, v18, v6, s7
	v_cmp_lt_i64_e64 s7, v[8:9], v[10:11]
	v_cndmask_b32_e64 v20, v18, v6, s9
	v_cndmask_b32_e64 v21, v19, v7, s9
	;; [unrolled: 1-line block ×4, first 2 shown]
	v_cmp_gt_i64_e64 s8, v[4:5], v[14:15]
	v_cndmask_b32_e64 v9, v11, v9, s7
	v_cmp_lt_i64_e64 s9, v[4:5], v[14:15]
	v_cndmask_b32_e64 v8, v10, v8, s7
	v_cmp_lt_i64_e64 s7, v[6:7], v[2:3]
	v_cndmask_b32_e64 v22, v14, v4, s8
	v_cndmask_b32_e64 v23, v15, v5, s8
	s_delay_alu instid0(VALU_DEP_4)
	v_cmp_gt_i64_e64 s8, v[8:9], v[12:13]
	v_cndmask_b32_e64 v5, v15, v5, s9
	v_cndmask_b32_e64 v4, v14, v4, s9
	;; [unrolled: 1-line block ×6, first 2 shown]
	v_cmp_lt_i64_e64 s7, v[8:9], v[12:13]
	v_cndmask_b32_e64 v11, v13, v9, s8
	v_cndmask_b32_e64 v10, v12, v8, s8
	v_cmp_gt_i64_e64 s8, v[4:5], v[18:19]
	v_cmp_lt_i64_e64 s9, v[4:5], v[18:19]
	v_cndmask_b32_e64 v9, v13, v9, s7
	v_cndmask_b32_e64 v8, v12, v8, s7
	v_cmp_gt_i64_e64 s7, v[14:15], v[16:17]
	v_cndmask_b32_e64 v13, v19, v5, s8
	v_cndmask_b32_e64 v12, v18, v4, s8
	;; [unrolled: 1-line block ×3, first 2 shown]
	v_cmp_gt_i64_e64 s8, v[8:9], v[6:7]
	v_cndmask_b32_e64 v4, v18, v4, s9
	v_cndmask_b32_e64 v15, v17, v23, s7
	;; [unrolled: 1-line block ×5, first 2 shown]
	v_cmp_lt_i64_e64 s7, v[8:9], v[6:7]
	v_cndmask_b32_e64 v19, v7, v9, s8
	v_cmp_gt_i64_e64 s9, v[4:5], v[10:11]
	v_cndmask_b32_e64 v18, v6, v8, s8
	v_cmp_lt_i64_e64 s8, v[4:5], v[10:11]
	v_cndmask_b32_e64 v7, v7, v9, s7
	v_cndmask_b32_e64 v6, v6, v8, s7
	v_cmp_gt_i64_e64 s7, v[16:17], v[12:13]
	v_cndmask_b32_e64 v9, v11, v5, s9
	v_cndmask_b32_e64 v8, v10, v4, s9
	v_cndmask_b32_e64 v5, v11, v5, s8
	v_cndmask_b32_e64 v4, v10, v4, s8
	v_cmp_lt_i64_e64 s8, v[16:17], v[12:13]
	v_cndmask_b32_e64 v11, v13, v17, s7
	v_cmp_gt_i64_e64 s9, v[6:7], v[2:3]
	v_cndmask_b32_e64 v10, v12, v16, s7
	v_cmp_lt_i64_e64 s7, v[6:7], v[2:3]
	v_cndmask_b32_e64 v13, v13, v17, s8
	v_cndmask_b32_e64 v12, v12, v16, s8
	v_cmp_gt_i64_e64 s8, v[4:5], v[18:19]
	v_cndmask_b32_e64 v17, v3, v7, s9
	v_cndmask_b32_e64 v16, v2, v6, s9
	v_cndmask_b32_e64 v7, v3, v7, s7
	v_cndmask_b32_e64 v6, v2, v6, s7
	;; [unrolled: 12-line block ×4, first 2 shown]
	v_cmp_lt_i64_e64 s7, v[8:9], v[2:3]
	v_cndmask_b32_e64 v21, v3, v9, s8
	v_cndmask_b32_e64 v20, v2, v8, s8
	v_cmp_lt_i64_e64 s8, v[10:11], v[18:19]
	v_cmp_gt_i64_e64 s9, v[10:11], v[18:19]
	v_cndmask_b32_e64 v9, v3, v9, s7
	v_cndmask_b32_e64 v8, v2, v8, s7
	v_cmp_lt_i64_e64 s7, v[4:5], v[6:7]
	v_cndmask_b32_e64 v5, v19, v11, s8
	v_cndmask_b32_e64 v4, v18, v10, s8
	v_cmp_lt_i64_e64 s8, v[16:17], v[6:7]
	v_cndmask_b32_e64 v26, v18, v10, s9
	v_cndmask_b32_e64 v27, v19, v11, s9
	;; [unrolled: 1-line block ×3, first 2 shown]
	v_cmp_gt_i64_e64 s9, v[16:17], v[6:7]
	v_cndmask_b32_e64 v11, v17, v7, s7
	v_cmp_gt_i64_e64 s7, v[8:9], v[14:15]
	v_cndmask_b32_e64 v3, v7, v17, s8
	v_cndmask_b32_e64 v2, v6, v16, s8
	v_cmp_lt_i64_e64 s8, v[8:9], v[14:15]
	v_cndmask_b32_e64 v7, v7, v17, s9
	v_cndmask_b32_e64 v6, v6, v16, s9
	;; [unrolled: 1-line block ×4, first 2 shown]
	v_cmp_gt_i64_e64 s7, v[4:5], v[20:21]
	v_cndmask_b32_e64 v9, v15, v9, s8
	v_cmp_lt_i64_e64 s9, v[4:5], v[20:21]
	v_cndmask_b32_e64 v8, v14, v8, s8
	v_cmp_gt_i64_e64 s8, v[18:19], v[12:13]
	v_cndmask_b32_e64 v23, v21, v5, s7
	v_cndmask_b32_e64 v22, v20, v4, s7
	s_delay_alu instid0(VALU_DEP_4)
	v_cmp_gt_i64_e64 s7, v[8:9], v[6:7]
	v_cndmask_b32_e64 v15, v21, v5, s9
	v_cndmask_b32_e64 v14, v20, v4, s9
	v_cmp_lt_i64_e64 s9, v[8:9], v[6:7]
	v_cndmask_b32_e64 v19, v27, v13, s8
	v_cndmask_b32_e64 v18, v26, v12, s8
	v_cndmask_b32_e64 v7, v7, v9, s7
	v_cndmask_b32_e64 v6, v6, v8, s7
	v_cmp_gt_i64_e64 s7, v[14:15], v[16:17]
	v_cndmask_b32_e64 v5, v13, v27, s8
	v_cndmask_b32_e64 v4, v12, v26, s8
	;; [unrolled: 1-line block ×4, first 2 shown]
	v_cmp_lt_i64_e64 s8, v[14:15], v[16:17]
	v_cndmask_b32_e64 v9, v17, v15, s7
	v_cmp_gt_i64_e64 s9, v[18:19], v[22:23]
	v_cndmask_b32_e64 v8, v16, v14, s7
	v_cmp_lt_i64_e64 s7, v[18:19], v[22:23]
	v_cndmask_b32_e64 v15, v17, v15, s8
	v_cndmask_b32_e64 v14, v16, v14, s8
	;; [unrolled: 1-line block ×6, first 2 shown]
.LBB154_18:
	s_or_b32 exec_lo, exec_lo, s10
	v_and_b32_e32 v18, 16, v25
	v_and_b32_e32 v20, 8, v25
	v_mad_u32_u24 v40, 0x108, v24, v34
	v_mul_u32_u24_e32 v37, 0x108, v24
	s_delay_alu instid0(VALU_DEP_4)
	v_min_i32_e32 v18, v35, v18
	; wave barrier
	ds_store_2addr_b64 v40, v[2:3], v[10:11] offset1:1
	ds_store_2addr_b64 v40, v[6:7], v[14:15] offset0:2 offset1:3
	s_mov_b32 s9, 0
	s_mov_b32 s8, exec_lo
	v_add_nc_u32_e32 v19, 8, v18
	v_lshlrev_b32_e32 v23, 3, v18
	ds_store_2addr_b64 v40, v[8:9], v[16:17] offset0:4 offset1:5
	ds_store_2addr_b64 v40, v[12:13], v[4:5] offset0:6 offset1:7
	; wave barrier
	v_min_i32_e32 v41, v35, v19
	v_mad_u32_u24 v2, 0x108, v24, v23
	s_delay_alu instid0(VALU_DEP_2) | instskip(SKIP_1) | instid1(VALU_DEP_2)
	v_add_nc_u32_e32 v19, 8, v41
	v_sub_nc_u32_e32 v21, v41, v18
	v_min_i32_e32 v42, v35, v19
	v_min_i32_e32 v19, v35, v20
	s_delay_alu instid0(VALU_DEP_2) | instskip(NEXT) | instid1(VALU_DEP_2)
	v_sub_nc_u32_e32 v20, v42, v41
	v_min_i32_e32 v21, v19, v21
	s_delay_alu instid0(VALU_DEP_2) | instskip(SKIP_1) | instid1(VALU_DEP_1)
	v_sub_nc_u32_e32 v22, v19, v20
	v_cmp_ge_i32_e64 s7, v19, v20
	v_cndmask_b32_e64 v20, 0, v22, s7
	s_delay_alu instid0(VALU_DEP_1)
	v_cmpx_lt_i32_e64 v20, v21
	s_cbranch_execz .LBB154_22
; %bb.19:
	v_lshlrev_b32_e32 v3, 3, v41
	v_lshlrev_b32_e32 v4, 3, v19
	s_delay_alu instid0(VALU_DEP_1)
	v_add3_u32 v3, v37, v3, v4
	.p2align	6
.LBB154_20:                             ; =>This Inner Loop Header: Depth=1
	v_sub_nc_u32_e32 v4, v21, v20
	s_delay_alu instid0(VALU_DEP_1) | instskip(NEXT) | instid1(VALU_DEP_1)
	v_lshrrev_b32_e32 v5, 31, v4
	v_add_nc_u32_e32 v4, v4, v5
	s_delay_alu instid0(VALU_DEP_1) | instskip(NEXT) | instid1(VALU_DEP_1)
	v_ashrrev_i32_e32 v4, 1, v4
	v_add_nc_u32_e32 v8, v4, v20
	s_delay_alu instid0(VALU_DEP_1) | instskip(SKIP_1) | instid1(VALU_DEP_2)
	v_not_b32_e32 v4, v8
	v_lshl_add_u32 v5, v8, 3, v2
	v_lshl_add_u32 v6, v4, 3, v3
	ds_load_b64 v[4:5], v5
	ds_load_b64 v[6:7], v6
	s_waitcnt lgkmcnt(0)
	v_cmp_lt_i64_e64 s7, v[6:7], v[4:5]
	v_add_nc_u32_e32 v4, 1, v8
	s_delay_alu instid0(VALU_DEP_2) | instskip(NEXT) | instid1(VALU_DEP_2)
	v_cndmask_b32_e64 v21, v21, v8, s7
	v_cndmask_b32_e64 v20, v4, v20, s7
	s_delay_alu instid0(VALU_DEP_1) | instskip(NEXT) | instid1(VALU_DEP_1)
	v_cmp_ge_i32_e64 s7, v20, v21
	s_or_b32 s9, s7, s9
	s_delay_alu instid0(SALU_CYCLE_1)
	s_and_not1_b32 exec_lo, exec_lo, s9
	s_cbranch_execnz .LBB154_20
; %bb.21:
	s_or_b32 exec_lo, exec_lo, s9
.LBB154_22:
	s_delay_alu instid0(SALU_CYCLE_1) | instskip(SKIP_3) | instid1(VALU_DEP_3)
	s_or_b32 exec_lo, exec_lo, s8
	v_add_nc_u32_e32 v3, v41, v19
	v_lshl_add_u32 v8, v20, 3, v2
	v_add_nc_u32_e32 v11, v20, v18
                                        ; implicit-def: $vgpr6_vgpr7
	v_sub_nc_u32_e32 v10, v3, v20
	s_delay_alu instid0(VALU_DEP_2) | instskip(NEXT) | instid1(VALU_DEP_2)
	v_cmp_le_i32_e64 s8, v41, v11
	v_lshl_add_u32 v12, v10, 3, v37
	v_cmp_gt_i32_e64 s9, v42, v10
	ds_load_b64 v[2:3], v8
	ds_load_b64 v[4:5], v12
	s_waitcnt lgkmcnt(0)
	v_cmp_lt_i64_e64 s7, v[4:5], v[2:3]
	s_delay_alu instid0(VALU_DEP_1) | instskip(NEXT) | instid1(SALU_CYCLE_1)
	s_or_b32 s7, s8, s7
	s_and_b32 s7, s9, s7
	s_delay_alu instid0(SALU_CYCLE_1) | instskip(NEXT) | instid1(SALU_CYCLE_1)
	s_xor_b32 s8, s7, -1
	s_and_saveexec_b32 s9, s8
	s_delay_alu instid0(SALU_CYCLE_1)
	s_xor_b32 s8, exec_lo, s9
	s_cbranch_execz .LBB154_24
; %bb.23:
	ds_load_b64 v[6:7], v8 offset:8
                                        ; implicit-def: $vgpr12
.LBB154_24:
	s_or_saveexec_b32 s8, s8
	v_dual_mov_b32 v9, v5 :: v_dual_mov_b32 v8, v4
	s_xor_b32 exec_lo, exec_lo, s8
	s_cbranch_execz .LBB154_26
; %bb.25:
	ds_load_b64 v[8:9], v12 offset:8
	s_waitcnt lgkmcnt(1)
	v_dual_mov_b32 v7, v3 :: v_dual_mov_b32 v6, v2
.LBB154_26:
	s_or_b32 exec_lo, exec_lo, s8
	v_add_nc_u32_e32 v12, 1, v11
	v_add_nc_u32_e32 v13, 1, v10
	s_waitcnt lgkmcnt(0)
	v_cmp_lt_i64_e64 s8, v[8:9], v[6:7]
	s_delay_alu instid0(VALU_DEP_3) | instskip(NEXT) | instid1(VALU_DEP_3)
	v_cndmask_b32_e64 v15, v12, v11, s7
	v_cndmask_b32_e64 v14, v10, v13, s7
                                        ; implicit-def: $vgpr10_vgpr11
	s_delay_alu instid0(VALU_DEP_2) | instskip(NEXT) | instid1(VALU_DEP_2)
	v_cmp_ge_i32_e64 s9, v15, v41
	v_cmp_lt_i32_e64 s10, v14, v42
	s_delay_alu instid0(VALU_DEP_2)
	s_or_b32 s8, s9, s8
	s_delay_alu instid0(VALU_DEP_1) | instid1(SALU_CYCLE_1)
	s_and_b32 s8, s10, s8
	s_delay_alu instid0(SALU_CYCLE_1) | instskip(NEXT) | instid1(SALU_CYCLE_1)
	s_xor_b32 s9, s8, -1
	s_and_saveexec_b32 s10, s9
	s_delay_alu instid0(SALU_CYCLE_1)
	s_xor_b32 s9, exec_lo, s10
	s_cbranch_execz .LBB154_28
; %bb.27:
	v_lshl_add_u32 v10, v15, 3, v37
	ds_load_b64 v[10:11], v10 offset:8
.LBB154_28:
	s_or_saveexec_b32 s9, s9
	v_dual_mov_b32 v13, v9 :: v_dual_mov_b32 v12, v8
	s_xor_b32 exec_lo, exec_lo, s9
	s_cbranch_execz .LBB154_30
; %bb.29:
	s_waitcnt lgkmcnt(0)
	v_lshl_add_u32 v10, v14, 3, v37
	ds_load_b64 v[12:13], v10 offset:8
	v_dual_mov_b32 v11, v7 :: v_dual_mov_b32 v10, v6
.LBB154_30:
	s_or_b32 exec_lo, exec_lo, s9
	v_add_nc_u32_e32 v16, 1, v15
	v_add_nc_u32_e32 v17, 1, v14
	s_waitcnt lgkmcnt(0)
	v_cmp_lt_i64_e64 s9, v[12:13], v[10:11]
	s_delay_alu instid0(VALU_DEP_3) | instskip(NEXT) | instid1(VALU_DEP_3)
	v_cndmask_b32_e64 v19, v16, v15, s8
	v_cndmask_b32_e64 v18, v14, v17, s8
                                        ; implicit-def: $vgpr14_vgpr15
	s_delay_alu instid0(VALU_DEP_2) | instskip(NEXT) | instid1(VALU_DEP_2)
	v_cmp_ge_i32_e64 s10, v19, v41
	v_cmp_lt_i32_e64 s11, v18, v42
	s_delay_alu instid0(VALU_DEP_2)
	s_or_b32 s9, s10, s9
	s_delay_alu instid0(VALU_DEP_1) | instid1(SALU_CYCLE_1)
	s_and_b32 s9, s11, s9
	s_delay_alu instid0(SALU_CYCLE_1) | instskip(NEXT) | instid1(SALU_CYCLE_1)
	s_xor_b32 s10, s9, -1
	s_and_saveexec_b32 s11, s10
	s_delay_alu instid0(SALU_CYCLE_1)
	s_xor_b32 s10, exec_lo, s11
	s_cbranch_execz .LBB154_32
; %bb.31:
	v_lshl_add_u32 v14, v19, 3, v37
	ds_load_b64 v[14:15], v14 offset:8
.LBB154_32:
	s_or_saveexec_b32 s10, s10
	v_dual_mov_b32 v17, v13 :: v_dual_mov_b32 v16, v12
	s_xor_b32 exec_lo, exec_lo, s10
	s_cbranch_execz .LBB154_34
; %bb.33:
	s_waitcnt lgkmcnt(0)
	v_lshl_add_u32 v14, v18, 3, v37
	ds_load_b64 v[16:17], v14 offset:8
	v_dual_mov_b32 v15, v11 :: v_dual_mov_b32 v14, v10
.LBB154_34:
	s_or_b32 exec_lo, exec_lo, s10
	v_add_nc_u32_e32 v20, 1, v19
	v_add_nc_u32_e32 v21, 1, v18
	s_waitcnt lgkmcnt(0)
	v_cmp_lt_i64_e64 s10, v[16:17], v[14:15]
	s_delay_alu instid0(VALU_DEP_3) | instskip(NEXT) | instid1(VALU_DEP_3)
	v_cndmask_b32_e64 v23, v20, v19, s9
	v_cndmask_b32_e64 v22, v18, v21, s9
                                        ; implicit-def: $vgpr18_vgpr19
	s_delay_alu instid0(VALU_DEP_2) | instskip(NEXT) | instid1(VALU_DEP_2)
	v_cmp_ge_i32_e64 s11, v23, v41
	v_cmp_lt_i32_e64 s12, v22, v42
	s_delay_alu instid0(VALU_DEP_2)
	s_or_b32 s10, s11, s10
	s_delay_alu instid0(VALU_DEP_1) | instid1(SALU_CYCLE_1)
	s_and_b32 s10, s12, s10
	s_delay_alu instid0(SALU_CYCLE_1) | instskip(NEXT) | instid1(SALU_CYCLE_1)
	s_xor_b32 s11, s10, -1
	s_and_saveexec_b32 s12, s11
	s_delay_alu instid0(SALU_CYCLE_1)
	s_xor_b32 s11, exec_lo, s12
	s_cbranch_execz .LBB154_36
; %bb.35:
	v_lshl_add_u32 v18, v23, 3, v37
	ds_load_b64 v[18:19], v18 offset:8
.LBB154_36:
	s_or_saveexec_b32 s11, s11
	v_dual_mov_b32 v21, v17 :: v_dual_mov_b32 v20, v16
	s_xor_b32 exec_lo, exec_lo, s11
	s_cbranch_execz .LBB154_38
; %bb.37:
	s_waitcnt lgkmcnt(0)
	v_lshl_add_u32 v18, v22, 3, v37
	ds_load_b64 v[20:21], v18 offset:8
	v_dual_mov_b32 v19, v15 :: v_dual_mov_b32 v18, v14
.LBB154_38:
	s_or_b32 exec_lo, exec_lo, s11
	v_add_nc_u32_e32 v24, 1, v23
	v_add_nc_u32_e32 v25, 1, v22
	s_waitcnt lgkmcnt(0)
	v_cmp_lt_i64_e64 s11, v[20:21], v[18:19]
	s_delay_alu instid0(VALU_DEP_3) | instskip(NEXT) | instid1(VALU_DEP_3)
	v_cndmask_b32_e64 v27, v24, v23, s10
	v_cndmask_b32_e64 v26, v22, v25, s10
                                        ; implicit-def: $vgpr22_vgpr23
	s_delay_alu instid0(VALU_DEP_2) | instskip(NEXT) | instid1(VALU_DEP_2)
	v_cmp_ge_i32_e64 s12, v27, v41
	v_cmp_lt_i32_e64 s13, v26, v42
	s_delay_alu instid0(VALU_DEP_2)
	s_or_b32 s11, s12, s11
	s_delay_alu instid0(VALU_DEP_1) | instid1(SALU_CYCLE_1)
	s_and_b32 s11, s13, s11
	s_delay_alu instid0(SALU_CYCLE_1) | instskip(NEXT) | instid1(SALU_CYCLE_1)
	s_xor_b32 s12, s11, -1
	s_and_saveexec_b32 s13, s12
	s_delay_alu instid0(SALU_CYCLE_1)
	s_xor_b32 s12, exec_lo, s13
	s_cbranch_execz .LBB154_40
; %bb.39:
	v_lshl_add_u32 v22, v27, 3, v37
	ds_load_b64 v[22:23], v22 offset:8
.LBB154_40:
	s_or_saveexec_b32 s12, s12
	v_dual_mov_b32 v25, v21 :: v_dual_mov_b32 v24, v20
	s_xor_b32 exec_lo, exec_lo, s12
	s_cbranch_execz .LBB154_42
; %bb.41:
	s_waitcnt lgkmcnt(0)
	v_lshl_add_u32 v22, v26, 3, v37
	ds_load_b64 v[24:25], v22 offset:8
	v_dual_mov_b32 v23, v19 :: v_dual_mov_b32 v22, v18
.LBB154_42:
	s_or_b32 exec_lo, exec_lo, s12
	v_add_nc_u32_e32 v28, 1, v27
	v_add_nc_u32_e32 v29, 1, v26
	s_waitcnt lgkmcnt(0)
	v_cmp_lt_i64_e64 s12, v[24:25], v[22:23]
	s_delay_alu instid0(VALU_DEP_3) | instskip(NEXT) | instid1(VALU_DEP_3)
	v_cndmask_b32_e64 v31, v28, v27, s11
	v_cndmask_b32_e64 v30, v26, v29, s11
                                        ; implicit-def: $vgpr26_vgpr27
	s_delay_alu instid0(VALU_DEP_2) | instskip(NEXT) | instid1(VALU_DEP_2)
	v_cmp_ge_i32_e64 s13, v31, v41
	v_cmp_lt_i32_e64 s14, v30, v42
	s_delay_alu instid0(VALU_DEP_2)
	s_or_b32 s12, s13, s12
	s_delay_alu instid0(VALU_DEP_1) | instid1(SALU_CYCLE_1)
	s_and_b32 s12, s14, s12
	s_delay_alu instid0(SALU_CYCLE_1) | instskip(NEXT) | instid1(SALU_CYCLE_1)
	s_xor_b32 s13, s12, -1
	s_and_saveexec_b32 s14, s13
	s_delay_alu instid0(SALU_CYCLE_1)
	s_xor_b32 s13, exec_lo, s14
	s_cbranch_execz .LBB154_44
; %bb.43:
	v_lshl_add_u32 v26, v31, 3, v37
	ds_load_b64 v[26:27], v26 offset:8
.LBB154_44:
	s_or_saveexec_b32 s13, s13
	v_dual_mov_b32 v29, v25 :: v_dual_mov_b32 v28, v24
	s_xor_b32 exec_lo, exec_lo, s13
	s_cbranch_execz .LBB154_46
; %bb.45:
	s_waitcnt lgkmcnt(0)
	v_lshl_add_u32 v26, v30, 3, v37
	ds_load_b64 v[28:29], v26 offset:8
	v_dual_mov_b32 v27, v23 :: v_dual_mov_b32 v26, v22
.LBB154_46:
	s_or_b32 exec_lo, exec_lo, s13
	v_add_nc_u32_e32 v32, 1, v31
	v_add_nc_u32_e32 v33, 1, v30
	s_waitcnt lgkmcnt(0)
	v_cmp_lt_i64_e64 s13, v[28:29], v[26:27]
	s_delay_alu instid0(VALU_DEP_3) | instskip(NEXT) | instid1(VALU_DEP_3)
	v_cndmask_b32_e64 v38, v32, v31, s12
	v_cndmask_b32_e64 v39, v30, v33, s12
                                        ; implicit-def: $vgpr30_vgpr31
	s_delay_alu instid0(VALU_DEP_2) | instskip(NEXT) | instid1(VALU_DEP_2)
	v_cmp_ge_i32_e64 s14, v38, v41
	v_cmp_lt_i32_e64 s15, v39, v42
	s_delay_alu instid0(VALU_DEP_2)
	s_or_b32 s13, s14, s13
	s_delay_alu instid0(VALU_DEP_1) | instid1(SALU_CYCLE_1)
	s_and_b32 s13, s15, s13
	s_delay_alu instid0(SALU_CYCLE_1) | instskip(NEXT) | instid1(SALU_CYCLE_1)
	s_xor_b32 s14, s13, -1
	s_and_saveexec_b32 s15, s14
	s_delay_alu instid0(SALU_CYCLE_1)
	s_xor_b32 s14, exec_lo, s15
	s_cbranch_execz .LBB154_48
; %bb.47:
	v_lshl_add_u32 v30, v38, 3, v37
	ds_load_b64 v[30:31], v30 offset:8
.LBB154_48:
	s_or_saveexec_b32 s14, s14
	v_dual_mov_b32 v33, v29 :: v_dual_mov_b32 v32, v28
	s_xor_b32 exec_lo, exec_lo, s14
	s_cbranch_execz .LBB154_50
; %bb.49:
	s_waitcnt lgkmcnt(0)
	v_lshl_add_u32 v30, v39, 3, v37
	ds_load_b64 v[32:33], v30 offset:8
	v_dual_mov_b32 v31, v27 :: v_dual_mov_b32 v30, v26
.LBB154_50:
	s_or_b32 exec_lo, exec_lo, s14
	v_min_i32_e32 v43, 0, v35
	v_add_nc_u32_e32 v44, 1, v39
	v_add_nc_u32_e32 v45, 1, v38
	v_cndmask_b32_e64 v27, v27, v29, s13
	v_cndmask_b32_e64 v26, v26, v28, s13
	v_add_nc_u32_e32 v29, 16, v43
	v_cndmask_b32_e64 v28, v39, v44, s13
	v_cndmask_b32_e64 v44, v45, v38, s13
	;; [unrolled: 1-line block ×4, first 2 shown]
	v_min_i32_e32 v38, v35, v29
	v_cndmask_b32_e64 v8, v6, v8, s8
	s_waitcnt lgkmcnt(0)
	v_cmp_lt_i64_e64 s8, v[32:33], v[30:31]
	v_cndmask_b32_e64 v10, v10, v12, s9
	v_cmp_ge_i32_e64 s9, v44, v41
	v_add_nc_u32_e32 v13, 16, v38
	v_cndmask_b32_e64 v15, v15, v17, s10
	v_cndmask_b32_e64 v14, v14, v16, s10
	v_cmp_lt_i32_e64 s10, v28, v42
	s_or_b32 s8, s9, s8
	v_min_i32_e32 v39, v35, v13
	v_cndmask_b32_e64 v13, v3, v5, s7
	v_min_i32_e32 v3, v35, v36
	v_cndmask_b32_e64 v12, v2, v4, s7
	s_and_b32 s7, s10, s8
	v_sub_nc_u32_e32 v5, v39, v38
	v_cndmask_b32_e64 v17, v31, v33, s7
	v_sub_nc_u32_e32 v4, v38, v43
	v_cndmask_b32_e64 v16, v30, v32, s7
	v_cndmask_b32_e64 v23, v23, v25, s12
	v_sub_nc_u32_e32 v2, v3, v5
	v_cmp_ge_i32_e64 s7, v3, v5
	v_cndmask_b32_e64 v22, v22, v24, s12
	v_cndmask_b32_e64 v19, v19, v21, s11
	;; [unrolled: 1-line block ×3, first 2 shown]
	v_min_i32_e32 v4, v3, v4
	v_cndmask_b32_e64 v6, 0, v2, s7
	v_lshl_add_u32 v2, v43, 3, v37
	s_mov_b32 s9, 0
	s_mov_b32 s8, exec_lo
	; wave barrier
	ds_store_2addr_b64 v40, v[12:13], v[8:9] offset1:1
	ds_store_2addr_b64 v40, v[10:11], v[14:15] offset0:2 offset1:3
	ds_store_2addr_b64 v40, v[18:19], v[22:23] offset0:4 offset1:5
	;; [unrolled: 1-line block ×3, first 2 shown]
	; wave barrier
	v_cmpx_lt_i32_e64 v6, v4
	s_cbranch_execz .LBB154_54
; %bb.51:
	v_lshlrev_b32_e32 v5, 3, v38
	v_lshlrev_b32_e32 v7, 3, v3
	s_delay_alu instid0(VALU_DEP_1)
	v_add3_u32 v5, v37, v5, v7
	.p2align	6
.LBB154_52:                             ; =>This Inner Loop Header: Depth=1
	v_sub_nc_u32_e32 v7, v4, v6
	s_delay_alu instid0(VALU_DEP_1) | instskip(NEXT) | instid1(VALU_DEP_1)
	v_lshrrev_b32_e32 v8, 31, v7
	v_add_nc_u32_e32 v7, v7, v8
	s_delay_alu instid0(VALU_DEP_1) | instskip(NEXT) | instid1(VALU_DEP_1)
	v_ashrrev_i32_e32 v7, 1, v7
	v_add_nc_u32_e32 v11, v7, v6
	s_delay_alu instid0(VALU_DEP_1) | instskip(SKIP_1) | instid1(VALU_DEP_2)
	v_not_b32_e32 v7, v11
	v_lshl_add_u32 v8, v11, 3, v2
	v_lshl_add_u32 v9, v7, 3, v5
	ds_load_b64 v[7:8], v8
	ds_load_b64 v[9:10], v9
	s_waitcnt lgkmcnt(0)
	v_cmp_lt_i64_e64 s7, v[9:10], v[7:8]
	v_add_nc_u32_e32 v7, 1, v11
	s_delay_alu instid0(VALU_DEP_2) | instskip(NEXT) | instid1(VALU_DEP_2)
	v_cndmask_b32_e64 v4, v4, v11, s7
	v_cndmask_b32_e64 v6, v7, v6, s7
	s_delay_alu instid0(VALU_DEP_1) | instskip(NEXT) | instid1(VALU_DEP_1)
	v_cmp_ge_i32_e64 s7, v6, v4
	s_or_b32 s9, s7, s9
	s_delay_alu instid0(SALU_CYCLE_1)
	s_and_not1_b32 exec_lo, exec_lo, s9
	s_cbranch_execnz .LBB154_52
; %bb.53:
	s_or_b32 exec_lo, exec_lo, s9
.LBB154_54:
	s_delay_alu instid0(SALU_CYCLE_1) | instskip(SKIP_3) | instid1(VALU_DEP_3)
	s_or_b32 exec_lo, exec_lo, s8
	v_add_nc_u32_e32 v3, v38, v3
	v_lshl_add_u32 v8, v6, 3, v2
	v_add_nc_u32_e32 v11, v6, v43
	v_sub_nc_u32_e32 v10, v3, v6
                                        ; implicit-def: $vgpr6_vgpr7
	s_delay_alu instid0(VALU_DEP_2) | instskip(NEXT) | instid1(VALU_DEP_2)
	v_cmp_le_i32_e64 s8, v38, v11
	v_lshl_add_u32 v12, v10, 3, v37
	v_cmp_gt_i32_e64 s9, v39, v10
	ds_load_b64 v[2:3], v8
	ds_load_b64 v[4:5], v12
	s_waitcnt lgkmcnt(0)
	v_cmp_lt_i64_e64 s7, v[4:5], v[2:3]
	s_delay_alu instid0(VALU_DEP_1) | instskip(NEXT) | instid1(SALU_CYCLE_1)
	s_or_b32 s7, s8, s7
	s_and_b32 s7, s9, s7
	s_delay_alu instid0(SALU_CYCLE_1) | instskip(NEXT) | instid1(SALU_CYCLE_1)
	s_xor_b32 s8, s7, -1
	s_and_saveexec_b32 s9, s8
	s_delay_alu instid0(SALU_CYCLE_1)
	s_xor_b32 s8, exec_lo, s9
	s_cbranch_execz .LBB154_56
; %bb.55:
	ds_load_b64 v[6:7], v8 offset:8
                                        ; implicit-def: $vgpr12
.LBB154_56:
	s_or_saveexec_b32 s8, s8
	v_dual_mov_b32 v9, v5 :: v_dual_mov_b32 v8, v4
	s_xor_b32 exec_lo, exec_lo, s8
	s_cbranch_execz .LBB154_58
; %bb.57:
	ds_load_b64 v[8:9], v12 offset:8
	s_waitcnt lgkmcnt(1)
	v_dual_mov_b32 v7, v3 :: v_dual_mov_b32 v6, v2
.LBB154_58:
	s_or_b32 exec_lo, exec_lo, s8
	v_add_nc_u32_e32 v12, 1, v11
	v_add_nc_u32_e32 v13, 1, v10
	s_waitcnt lgkmcnt(0)
	v_cmp_lt_i64_e64 s8, v[8:9], v[6:7]
	s_delay_alu instid0(VALU_DEP_3) | instskip(NEXT) | instid1(VALU_DEP_3)
	v_cndmask_b32_e64 v15, v12, v11, s7
	v_cndmask_b32_e64 v14, v10, v13, s7
                                        ; implicit-def: $vgpr10_vgpr11
	s_delay_alu instid0(VALU_DEP_2) | instskip(NEXT) | instid1(VALU_DEP_2)
	v_cmp_ge_i32_e64 s9, v15, v38
	v_cmp_lt_i32_e64 s10, v14, v39
	s_delay_alu instid0(VALU_DEP_2)
	s_or_b32 s8, s9, s8
	s_delay_alu instid0(VALU_DEP_1) | instid1(SALU_CYCLE_1)
	s_and_b32 s8, s10, s8
	s_delay_alu instid0(SALU_CYCLE_1) | instskip(NEXT) | instid1(SALU_CYCLE_1)
	s_xor_b32 s9, s8, -1
	s_and_saveexec_b32 s10, s9
	s_delay_alu instid0(SALU_CYCLE_1)
	s_xor_b32 s9, exec_lo, s10
	s_cbranch_execz .LBB154_60
; %bb.59:
	v_lshl_add_u32 v10, v15, 3, v37
	ds_load_b64 v[10:11], v10 offset:8
.LBB154_60:
	s_or_saveexec_b32 s9, s9
	v_dual_mov_b32 v13, v9 :: v_dual_mov_b32 v12, v8
	s_xor_b32 exec_lo, exec_lo, s9
	s_cbranch_execz .LBB154_62
; %bb.61:
	s_waitcnt lgkmcnt(0)
	v_lshl_add_u32 v10, v14, 3, v37
	ds_load_b64 v[12:13], v10 offset:8
	v_dual_mov_b32 v11, v7 :: v_dual_mov_b32 v10, v6
.LBB154_62:
	s_or_b32 exec_lo, exec_lo, s9
	v_add_nc_u32_e32 v16, 1, v15
	v_add_nc_u32_e32 v17, 1, v14
	s_waitcnt lgkmcnt(0)
	v_cmp_lt_i64_e64 s9, v[12:13], v[10:11]
	s_delay_alu instid0(VALU_DEP_3) | instskip(NEXT) | instid1(VALU_DEP_3)
	v_cndmask_b32_e64 v19, v16, v15, s8
	v_cndmask_b32_e64 v18, v14, v17, s8
                                        ; implicit-def: $vgpr14_vgpr15
	s_delay_alu instid0(VALU_DEP_2) | instskip(NEXT) | instid1(VALU_DEP_2)
	v_cmp_ge_i32_e64 s10, v19, v38
	v_cmp_lt_i32_e64 s11, v18, v39
	s_delay_alu instid0(VALU_DEP_2)
	s_or_b32 s9, s10, s9
	s_delay_alu instid0(VALU_DEP_1) | instid1(SALU_CYCLE_1)
	s_and_b32 s9, s11, s9
	s_delay_alu instid0(SALU_CYCLE_1) | instskip(NEXT) | instid1(SALU_CYCLE_1)
	s_xor_b32 s10, s9, -1
	s_and_saveexec_b32 s11, s10
	s_delay_alu instid0(SALU_CYCLE_1)
	s_xor_b32 s10, exec_lo, s11
	s_cbranch_execz .LBB154_64
; %bb.63:
	v_lshl_add_u32 v14, v19, 3, v37
	ds_load_b64 v[14:15], v14 offset:8
.LBB154_64:
	s_or_saveexec_b32 s10, s10
	v_dual_mov_b32 v17, v13 :: v_dual_mov_b32 v16, v12
	s_xor_b32 exec_lo, exec_lo, s10
	s_cbranch_execz .LBB154_66
; %bb.65:
	s_waitcnt lgkmcnt(0)
	v_lshl_add_u32 v14, v18, 3, v37
	ds_load_b64 v[16:17], v14 offset:8
	v_dual_mov_b32 v15, v11 :: v_dual_mov_b32 v14, v10
.LBB154_66:
	s_or_b32 exec_lo, exec_lo, s10
	v_add_nc_u32_e32 v20, 1, v19
	v_add_nc_u32_e32 v21, 1, v18
	s_waitcnt lgkmcnt(0)
	v_cmp_lt_i64_e64 s10, v[16:17], v[14:15]
	s_delay_alu instid0(VALU_DEP_3) | instskip(NEXT) | instid1(VALU_DEP_3)
	v_cndmask_b32_e64 v23, v20, v19, s9
	v_cndmask_b32_e64 v22, v18, v21, s9
                                        ; implicit-def: $vgpr18_vgpr19
	s_delay_alu instid0(VALU_DEP_2) | instskip(NEXT) | instid1(VALU_DEP_2)
	v_cmp_ge_i32_e64 s11, v23, v38
	v_cmp_lt_i32_e64 s12, v22, v39
	s_delay_alu instid0(VALU_DEP_2)
	s_or_b32 s10, s11, s10
	s_delay_alu instid0(VALU_DEP_1) | instid1(SALU_CYCLE_1)
	s_and_b32 s10, s12, s10
	s_delay_alu instid0(SALU_CYCLE_1) | instskip(NEXT) | instid1(SALU_CYCLE_1)
	s_xor_b32 s11, s10, -1
	s_and_saveexec_b32 s12, s11
	s_delay_alu instid0(SALU_CYCLE_1)
	s_xor_b32 s11, exec_lo, s12
	s_cbranch_execz .LBB154_68
; %bb.67:
	v_lshl_add_u32 v18, v23, 3, v37
	ds_load_b64 v[18:19], v18 offset:8
.LBB154_68:
	s_or_saveexec_b32 s11, s11
	v_dual_mov_b32 v21, v17 :: v_dual_mov_b32 v20, v16
	s_xor_b32 exec_lo, exec_lo, s11
	s_cbranch_execz .LBB154_70
; %bb.69:
	s_waitcnt lgkmcnt(0)
	v_lshl_add_u32 v18, v22, 3, v37
	ds_load_b64 v[20:21], v18 offset:8
	v_dual_mov_b32 v19, v15 :: v_dual_mov_b32 v18, v14
.LBB154_70:
	s_or_b32 exec_lo, exec_lo, s11
	v_add_nc_u32_e32 v24, 1, v23
	v_add_nc_u32_e32 v25, 1, v22
	s_waitcnt lgkmcnt(0)
	v_cmp_lt_i64_e64 s11, v[20:21], v[18:19]
	s_delay_alu instid0(VALU_DEP_3) | instskip(NEXT) | instid1(VALU_DEP_3)
	v_cndmask_b32_e64 v27, v24, v23, s10
	v_cndmask_b32_e64 v26, v22, v25, s10
                                        ; implicit-def: $vgpr22_vgpr23
	s_delay_alu instid0(VALU_DEP_2) | instskip(NEXT) | instid1(VALU_DEP_2)
	v_cmp_ge_i32_e64 s12, v27, v38
	v_cmp_lt_i32_e64 s13, v26, v39
	s_delay_alu instid0(VALU_DEP_2)
	s_or_b32 s11, s12, s11
	s_delay_alu instid0(VALU_DEP_1) | instid1(SALU_CYCLE_1)
	s_and_b32 s11, s13, s11
	s_delay_alu instid0(SALU_CYCLE_1) | instskip(NEXT) | instid1(SALU_CYCLE_1)
	s_xor_b32 s12, s11, -1
	s_and_saveexec_b32 s13, s12
	s_delay_alu instid0(SALU_CYCLE_1)
	s_xor_b32 s12, exec_lo, s13
	s_cbranch_execz .LBB154_72
; %bb.71:
	v_lshl_add_u32 v22, v27, 3, v37
	ds_load_b64 v[22:23], v22 offset:8
.LBB154_72:
	s_or_saveexec_b32 s12, s12
	v_dual_mov_b32 v25, v21 :: v_dual_mov_b32 v24, v20
	s_xor_b32 exec_lo, exec_lo, s12
	s_cbranch_execz .LBB154_74
; %bb.73:
	s_waitcnt lgkmcnt(0)
	v_lshl_add_u32 v22, v26, 3, v37
	ds_load_b64 v[24:25], v22 offset:8
	v_dual_mov_b32 v23, v19 :: v_dual_mov_b32 v22, v18
.LBB154_74:
	s_or_b32 exec_lo, exec_lo, s12
	v_add_nc_u32_e32 v28, 1, v27
	v_add_nc_u32_e32 v29, 1, v26
	s_waitcnt lgkmcnt(0)
	v_cmp_lt_i64_e64 s12, v[24:25], v[22:23]
	s_delay_alu instid0(VALU_DEP_3) | instskip(NEXT) | instid1(VALU_DEP_3)
	v_cndmask_b32_e64 v31, v28, v27, s11
	v_cndmask_b32_e64 v30, v26, v29, s11
                                        ; implicit-def: $vgpr26_vgpr27
	s_delay_alu instid0(VALU_DEP_2) | instskip(NEXT) | instid1(VALU_DEP_2)
	v_cmp_ge_i32_e64 s13, v31, v38
	v_cmp_lt_i32_e64 s14, v30, v39
	s_delay_alu instid0(VALU_DEP_2)
	s_or_b32 s12, s13, s12
	s_delay_alu instid0(VALU_DEP_1) | instid1(SALU_CYCLE_1)
	s_and_b32 s12, s14, s12
	s_delay_alu instid0(SALU_CYCLE_1) | instskip(NEXT) | instid1(SALU_CYCLE_1)
	s_xor_b32 s13, s12, -1
	s_and_saveexec_b32 s14, s13
	s_delay_alu instid0(SALU_CYCLE_1)
	s_xor_b32 s13, exec_lo, s14
	s_cbranch_execz .LBB154_76
; %bb.75:
	v_lshl_add_u32 v26, v31, 3, v37
	ds_load_b64 v[26:27], v26 offset:8
.LBB154_76:
	s_or_saveexec_b32 s13, s13
	v_dual_mov_b32 v29, v25 :: v_dual_mov_b32 v28, v24
	s_xor_b32 exec_lo, exec_lo, s13
	s_cbranch_execz .LBB154_78
; %bb.77:
	s_waitcnt lgkmcnt(0)
	v_lshl_add_u32 v26, v30, 3, v37
	ds_load_b64 v[28:29], v26 offset:8
	v_dual_mov_b32 v27, v23 :: v_dual_mov_b32 v26, v22
.LBB154_78:
	s_or_b32 exec_lo, exec_lo, s13
	v_add_nc_u32_e32 v32, 1, v31
	v_add_nc_u32_e32 v33, 1, v30
	s_waitcnt lgkmcnt(0)
	v_cmp_lt_i64_e64 s13, v[28:29], v[26:27]
                                        ; implicit-def: $vgpr36
	s_delay_alu instid0(VALU_DEP_3) | instskip(NEXT) | instid1(VALU_DEP_3)
	v_cndmask_b32_e64 v40, v32, v31, s12
	v_cndmask_b32_e64 v35, v30, v33, s12
                                        ; implicit-def: $vgpr30_vgpr31
	s_delay_alu instid0(VALU_DEP_2) | instskip(NEXT) | instid1(VALU_DEP_2)
	v_cmp_ge_i32_e64 s14, v40, v38
	v_cmp_lt_i32_e64 s15, v35, v39
	s_delay_alu instid0(VALU_DEP_2)
	s_or_b32 s13, s14, s13
	s_delay_alu instid0(VALU_DEP_1) | instid1(SALU_CYCLE_1)
	s_and_b32 s13, s15, s13
	s_delay_alu instid0(SALU_CYCLE_1) | instskip(NEXT) | instid1(SALU_CYCLE_1)
	s_xor_b32 s14, s13, -1
	s_and_saveexec_b32 s15, s14
	s_delay_alu instid0(SALU_CYCLE_1)
	s_xor_b32 s14, exec_lo, s15
	s_cbranch_execz .LBB154_80
; %bb.79:
	v_lshl_add_u32 v30, v40, 3, v37
	v_add_nc_u32_e32 v36, 1, v40
                                        ; implicit-def: $vgpr40
                                        ; implicit-def: $vgpr37
	ds_load_b64 v[30:31], v30 offset:8
.LBB154_80:
	s_or_saveexec_b32 s14, s14
	v_dual_mov_b32 v33, v29 :: v_dual_mov_b32 v32, v28
	s_xor_b32 exec_lo, exec_lo, s14
	s_cbranch_execz .LBB154_82
; %bb.81:
	s_waitcnt lgkmcnt(0)
	v_lshl_add_u32 v30, v35, 3, v37
	v_dual_mov_b32 v36, v40 :: v_dual_add_nc_u32 v35, 1, v35
	ds_load_b64 v[32:33], v30 offset:8
	v_dual_mov_b32 v31, v27 :: v_dual_mov_b32 v30, v26
.LBB154_82:
	s_or_b32 exec_lo, exec_lo, s14
	v_add_co_u32 v0, s14, s18, v0
	s_delay_alu instid0(VALU_DEP_1) | instskip(NEXT) | instid1(VALU_DEP_2)
	v_add_co_ci_u32_e64 v1, s14, s19, v1, s14
	v_add_co_u32 v0, s14, v0, v34
	s_delay_alu instid0(VALU_DEP_1)
	v_add_co_ci_u32_e64 v1, s14, 0, v1, s14
	s_and_saveexec_b32 s14, vcc_lo
	s_cbranch_execnz .LBB154_91
; %bb.83:
	s_or_b32 exec_lo, exec_lo, s14
	s_and_saveexec_b32 s7, s0
	s_cbranch_execnz .LBB154_92
.LBB154_84:
	s_or_b32 exec_lo, exec_lo, s7
	s_and_saveexec_b32 s0, s1
	s_cbranch_execnz .LBB154_93
.LBB154_85:
	s_or_b32 exec_lo, exec_lo, s0
	s_and_saveexec_b32 s0, s2
	s_cbranch_execnz .LBB154_94
.LBB154_86:
	s_or_b32 exec_lo, exec_lo, s0
	s_and_saveexec_b32 s0, s3
	s_cbranch_execnz .LBB154_95
.LBB154_87:
	s_or_b32 exec_lo, exec_lo, s0
	s_and_saveexec_b32 s0, s4
	s_cbranch_execnz .LBB154_96
.LBB154_88:
	s_or_b32 exec_lo, exec_lo, s0
	s_and_saveexec_b32 s0, s5
	s_cbranch_execnz .LBB154_97
.LBB154_89:
	s_or_b32 exec_lo, exec_lo, s0
	s_and_saveexec_b32 s0, s6
	s_cbranch_execnz .LBB154_98
.LBB154_90:
	s_nop 0
	s_sendmsg sendmsg(MSG_DEALLOC_VGPRS)
	s_endpgm
.LBB154_91:
	v_cndmask_b32_e64 v3, v3, v5, s7
	v_cndmask_b32_e64 v2, v2, v4, s7
	global_store_b64 v[0:1], v[2:3], off
	s_or_b32 exec_lo, exec_lo, s14
	s_and_saveexec_b32 s7, s0
	s_cbranch_execz .LBB154_84
.LBB154_92:
	v_cndmask_b32_e64 v3, v7, v9, s8
	v_cndmask_b32_e64 v2, v6, v8, s8
	global_store_b64 v[0:1], v[2:3], off offset:8
	s_or_b32 exec_lo, exec_lo, s7
	s_and_saveexec_b32 s0, s1
	s_cbranch_execz .LBB154_85
.LBB154_93:
	v_cndmask_b32_e64 v3, v11, v13, s9
	v_cndmask_b32_e64 v2, v10, v12, s9
	global_store_b64 v[0:1], v[2:3], off offset:16
	s_or_b32 exec_lo, exec_lo, s0
	s_and_saveexec_b32 s0, s2
	s_cbranch_execz .LBB154_86
.LBB154_94:
	v_cndmask_b32_e64 v3, v15, v17, s10
	v_cndmask_b32_e64 v2, v14, v16, s10
	global_store_b64 v[0:1], v[2:3], off offset:24
	s_or_b32 exec_lo, exec_lo, s0
	s_and_saveexec_b32 s0, s3
	s_cbranch_execz .LBB154_87
.LBB154_95:
	v_cndmask_b32_e64 v3, v19, v21, s11
	v_cndmask_b32_e64 v2, v18, v20, s11
	global_store_b64 v[0:1], v[2:3], off offset:32
	s_or_b32 exec_lo, exec_lo, s0
	s_and_saveexec_b32 s0, s4
	s_cbranch_execz .LBB154_88
.LBB154_96:
	v_cndmask_b32_e64 v3, v23, v25, s12
	v_cndmask_b32_e64 v2, v22, v24, s12
	global_store_b64 v[0:1], v[2:3], off offset:40
	s_or_b32 exec_lo, exec_lo, s0
	s_and_saveexec_b32 s0, s5
	s_cbranch_execz .LBB154_89
.LBB154_97:
	v_cndmask_b32_e64 v3, v27, v29, s13
	v_cndmask_b32_e64 v2, v26, v28, s13
	global_store_b64 v[0:1], v[2:3], off offset:48
	s_or_b32 exec_lo, exec_lo, s0
	s_and_saveexec_b32 s0, s6
	s_cbranch_execz .LBB154_90
.LBB154_98:
	s_waitcnt lgkmcnt(0)
	v_cmp_lt_i64_e32 vcc_lo, v[32:33], v[30:31]
	v_cmp_ge_i32_e64 s0, v36, v38
	v_cmp_lt_i32_e64 s1, v35, v39
	s_delay_alu instid0(VALU_DEP_2)
	s_or_b32 s0, s0, vcc_lo
	s_delay_alu instid0(VALU_DEP_1) | instid1(SALU_CYCLE_1)
	s_and_b32 vcc_lo, s1, s0
	v_dual_cndmask_b32 v3, v31, v33 :: v_dual_cndmask_b32 v2, v30, v32
	global_store_b64 v[0:1], v[2:3], off offset:56
	s_nop 0
	s_sendmsg sendmsg(MSG_DEALLOC_VGPRS)
	s_endpgm
	.section	.rodata,"a",@progbits
	.p2align	6, 0x0
	.amdhsa_kernel _Z19sort_keys_segmentedILj256ELj4ELj8ExN10test_utils4lessEEvPKT2_PS2_PKjT3_
		.amdhsa_group_segment_fixed_size 16896
		.amdhsa_private_segment_fixed_size 0
		.amdhsa_kernarg_size 28
		.amdhsa_user_sgpr_count 15
		.amdhsa_user_sgpr_dispatch_ptr 0
		.amdhsa_user_sgpr_queue_ptr 0
		.amdhsa_user_sgpr_kernarg_segment_ptr 1
		.amdhsa_user_sgpr_dispatch_id 0
		.amdhsa_user_sgpr_private_segment_size 0
		.amdhsa_wavefront_size32 1
		.amdhsa_uses_dynamic_stack 0
		.amdhsa_enable_private_segment 0
		.amdhsa_system_sgpr_workgroup_id_x 1
		.amdhsa_system_sgpr_workgroup_id_y 0
		.amdhsa_system_sgpr_workgroup_id_z 0
		.amdhsa_system_sgpr_workgroup_info 0
		.amdhsa_system_vgpr_workitem_id 0
		.amdhsa_next_free_vgpr 46
		.amdhsa_next_free_sgpr 20
		.amdhsa_reserve_vcc 1
		.amdhsa_float_round_mode_32 0
		.amdhsa_float_round_mode_16_64 0
		.amdhsa_float_denorm_mode_32 3
		.amdhsa_float_denorm_mode_16_64 3
		.amdhsa_dx10_clamp 1
		.amdhsa_ieee_mode 1
		.amdhsa_fp16_overflow 0
		.amdhsa_workgroup_processor_mode 1
		.amdhsa_memory_ordered 1
		.amdhsa_forward_progress 0
		.amdhsa_shared_vgpr_count 0
		.amdhsa_exception_fp_ieee_invalid_op 0
		.amdhsa_exception_fp_denorm_src 0
		.amdhsa_exception_fp_ieee_div_zero 0
		.amdhsa_exception_fp_ieee_overflow 0
		.amdhsa_exception_fp_ieee_underflow 0
		.amdhsa_exception_fp_ieee_inexact 0
		.amdhsa_exception_int_div_zero 0
	.end_amdhsa_kernel
	.section	.text._Z19sort_keys_segmentedILj256ELj4ELj8ExN10test_utils4lessEEvPKT2_PS2_PKjT3_,"axG",@progbits,_Z19sort_keys_segmentedILj256ELj4ELj8ExN10test_utils4lessEEvPKT2_PS2_PKjT3_,comdat
.Lfunc_end154:
	.size	_Z19sort_keys_segmentedILj256ELj4ELj8ExN10test_utils4lessEEvPKT2_PS2_PKjT3_, .Lfunc_end154-_Z19sort_keys_segmentedILj256ELj4ELj8ExN10test_utils4lessEEvPKT2_PS2_PKjT3_
                                        ; -- End function
	.section	.AMDGPU.csdata,"",@progbits
; Kernel info:
; codeLenInByte = 5628
; NumSgprs: 22
; NumVgprs: 46
; ScratchSize: 0
; MemoryBound: 0
; FloatMode: 240
; IeeeMode: 1
; LDSByteSize: 16896 bytes/workgroup (compile time only)
; SGPRBlocks: 2
; VGPRBlocks: 5
; NumSGPRsForWavesPerEU: 22
; NumVGPRsForWavesPerEU: 46
; Occupancy: 14
; WaveLimiterHint : 0
; COMPUTE_PGM_RSRC2:SCRATCH_EN: 0
; COMPUTE_PGM_RSRC2:USER_SGPR: 15
; COMPUTE_PGM_RSRC2:TRAP_HANDLER: 0
; COMPUTE_PGM_RSRC2:TGID_X_EN: 1
; COMPUTE_PGM_RSRC2:TGID_Y_EN: 0
; COMPUTE_PGM_RSRC2:TGID_Z_EN: 0
; COMPUTE_PGM_RSRC2:TIDIG_COMP_CNT: 0
	.section	.text._Z20sort_pairs_segmentedILj256ELj4ELj8ExN10test_utils4lessEEvPKT2_PS2_PKjT3_,"axG",@progbits,_Z20sort_pairs_segmentedILj256ELj4ELj8ExN10test_utils4lessEEvPKT2_PS2_PKjT3_,comdat
	.protected	_Z20sort_pairs_segmentedILj256ELj4ELj8ExN10test_utils4lessEEvPKT2_PS2_PKjT3_ ; -- Begin function _Z20sort_pairs_segmentedILj256ELj4ELj8ExN10test_utils4lessEEvPKT2_PS2_PKjT3_
	.globl	_Z20sort_pairs_segmentedILj256ELj4ELj8ExN10test_utils4lessEEvPKT2_PS2_PKjT3_
	.p2align	8
	.type	_Z20sort_pairs_segmentedILj256ELj4ELj8ExN10test_utils4lessEEvPKT2_PS2_PKjT3_,@function
_Z20sort_pairs_segmentedILj256ELj4ELj8ExN10test_utils4lessEEvPKT2_PS2_PKjT3_: ; @_Z20sort_pairs_segmentedILj256ELj4ELj8ExN10test_utils4lessEEvPKT2_PS2_PKjT3_
; %bb.0:
	s_clause 0x1
	s_load_b64 s[2:3], s[0:1], 0x10
	s_load_b128 s[16:19], s[0:1], 0x0
	v_lshrrev_b32_e32 v46, 2, v0
                                        ; implicit-def: $vgpr6_vgpr7
	s_delay_alu instid0(VALU_DEP_1) | instskip(SKIP_1) | instid1(VALU_DEP_1)
	v_lshl_or_b32 v0, s15, 6, v46
	v_mov_b32_e32 v1, 0
	v_lshlrev_b64 v[2:3], 2, v[0:1]
	v_lshlrev_b32_e32 v0, 5, v0
	s_delay_alu instid0(VALU_DEP_1) | instskip(SKIP_1) | instid1(VALU_DEP_3)
	v_lshlrev_b64 v[0:1], 3, v[0:1]
	s_waitcnt lgkmcnt(0)
	v_add_co_u32 v2, vcc_lo, s2, v2
	s_delay_alu instid0(VALU_DEP_4) | instskip(SKIP_2) | instid1(VALU_DEP_1)
	v_add_co_ci_u32_e32 v3, vcc_lo, s3, v3, vcc_lo
	global_load_b32 v51, v[2:3], off
	v_mbcnt_lo_u32_b32 v2, -1, 0
	v_lshlrev_b32_e32 v47, 3, v2
	v_add_co_u32 v2, vcc_lo, s16, v0
	v_add_co_ci_u32_e32 v3, vcc_lo, s17, v1, vcc_lo
	s_delay_alu instid0(VALU_DEP_3) | instskip(NEXT) | instid1(VALU_DEP_1)
	v_and_b32_e32 v52, 24, v47
	v_lshlrev_b32_e32 v50, 3, v52
	s_delay_alu instid0(VALU_DEP_1) | instskip(NEXT) | instid1(VALU_DEP_4)
	v_add_co_u32 v2, vcc_lo, v2, v50
	v_add_co_ci_u32_e32 v3, vcc_lo, 0, v3, vcc_lo
	s_waitcnt vmcnt(0)
	v_cmp_lt_u32_e64 s6, v52, v51
	s_delay_alu instid0(VALU_DEP_1)
	s_and_saveexec_b32 s0, s6
	s_cbranch_execz .LBB155_2
; %bb.1:
	global_load_b64 v[6:7], v[2:3], off
.LBB155_2:
	s_or_b32 exec_lo, exec_lo, s0
	v_or_b32_e32 v16, 1, v52
                                        ; implicit-def: $vgpr34_vgpr35
	s_delay_alu instid0(VALU_DEP_1) | instskip(NEXT) | instid1(VALU_DEP_1)
	v_cmp_lt_u32_e64 s5, v16, v51
	s_and_saveexec_b32 s0, s5
	s_cbranch_execz .LBB155_4
; %bb.3:
	global_load_b64 v[34:35], v[2:3], off offset:8
.LBB155_4:
	s_or_b32 exec_lo, exec_lo, s0
	v_or_b32_e32 v20, 2, v52
                                        ; implicit-def: $vgpr22_vgpr23
	s_delay_alu instid0(VALU_DEP_1) | instskip(NEXT) | instid1(VALU_DEP_1)
	v_cmp_lt_u32_e64 s4, v20, v51
	s_and_saveexec_b32 s0, s4
	s_cbranch_execz .LBB155_6
; %bb.5:
	global_load_b64 v[22:23], v[2:3], off offset:16
.LBB155_6:
	s_or_b32 exec_lo, exec_lo, s0
	v_or_b32_e32 v28, 3, v52
                                        ; implicit-def: $vgpr36_vgpr37
	s_delay_alu instid0(VALU_DEP_1) | instskip(NEXT) | instid1(VALU_DEP_1)
	v_cmp_lt_u32_e64 s3, v28, v51
	s_and_saveexec_b32 s0, s3
	s_cbranch_execz .LBB155_8
; %bb.7:
	global_load_b64 v[36:37], v[2:3], off offset:24
.LBB155_8:
	s_or_b32 exec_lo, exec_lo, s0
	v_or_b32_e32 v29, 4, v52
                                        ; implicit-def: $vgpr24_vgpr25
	s_delay_alu instid0(VALU_DEP_1) | instskip(NEXT) | instid1(VALU_DEP_1)
	v_cmp_lt_u32_e64 s2, v29, v51
	s_and_saveexec_b32 s0, s2
	s_cbranch_execz .LBB155_10
; %bb.9:
	global_load_b64 v[24:25], v[2:3], off offset:32
.LBB155_10:
	s_or_b32 exec_lo, exec_lo, s0
	v_or_b32_e32 v32, 5, v52
                                        ; implicit-def: $vgpr38_vgpr39
	s_delay_alu instid0(VALU_DEP_1) | instskip(NEXT) | instid1(VALU_DEP_1)
	v_cmp_lt_u32_e64 s1, v32, v51
	s_and_saveexec_b32 s0, s1
	s_cbranch_execz .LBB155_12
; %bb.11:
	global_load_b64 v[38:39], v[2:3], off offset:40
.LBB155_12:
	s_or_b32 exec_lo, exec_lo, s0
	v_or_b32_e32 v42, 6, v52
                                        ; implicit-def: $vgpr26_vgpr27
	s_delay_alu instid0(VALU_DEP_1) | instskip(NEXT) | instid1(VALU_DEP_1)
	v_cmp_lt_u32_e64 s0, v42, v51
	s_and_saveexec_b32 s7, s0
	s_cbranch_execz .LBB155_14
; %bb.13:
	global_load_b64 v[26:27], v[2:3], off offset:48
.LBB155_14:
	s_or_b32 exec_lo, exec_lo, s7
	v_or_b32_e32 v43, 7, v52
                                        ; implicit-def: $vgpr40_vgpr41
	s_delay_alu instid0(VALU_DEP_1)
	v_cmp_lt_u32_e32 vcc_lo, v43, v51
	s_and_saveexec_b32 s7, vcc_lo
	s_cbranch_execz .LBB155_16
; %bb.15:
	global_load_b64 v[40:41], v[2:3], off offset:56
.LBB155_16:
	s_or_b32 exec_lo, exec_lo, s7
	s_waitcnt vmcnt(0)
	v_add_co_u32 v2, s7, v6, 1
	s_delay_alu instid0(VALU_DEP_1) | instskip(SKIP_1) | instid1(VALU_DEP_1)
	v_add_co_ci_u32_e64 v3, s7, 0, v7, s7
	v_add_co_u32 v8, s7, v34, 1
	v_add_co_ci_u32_e64 v9, s7, 0, v35, s7
	v_add_co_u32 v10, s7, v22, 1
	s_delay_alu instid0(VALU_DEP_1) | instskip(SKIP_1) | instid1(VALU_DEP_1)
	v_add_co_ci_u32_e64 v11, s7, 0, v23, s7
	v_add_co_u32 v12, s7, v36, 1
	v_add_co_ci_u32_e64 v13, s7, 0, v37, s7
	;; [unrolled: 5-line block ×3, first 2 shown]
	v_add_co_u32 v4, s7, v26, 1
	s_delay_alu instid0(VALU_DEP_1) | instskip(SKIP_2) | instid1(VALU_DEP_1)
	v_add_co_ci_u32_e64 v5, s7, 0, v27, s7
	v_cmp_lt_i32_e64 s7, v16, v51
	v_add_co_u32 v16, s8, v40, 1
	v_add_co_ci_u32_e64 v17, s8, 0, v41, s8
	v_cmp_lt_i32_e64 s8, v20, v51
	s_delay_alu instid0(VALU_DEP_4)
	v_cndmask_b32_e64 v21, 0x7fffffff, v35, s7
	v_cndmask_b32_e64 v20, -1, v34, s7
	v_cmp_lt_i32_e64 s7, v28, v51
	v_cmp_lt_i32_e64 s9, v43, v51
	v_cndmask_b32_e64 v31, 0x7fffffff, v23, s8
	v_cndmask_b32_e64 v30, -1, v22, s8
	v_cmp_lt_i32_e64 s8, v29, v51
	v_cndmask_b32_e64 v23, 0x7fffffff, v37, s7
	v_cndmask_b32_e64 v22, -1, v36, s7
	v_cmp_lt_i32_e64 s7, v32, v51
	s_delay_alu instid0(VALU_DEP_4) | instskip(SKIP_2) | instid1(VALU_DEP_4)
	v_cndmask_b32_e64 v33, 0x7fffffff, v25, s8
	v_cndmask_b32_e64 v32, -1, v24, s8
	v_cmp_lt_i32_e64 s8, v42, v51
	v_cndmask_b32_e64 v29, 0x7fffffff, v39, s7
	v_cndmask_b32_e64 v28, -1, v38, s7
	s_delay_alu instid0(VALU_DEP_3)
	v_cndmask_b32_e64 v25, 0x7fffffff, v27, s8
	v_cndmask_b32_e64 v24, -1, v26, s8
	v_cndmask_b32_e64 v27, 0x7fffffff, v41, s9
	v_cndmask_b32_e64 v26, -1, v40, s9
	s_mov_b32 s8, exec_lo
	v_cmpx_lt_i32_e64 v52, v51
	s_cbranch_execz .LBB155_74
; %bb.17:
	v_dual_mov_b32 v43, v9 :: v_dual_mov_b32 v42, v8
	s_mov_b32 s9, exec_lo
	v_cmpx_lt_i64_e64 v[20:21], v[6:7]
; %bb.18:
	v_dual_mov_b32 v21, v7 :: v_dual_mov_b32 v20, v6
	v_dual_mov_b32 v6, v34 :: v_dual_mov_b32 v7, v35
	v_dual_mov_b32 v43, v3 :: v_dual_mov_b32 v42, v2
	v_dual_mov_b32 v2, v8 :: v_dual_mov_b32 v3, v9
; %bb.19:
	s_or_b32 exec_lo, exec_lo, s9
	v_dual_mov_b32 v45, v13 :: v_dual_mov_b32 v44, v12
	s_mov_b32 s9, exec_lo
	v_cmpx_lt_i64_e64 v[22:23], v[30:31]
; %bb.20:
	v_dual_mov_b32 v22, v30 :: v_dual_mov_b32 v23, v31
	v_dual_mov_b32 v30, v36 :: v_dual_mov_b32 v31, v37
	v_dual_mov_b32 v45, v11 :: v_dual_mov_b32 v44, v10
	v_dual_mov_b32 v10, v12 :: v_dual_mov_b32 v11, v13
; %bb.21:
	s_or_b32 exec_lo, exec_lo, s9
	;; [unrolled: 10-line block ×4, first 2 shown]
	v_cmp_lt_i64_e64 s7, v[30:31], v[20:21]
	v_dual_mov_b32 v8, v30 :: v_dual_mov_b32 v9, v31
	v_dual_mov_b32 v39, v11 :: v_dual_mov_b32 v38, v10
	s_delay_alu instid0(VALU_DEP_3) | instskip(NEXT) | instid1(SALU_CYCLE_1)
	s_and_saveexec_b32 s9, s7
	s_xor_b32 s7, exec_lo, s9
; %bb.26:
	v_dual_mov_b32 v8, v20 :: v_dual_mov_b32 v9, v21
	v_dual_mov_b32 v20, v30 :: v_dual_mov_b32 v21, v31
	v_dual_mov_b32 v38, v42 :: v_dual_mov_b32 v39, v43
	v_dual_mov_b32 v43, v11 :: v_dual_mov_b32 v42, v10
; %bb.27:
	s_or_b32 exec_lo, exec_lo, s7
	v_dual_mov_b32 v10, v32 :: v_dual_mov_b32 v11, v33
	v_dual_mov_b32 v31, v15 :: v_dual_mov_b32 v30, v14
	s_mov_b32 s9, exec_lo
	v_cmpx_lt_i64_e64 v[32:33], v[22:23]
; %bb.28:
	v_dual_mov_b32 v10, v22 :: v_dual_mov_b32 v11, v23
	v_dual_mov_b32 v22, v32 :: v_dual_mov_b32 v23, v33
	v_dual_mov_b32 v30, v44 :: v_dual_mov_b32 v31, v45
	v_dual_mov_b32 v45, v15 :: v_dual_mov_b32 v44, v14
; %bb.29:
	s_or_b32 exec_lo, exec_lo, s9
	v_dual_mov_b32 v12, v24 :: v_dual_mov_b32 v13, v25
	v_dual_mov_b32 v33, v5 :: v_dual_mov_b32 v32, v4
	s_mov_b32 s9, exec_lo
	v_cmpx_lt_i64_e64 v[24:25], v[28:29]
	;; [unrolled: 11-line block ×23, first 2 shown]
; %bb.72:
	v_dual_mov_b32 v19, v5 :: v_dual_mov_b32 v18, v4
	v_dual_mov_b32 v4, v36 :: v_dual_mov_b32 v5, v37
	;; [unrolled: 1-line block ×4, first 2 shown]
; %bb.73:
	s_or_b32 exec_lo, exec_lo, s9
.LBB155_74:
	s_delay_alu instid0(SALU_CYCLE_1) | instskip(SKIP_4) | instid1(VALU_DEP_4)
	s_or_b32 exec_lo, exec_lo, s8
	v_and_b32_e32 v34, 16, v47
	v_and_b32_e32 v36, 8, v47
	v_mad_u32_u24 v54, 0x108, v46, v50
	v_mul_u32_u24_e32 v53, 0x108, v46
	v_min_i32_e32 v34, v51, v34
	; wave barrier
	ds_store_2addr_b64 v54, v[6:7], v[20:21] offset1:1
	ds_store_2addr_b64 v54, v[30:31], v[22:23] offset0:2 offset1:3
	s_mov_b32 s9, 0
	s_mov_b32 s8, exec_lo
	v_add_nc_u32_e32 v35, 8, v34
	v_lshlrev_b32_e32 v39, 3, v34
	ds_store_2addr_b64 v54, v[32:33], v[28:29] offset0:4 offset1:5
	ds_store_2addr_b64 v54, v[24:25], v[26:27] offset0:6 offset1:7
	; wave barrier
	v_min_i32_e32 v55, v51, v35
	v_mad_u32_u24 v6, 0x108, v46, v39
	s_delay_alu instid0(VALU_DEP_2) | instskip(SKIP_1) | instid1(VALU_DEP_2)
	v_add_nc_u32_e32 v35, 8, v55
	v_sub_nc_u32_e32 v37, v55, v34
	v_min_i32_e32 v56, v51, v35
	v_min_i32_e32 v35, v51, v36
	s_delay_alu instid0(VALU_DEP_2) | instskip(NEXT) | instid1(VALU_DEP_2)
	v_sub_nc_u32_e32 v36, v56, v55
	v_min_i32_e32 v37, v35, v37
	s_delay_alu instid0(VALU_DEP_2) | instskip(SKIP_1) | instid1(VALU_DEP_1)
	v_sub_nc_u32_e32 v38, v35, v36
	v_cmp_ge_i32_e64 s7, v35, v36
	v_cndmask_b32_e64 v36, 0, v38, s7
	s_delay_alu instid0(VALU_DEP_1)
	v_cmpx_lt_i32_e64 v36, v37
	s_cbranch_execz .LBB155_78
; %bb.75:
	v_lshlrev_b32_e32 v7, 3, v55
	v_lshlrev_b32_e32 v20, 3, v35
	s_delay_alu instid0(VALU_DEP_1)
	v_add3_u32 v7, v53, v7, v20
	.p2align	6
.LBB155_76:                             ; =>This Inner Loop Header: Depth=1
	v_sub_nc_u32_e32 v20, v37, v36
	s_delay_alu instid0(VALU_DEP_1) | instskip(NEXT) | instid1(VALU_DEP_1)
	v_lshrrev_b32_e32 v21, 31, v20
	v_add_nc_u32_e32 v20, v20, v21
	s_delay_alu instid0(VALU_DEP_1) | instskip(NEXT) | instid1(VALU_DEP_1)
	v_ashrrev_i32_e32 v20, 1, v20
	v_add_nc_u32_e32 v24, v20, v36
	s_delay_alu instid0(VALU_DEP_1) | instskip(SKIP_1) | instid1(VALU_DEP_2)
	v_not_b32_e32 v20, v24
	v_lshl_add_u32 v21, v24, 3, v6
	v_lshl_add_u32 v22, v20, 3, v7
	ds_load_b64 v[20:21], v21
	ds_load_b64 v[22:23], v22
	s_waitcnt lgkmcnt(0)
	v_cmp_lt_i64_e64 s7, v[22:23], v[20:21]
	v_add_nc_u32_e32 v20, 1, v24
	s_delay_alu instid0(VALU_DEP_2) | instskip(NEXT) | instid1(VALU_DEP_2)
	v_cndmask_b32_e64 v37, v37, v24, s7
	v_cndmask_b32_e64 v36, v20, v36, s7
	s_delay_alu instid0(VALU_DEP_1) | instskip(NEXT) | instid1(VALU_DEP_1)
	v_cmp_ge_i32_e64 s7, v36, v37
	s_or_b32 s9, s7, s9
	s_delay_alu instid0(SALU_CYCLE_1)
	s_and_not1_b32 exec_lo, exec_lo, s9
	s_cbranch_execnz .LBB155_76
; %bb.77:
	s_or_b32 exec_lo, exec_lo, s9
.LBB155_78:
	s_delay_alu instid0(SALU_CYCLE_1) | instskip(SKIP_3) | instid1(VALU_DEP_3)
	s_or_b32 exec_lo, exec_lo, s8
	v_add_nc_u32_e32 v7, v55, v35
	v_lshl_add_u32 v24, v36, 3, v6
	v_add_nc_u32_e32 v58, v36, v34
                                        ; implicit-def: $vgpr22_vgpr23
	v_sub_nc_u32_e32 v57, v7, v36
	s_delay_alu instid0(VALU_DEP_2) | instskip(NEXT) | instid1(VALU_DEP_2)
	v_cmp_le_i32_e64 s8, v55, v58
	v_lshl_add_u32 v26, v57, 3, v53
	v_cmp_gt_i32_e64 s9, v56, v57
	ds_load_b64 v[6:7], v24
	ds_load_b64 v[20:21], v26
	s_waitcnt lgkmcnt(0)
	v_cmp_lt_i64_e64 s7, v[20:21], v[6:7]
	s_delay_alu instid0(VALU_DEP_1) | instskip(NEXT) | instid1(SALU_CYCLE_1)
	s_or_b32 s7, s8, s7
	s_and_b32 s7, s9, s7
	s_delay_alu instid0(SALU_CYCLE_1) | instskip(NEXT) | instid1(SALU_CYCLE_1)
	s_xor_b32 s8, s7, -1
	s_and_saveexec_b32 s9, s8
	s_delay_alu instid0(SALU_CYCLE_1)
	s_xor_b32 s8, exec_lo, s9
	s_cbranch_execz .LBB155_80
; %bb.79:
	ds_load_b64 v[22:23], v24 offset:8
                                        ; implicit-def: $vgpr26
.LBB155_80:
	s_or_saveexec_b32 s8, s8
	v_dual_mov_b32 v25, v21 :: v_dual_mov_b32 v24, v20
	s_xor_b32 exec_lo, exec_lo, s8
	s_cbranch_execz .LBB155_82
; %bb.81:
	ds_load_b64 v[24:25], v26 offset:8
	s_waitcnt lgkmcnt(1)
	v_dual_mov_b32 v23, v7 :: v_dual_mov_b32 v22, v6
.LBB155_82:
	s_or_b32 exec_lo, exec_lo, s8
	v_add_nc_u32_e32 v26, 1, v58
	v_add_nc_u32_e32 v27, 1, v57
	s_waitcnt lgkmcnt(0)
	v_cmp_lt_i64_e64 s8, v[24:25], v[22:23]
	s_delay_alu instid0(VALU_DEP_3) | instskip(NEXT) | instid1(VALU_DEP_3)
	v_cndmask_b32_e64 v59, v26, v58, s7
	v_cndmask_b32_e64 v60, v57, v27, s7
                                        ; implicit-def: $vgpr26_vgpr27
	s_delay_alu instid0(VALU_DEP_2) | instskip(NEXT) | instid1(VALU_DEP_2)
	v_cmp_ge_i32_e64 s9, v59, v55
	v_cmp_lt_i32_e64 s10, v60, v56
	s_delay_alu instid0(VALU_DEP_2)
	s_or_b32 s8, s9, s8
	s_delay_alu instid0(VALU_DEP_1) | instid1(SALU_CYCLE_1)
	s_and_b32 s8, s10, s8
	s_delay_alu instid0(SALU_CYCLE_1) | instskip(NEXT) | instid1(SALU_CYCLE_1)
	s_xor_b32 s9, s8, -1
	s_and_saveexec_b32 s10, s9
	s_delay_alu instid0(SALU_CYCLE_1)
	s_xor_b32 s9, exec_lo, s10
	s_cbranch_execz .LBB155_84
; %bb.83:
	v_lshl_add_u32 v26, v59, 3, v53
	ds_load_b64 v[26:27], v26 offset:8
.LBB155_84:
	s_or_saveexec_b32 s9, s9
	v_dual_mov_b32 v29, v25 :: v_dual_mov_b32 v28, v24
	s_xor_b32 exec_lo, exec_lo, s9
	s_cbranch_execz .LBB155_86
; %bb.85:
	s_waitcnt lgkmcnt(0)
	v_lshl_add_u32 v26, v60, 3, v53
	ds_load_b64 v[28:29], v26 offset:8
	v_dual_mov_b32 v27, v23 :: v_dual_mov_b32 v26, v22
.LBB155_86:
	s_or_b32 exec_lo, exec_lo, s9
	v_add_nc_u32_e32 v30, 1, v59
	v_add_nc_u32_e32 v31, 1, v60
	s_waitcnt lgkmcnt(0)
	v_cmp_lt_i64_e64 s9, v[28:29], v[26:27]
	s_delay_alu instid0(VALU_DEP_3) | instskip(NEXT) | instid1(VALU_DEP_3)
	v_cndmask_b32_e64 v61, v30, v59, s8
	v_cndmask_b32_e64 v62, v60, v31, s8
                                        ; implicit-def: $vgpr30_vgpr31
	s_delay_alu instid0(VALU_DEP_2) | instskip(NEXT) | instid1(VALU_DEP_2)
	v_cmp_ge_i32_e64 s10, v61, v55
	v_cmp_lt_i32_e64 s11, v62, v56
	s_delay_alu instid0(VALU_DEP_2)
	s_or_b32 s9, s10, s9
	s_delay_alu instid0(VALU_DEP_1) | instid1(SALU_CYCLE_1)
	s_and_b32 s9, s11, s9
	s_delay_alu instid0(SALU_CYCLE_1) | instskip(NEXT) | instid1(SALU_CYCLE_1)
	s_xor_b32 s10, s9, -1
	s_and_saveexec_b32 s11, s10
	s_delay_alu instid0(SALU_CYCLE_1)
	s_xor_b32 s10, exec_lo, s11
	s_cbranch_execz .LBB155_88
; %bb.87:
	v_lshl_add_u32 v30, v61, 3, v53
	ds_load_b64 v[30:31], v30 offset:8
.LBB155_88:
	s_or_saveexec_b32 s10, s10
	v_dual_mov_b32 v33, v29 :: v_dual_mov_b32 v32, v28
	s_xor_b32 exec_lo, exec_lo, s10
	s_cbranch_execz .LBB155_90
; %bb.89:
	s_waitcnt lgkmcnt(0)
	v_lshl_add_u32 v30, v62, 3, v53
	ds_load_b64 v[32:33], v30 offset:8
	v_dual_mov_b32 v31, v27 :: v_dual_mov_b32 v30, v26
.LBB155_90:
	s_or_b32 exec_lo, exec_lo, s10
	v_add_nc_u32_e32 v34, 1, v61
	v_add_nc_u32_e32 v35, 1, v62
	s_waitcnt lgkmcnt(0)
	v_cmp_lt_i64_e64 s10, v[32:33], v[30:31]
                                        ; implicit-def: $vgpr38_vgpr39
	s_delay_alu instid0(VALU_DEP_3) | instskip(NEXT) | instid1(VALU_DEP_3)
	v_cndmask_b32_e64 v63, v34, v61, s9
	v_cndmask_b32_e64 v64, v62, v35, s9
	s_delay_alu instid0(VALU_DEP_2) | instskip(NEXT) | instid1(VALU_DEP_2)
	v_cmp_ge_i32_e64 s11, v63, v55
	v_cmp_lt_i32_e64 s12, v64, v56
	s_delay_alu instid0(VALU_DEP_2)
	s_or_b32 s10, s11, s10
	s_delay_alu instid0(VALU_DEP_1) | instid1(SALU_CYCLE_1)
	s_and_b32 s10, s12, s10
	s_delay_alu instid0(SALU_CYCLE_1) | instskip(NEXT) | instid1(SALU_CYCLE_1)
	s_xor_b32 s11, s10, -1
	s_and_saveexec_b32 s12, s11
	s_delay_alu instid0(SALU_CYCLE_1)
	s_xor_b32 s11, exec_lo, s12
	s_cbranch_execz .LBB155_92
; %bb.91:
	v_lshl_add_u32 v34, v63, 3, v53
	ds_load_b64 v[38:39], v34 offset:8
.LBB155_92:
	s_or_saveexec_b32 s11, s11
	v_dual_mov_b32 v41, v33 :: v_dual_mov_b32 v40, v32
	s_xor_b32 exec_lo, exec_lo, s11
	s_cbranch_execz .LBB155_94
; %bb.93:
	v_lshl_add_u32 v34, v64, 3, v53
	s_waitcnt lgkmcnt(0)
	v_dual_mov_b32 v39, v31 :: v_dual_mov_b32 v38, v30
	ds_load_b64 v[40:41], v34 offset:8
.LBB155_94:
	s_or_b32 exec_lo, exec_lo, s11
	v_add_nc_u32_e32 v34, 1, v63
	v_add_nc_u32_e32 v35, 1, v64
	s_waitcnt lgkmcnt(0)
	v_cmp_lt_i64_e64 s11, v[40:41], v[38:39]
                                        ; implicit-def: $vgpr42_vgpr43
	s_delay_alu instid0(VALU_DEP_3) | instskip(NEXT) | instid1(VALU_DEP_3)
	v_cndmask_b32_e64 v65, v34, v63, s10
	v_cndmask_b32_e64 v66, v64, v35, s10
	s_delay_alu instid0(VALU_DEP_2) | instskip(NEXT) | instid1(VALU_DEP_2)
	v_cmp_ge_i32_e64 s12, v65, v55
	v_cmp_lt_i32_e64 s13, v66, v56
	s_delay_alu instid0(VALU_DEP_2)
	s_or_b32 s11, s12, s11
	s_delay_alu instid0(VALU_DEP_1) | instid1(SALU_CYCLE_1)
	s_and_b32 s11, s13, s11
	s_delay_alu instid0(SALU_CYCLE_1) | instskip(NEXT) | instid1(SALU_CYCLE_1)
	s_xor_b32 s12, s11, -1
	s_and_saveexec_b32 s13, s12
	s_delay_alu instid0(SALU_CYCLE_1)
	s_xor_b32 s12, exec_lo, s13
	s_cbranch_execz .LBB155_96
; %bb.95:
	v_lshl_add_u32 v34, v65, 3, v53
	ds_load_b64 v[42:43], v34 offset:8
.LBB155_96:
	s_or_saveexec_b32 s12, s12
	v_dual_mov_b32 v45, v41 :: v_dual_mov_b32 v44, v40
	s_xor_b32 exec_lo, exec_lo, s12
	s_cbranch_execz .LBB155_98
; %bb.97:
	v_lshl_add_u32 v34, v66, 3, v53
	s_waitcnt lgkmcnt(0)
	v_dual_mov_b32 v43, v39 :: v_dual_mov_b32 v42, v38
	ds_load_b64 v[44:45], v34 offset:8
.LBB155_98:
	s_or_b32 exec_lo, exec_lo, s12
	v_add_nc_u32_e32 v34, 1, v65
	v_add_nc_u32_e32 v35, 1, v66
	s_waitcnt lgkmcnt(0)
	v_cmp_lt_i64_e64 s12, v[44:45], v[42:43]
                                        ; implicit-def: $vgpr46_vgpr47
	s_delay_alu instid0(VALU_DEP_3) | instskip(NEXT) | instid1(VALU_DEP_3)
	v_cndmask_b32_e64 v67, v34, v65, s11
	v_cndmask_b32_e64 v68, v66, v35, s11
	s_delay_alu instid0(VALU_DEP_2) | instskip(NEXT) | instid1(VALU_DEP_2)
	v_cmp_ge_i32_e64 s13, v67, v55
	v_cmp_lt_i32_e64 s14, v68, v56
	s_delay_alu instid0(VALU_DEP_2)
	s_or_b32 s12, s13, s12
	s_delay_alu instid0(VALU_DEP_1) | instid1(SALU_CYCLE_1)
	s_and_b32 s12, s14, s12
	s_delay_alu instid0(SALU_CYCLE_1) | instskip(NEXT) | instid1(SALU_CYCLE_1)
	s_xor_b32 s13, s12, -1
	s_and_saveexec_b32 s14, s13
	s_delay_alu instid0(SALU_CYCLE_1)
	s_xor_b32 s13, exec_lo, s14
	s_cbranch_execz .LBB155_100
; %bb.99:
	v_lshl_add_u32 v34, v67, 3, v53
	ds_load_b64 v[46:47], v34 offset:8
.LBB155_100:
	s_or_saveexec_b32 s13, s13
	v_dual_mov_b32 v49, v45 :: v_dual_mov_b32 v48, v44
	s_xor_b32 exec_lo, exec_lo, s13
	s_cbranch_execz .LBB155_102
; %bb.101:
	v_lshl_add_u32 v34, v68, 3, v53
	s_waitcnt lgkmcnt(0)
	v_dual_mov_b32 v47, v43 :: v_dual_mov_b32 v46, v42
	ds_load_b64 v[48:49], v34 offset:8
.LBB155_102:
	s_or_b32 exec_lo, exec_lo, s13
	v_add_nc_u32_e32 v34, 1, v67
	v_add_nc_u32_e32 v35, 1, v68
	s_waitcnt lgkmcnt(0)
	v_cmp_lt_i64_e64 s13, v[48:49], v[46:47]
	s_delay_alu instid0(VALU_DEP_3) | instskip(NEXT) | instid1(VALU_DEP_3)
	v_cndmask_b32_e64 v69, v34, v67, s12
	v_cndmask_b32_e64 v70, v68, v35, s12
                                        ; implicit-def: $vgpr34_vgpr35
	s_delay_alu instid0(VALU_DEP_2) | instskip(NEXT) | instid1(VALU_DEP_2)
	v_cmp_ge_i32_e64 s14, v69, v55
	v_cmp_lt_i32_e64 s15, v70, v56
	s_delay_alu instid0(VALU_DEP_2)
	s_or_b32 s13, s14, s13
	s_delay_alu instid0(VALU_DEP_1) | instid1(SALU_CYCLE_1)
	s_and_b32 s13, s15, s13
	s_delay_alu instid0(SALU_CYCLE_1) | instskip(NEXT) | instid1(SALU_CYCLE_1)
	s_xor_b32 s14, s13, -1
	s_and_saveexec_b32 s15, s14
	s_delay_alu instid0(SALU_CYCLE_1)
	s_xor_b32 s14, exec_lo, s15
	s_cbranch_execz .LBB155_104
; %bb.103:
	v_lshl_add_u32 v34, v69, 3, v53
	ds_load_b64 v[34:35], v34 offset:8
.LBB155_104:
	s_or_saveexec_b32 s14, s14
	v_dual_mov_b32 v36, v48 :: v_dual_mov_b32 v37, v49
	s_xor_b32 exec_lo, exec_lo, s14
	s_cbranch_execz .LBB155_106
; %bb.105:
	s_waitcnt lgkmcnt(0)
	v_lshl_add_u32 v34, v70, 3, v53
	ds_load_b64 v[36:37], v34 offset:8
	v_dual_mov_b32 v34, v46 :: v_dual_mov_b32 v35, v47
.LBB155_106:
	s_or_b32 exec_lo, exec_lo, s14
	v_add_nc_u32_e32 v72, 1, v69
	v_add_nc_u32_e32 v71, 1, v70
	v_cndmask_b32_e64 v47, v47, v49, s13
	v_cndmask_b32_e64 v28, v26, v28, s9
	v_min_i32_e32 v26, 0, v51
	v_cndmask_b32_e64 v49, v72, v69, s13
	v_cndmask_b32_e64 v46, v46, v48, s13
	;; [unrolled: 1-line block ×5, first 2 shown]
	s_waitcnt lgkmcnt(0)
	v_cmp_lt_i64_e64 s9, v[36:37], v[34:35]
	v_cndmask_b32_e64 v31, v31, v33, s10
	v_cndmask_b32_e64 v30, v30, v32, s10
	;; [unrolled: 1-line block ×3, first 2 shown]
	v_cmp_ge_i32_e64 s10, v49, v55
	v_cndmask_b32_e64 v25, v23, v25, s8
	v_cndmask_b32_e64 v23, v58, v57, s7
	; wave barrier
	ds_store_2addr_b64 v54, v[2:3], v[8:9] offset1:1
	ds_store_2addr_b64 v54, v[10:11], v[12:13] offset0:2 offset1:3
	v_add_nc_u32_e32 v2, 16, v26
	v_cndmask_b32_e64 v39, v39, v41, s11
	v_cndmask_b32_e64 v38, v38, v40, s11
	v_cndmask_b32_e64 v40, v65, v66, s11
	v_cmp_lt_i32_e64 s11, v48, v56
	v_cndmask_b32_e64 v24, v22, v24, s8
	v_cndmask_b32_e64 v22, v59, v60, s8
	s_or_b32 s8, s10, s9
	v_min_i32_e32 v55, v51, v2
	v_lshl_add_u32 v2, v23, 3, v53
	v_cndmask_b32_e64 v42, v42, v44, s12
	v_cndmask_b32_e64 v44, v67, v68, s12
	s_and_b32 s8, s11, s8
	v_lshl_add_u32 v3, v22, 3, v53
	v_cndmask_b32_e64 v69, v69, v70, s13
	ds_store_2addr_b64 v54, v[14:15], v[18:19] offset0:4 offset1:5
	ds_store_2addr_b64 v54, v[4:5], v[16:17] offset0:6 offset1:7
	v_lshl_add_u32 v4, v27, 3, v53
	v_cndmask_b32_e64 v33, v35, v37, s8
	v_cndmask_b32_e64 v35, v49, v48, s8
	v_lshl_add_u32 v5, v32, 3, v53
	; wave barrier
	v_add_nc_u32_e32 v10, 16, v55
	ds_load_b64 v[16:17], v2
	ds_load_b64 v[18:19], v3
	;; [unrolled: 1-line block ×4, first 2 shown]
	v_lshl_add_u32 v2, v40, 3, v53
	v_lshl_add_u32 v3, v44, 3, v53
	;; [unrolled: 1-line block ×4, first 2 shown]
	v_min_i32_e32 v56, v51, v10
	ds_load_b64 v[10:11], v2
	ds_load_b64 v[14:15], v3
	;; [unrolled: 1-line block ×4, first 2 shown]
	v_min_i32_e32 v22, v51, v52
	v_cndmask_b32_e64 v41, v7, v21, s7
	v_cndmask_b32_e64 v40, v6, v20, s7
	v_sub_nc_u32_e32 v23, v56, v55
	v_sub_nc_u32_e32 v7, v55, v26
	v_cndmask_b32_e64 v43, v43, v45, s12
	v_cndmask_b32_e64 v32, v34, v36, s8
	s_mov_b32 s9, 0
	v_sub_nc_u32_e32 v6, v22, v23
	v_cmp_ge_i32_e64 s7, v22, v23
	v_min_i32_e32 v20, v22, v7
	v_lshl_add_u32 v7, v26, 3, v53
	s_mov_b32 s8, exec_lo
	s_delay_alu instid0(VALU_DEP_3)
	v_cndmask_b32_e64 v6, 0, v6, s7
	; wave barrier
	ds_store_2addr_b64 v54, v[40:41], v[24:25] offset1:1
	ds_store_2addr_b64 v54, v[28:29], v[30:31] offset0:2 offset1:3
	ds_store_2addr_b64 v54, v[38:39], v[42:43] offset0:4 offset1:5
	ds_store_2addr_b64 v54, v[46:47], v[32:33] offset0:6 offset1:7
	; wave barrier
	v_cmpx_lt_i32_e64 v6, v20
	s_cbranch_execz .LBB155_110
; %bb.107:
	v_lshlrev_b32_e32 v21, 3, v55
	v_lshlrev_b32_e32 v23, 3, v22
	s_delay_alu instid0(VALU_DEP_1)
	v_add3_u32 v21, v53, v21, v23
	.p2align	6
.LBB155_108:                            ; =>This Inner Loop Header: Depth=1
	v_sub_nc_u32_e32 v23, v20, v6
	s_delay_alu instid0(VALU_DEP_1) | instskip(NEXT) | instid1(VALU_DEP_1)
	v_lshrrev_b32_e32 v24, 31, v23
	v_add_nc_u32_e32 v23, v23, v24
	s_delay_alu instid0(VALU_DEP_1) | instskip(NEXT) | instid1(VALU_DEP_1)
	v_ashrrev_i32_e32 v23, 1, v23
	v_add_nc_u32_e32 v25, v23, v6
	s_delay_alu instid0(VALU_DEP_1) | instskip(SKIP_1) | instid1(VALU_DEP_2)
	v_not_b32_e32 v23, v25
	v_lshl_add_u32 v24, v25, 3, v7
	v_lshl_add_u32 v27, v23, 3, v21
	ds_load_b64 v[23:24], v24
	ds_load_b64 v[27:28], v27
	s_waitcnt lgkmcnt(0)
	v_cmp_lt_i64_e64 s7, v[27:28], v[23:24]
	v_add_nc_u32_e32 v23, 1, v25
	s_delay_alu instid0(VALU_DEP_2) | instskip(NEXT) | instid1(VALU_DEP_2)
	v_cndmask_b32_e64 v20, v20, v25, s7
	v_cndmask_b32_e64 v6, v23, v6, s7
	s_delay_alu instid0(VALU_DEP_1) | instskip(NEXT) | instid1(VALU_DEP_1)
	v_cmp_ge_i32_e64 s7, v6, v20
	s_or_b32 s9, s7, s9
	s_delay_alu instid0(SALU_CYCLE_1)
	s_and_not1_b32 exec_lo, exec_lo, s9
	s_cbranch_execnz .LBB155_108
; %bb.109:
	s_or_b32 exec_lo, exec_lo, s9
.LBB155_110:
	s_delay_alu instid0(SALU_CYCLE_1) | instskip(SKIP_2) | instid1(VALU_DEP_2)
	s_or_b32 exec_lo, exec_lo, s8
	v_add_nc_u32_e32 v20, v55, v22
	v_add_nc_u32_e32 v52, v6, v26
	v_sub_nc_u32_e32 v51, v20, v6
	v_lshl_add_u32 v20, v6, 3, v7
	s_delay_alu instid0(VALU_DEP_3) | instskip(NEXT) | instid1(VALU_DEP_3)
	v_cmp_le_i32_e64 s8, v55, v52
                                        ; implicit-def: $vgpr6_vgpr7
	v_lshl_add_u32 v27, v51, 3, v53
	v_cmp_gt_i32_e64 s9, v56, v51
	ds_load_b64 v[22:23], v20
	ds_load_b64 v[24:25], v27
	s_waitcnt lgkmcnt(0)
	v_cmp_lt_i64_e64 s7, v[24:25], v[22:23]
	s_delay_alu instid0(VALU_DEP_1) | instskip(NEXT) | instid1(SALU_CYCLE_1)
	s_or_b32 s7, s8, s7
	s_and_b32 s7, s9, s7
	s_delay_alu instid0(SALU_CYCLE_1) | instskip(NEXT) | instid1(SALU_CYCLE_1)
	s_xor_b32 s8, s7, -1
	s_and_saveexec_b32 s9, s8
	s_delay_alu instid0(SALU_CYCLE_1)
	s_xor_b32 s8, exec_lo, s9
	s_cbranch_execz .LBB155_112
; %bb.111:
	ds_load_b64 v[6:7], v20 offset:8
                                        ; implicit-def: $vgpr27
.LBB155_112:
	s_or_saveexec_b32 s8, s8
	v_dual_mov_b32 v20, v24 :: v_dual_mov_b32 v21, v25
	s_xor_b32 exec_lo, exec_lo, s8
	s_cbranch_execz .LBB155_114
; %bb.113:
	ds_load_b64 v[20:21], v27 offset:8
	s_waitcnt lgkmcnt(1)
	v_dual_mov_b32 v6, v22 :: v_dual_mov_b32 v7, v23
.LBB155_114:
	s_or_b32 exec_lo, exec_lo, s8
	v_add_nc_u32_e32 v26, 1, v52
	v_add_nc_u32_e32 v27, 1, v51
	s_waitcnt lgkmcnt(0)
	v_cmp_lt_i64_e64 s8, v[20:21], v[6:7]
	s_delay_alu instid0(VALU_DEP_3) | instskip(NEXT) | instid1(VALU_DEP_3)
	v_cndmask_b32_e64 v57, v26, v52, s7
	v_cndmask_b32_e64 v58, v51, v27, s7
                                        ; implicit-def: $vgpr26_vgpr27
	s_delay_alu instid0(VALU_DEP_2) | instskip(NEXT) | instid1(VALU_DEP_2)
	v_cmp_ge_i32_e64 s9, v57, v55
	v_cmp_lt_i32_e64 s10, v58, v56
	s_delay_alu instid0(VALU_DEP_2)
	s_or_b32 s8, s9, s8
	s_delay_alu instid0(VALU_DEP_1) | instid1(SALU_CYCLE_1)
	s_and_b32 s8, s10, s8
	s_delay_alu instid0(SALU_CYCLE_1) | instskip(NEXT) | instid1(SALU_CYCLE_1)
	s_xor_b32 s9, s8, -1
	s_and_saveexec_b32 s10, s9
	s_delay_alu instid0(SALU_CYCLE_1)
	s_xor_b32 s9, exec_lo, s10
	s_cbranch_execz .LBB155_116
; %bb.115:
	v_lshl_add_u32 v26, v57, 3, v53
	ds_load_b64 v[26:27], v26 offset:8
.LBB155_116:
	s_or_saveexec_b32 s9, s9
	v_dual_mov_b32 v29, v21 :: v_dual_mov_b32 v28, v20
	s_xor_b32 exec_lo, exec_lo, s9
	s_cbranch_execz .LBB155_118
; %bb.117:
	s_waitcnt lgkmcnt(0)
	v_lshl_add_u32 v26, v58, 3, v53
	ds_load_b64 v[28:29], v26 offset:8
	v_dual_mov_b32 v27, v7 :: v_dual_mov_b32 v26, v6
.LBB155_118:
	s_or_b32 exec_lo, exec_lo, s9
	v_add_nc_u32_e32 v30, 1, v57
	v_add_nc_u32_e32 v31, 1, v58
	s_waitcnt lgkmcnt(0)
	v_cmp_lt_i64_e64 s9, v[28:29], v[26:27]
	s_delay_alu instid0(VALU_DEP_3) | instskip(NEXT) | instid1(VALU_DEP_3)
	v_cndmask_b32_e64 v59, v30, v57, s8
	v_cndmask_b32_e64 v60, v58, v31, s8
                                        ; implicit-def: $vgpr30_vgpr31
	s_delay_alu instid0(VALU_DEP_2) | instskip(NEXT) | instid1(VALU_DEP_2)
	v_cmp_ge_i32_e64 s10, v59, v55
	v_cmp_lt_i32_e64 s11, v60, v56
	s_delay_alu instid0(VALU_DEP_2)
	s_or_b32 s9, s10, s9
	s_delay_alu instid0(VALU_DEP_1) | instid1(SALU_CYCLE_1)
	s_and_b32 s9, s11, s9
	s_delay_alu instid0(SALU_CYCLE_1) | instskip(NEXT) | instid1(SALU_CYCLE_1)
	s_xor_b32 s10, s9, -1
	s_and_saveexec_b32 s11, s10
	s_delay_alu instid0(SALU_CYCLE_1)
	s_xor_b32 s10, exec_lo, s11
	s_cbranch_execz .LBB155_120
; %bb.119:
	v_lshl_add_u32 v30, v59, 3, v53
	ds_load_b64 v[30:31], v30 offset:8
.LBB155_120:
	s_or_saveexec_b32 s10, s10
	v_dual_mov_b32 v33, v29 :: v_dual_mov_b32 v32, v28
	s_xor_b32 exec_lo, exec_lo, s10
	s_cbranch_execz .LBB155_122
; %bb.121:
	s_waitcnt lgkmcnt(0)
	v_lshl_add_u32 v30, v60, 3, v53
	ds_load_b64 v[32:33], v30 offset:8
	v_dual_mov_b32 v31, v27 :: v_dual_mov_b32 v30, v26
.LBB155_122:
	s_or_b32 exec_lo, exec_lo, s10
	v_add_nc_u32_e32 v34, 1, v59
	v_add_nc_u32_e32 v35, 1, v60
	s_waitcnt lgkmcnt(0)
	v_cmp_lt_i64_e64 s10, v[32:33], v[30:31]
	s_delay_alu instid0(VALU_DEP_3) | instskip(NEXT) | instid1(VALU_DEP_3)
	v_cndmask_b32_e64 v61, v34, v59, s9
	v_cndmask_b32_e64 v62, v60, v35, s9
                                        ; implicit-def: $vgpr34_vgpr35
	s_delay_alu instid0(VALU_DEP_2) | instskip(NEXT) | instid1(VALU_DEP_2)
	v_cmp_ge_i32_e64 s11, v61, v55
	v_cmp_lt_i32_e64 s12, v62, v56
	s_delay_alu instid0(VALU_DEP_2)
	s_or_b32 s10, s11, s10
	s_delay_alu instid0(VALU_DEP_1) | instid1(SALU_CYCLE_1)
	s_and_b32 s10, s12, s10
	s_delay_alu instid0(SALU_CYCLE_1) | instskip(NEXT) | instid1(SALU_CYCLE_1)
	s_xor_b32 s11, s10, -1
	s_and_saveexec_b32 s12, s11
	s_delay_alu instid0(SALU_CYCLE_1)
	s_xor_b32 s11, exec_lo, s12
	s_cbranch_execz .LBB155_124
; %bb.123:
	v_lshl_add_u32 v34, v61, 3, v53
	ds_load_b64 v[34:35], v34 offset:8
.LBB155_124:
	s_or_saveexec_b32 s11, s11
	v_dual_mov_b32 v37, v33 :: v_dual_mov_b32 v36, v32
	s_xor_b32 exec_lo, exec_lo, s11
	s_cbranch_execz .LBB155_126
; %bb.125:
	s_waitcnt lgkmcnt(0)
	v_lshl_add_u32 v34, v62, 3, v53
	ds_load_b64 v[36:37], v34 offset:8
	v_dual_mov_b32 v35, v31 :: v_dual_mov_b32 v34, v30
.LBB155_126:
	s_or_b32 exec_lo, exec_lo, s11
	v_add_nc_u32_e32 v38, 1, v61
	v_add_nc_u32_e32 v39, 1, v62
	s_waitcnt lgkmcnt(0)
	v_cmp_lt_i64_e64 s11, v[36:37], v[34:35]
	s_delay_alu instid0(VALU_DEP_3) | instskip(NEXT) | instid1(VALU_DEP_3)
	v_cndmask_b32_e64 v63, v38, v61, s10
	v_cndmask_b32_e64 v64, v62, v39, s10
                                        ; implicit-def: $vgpr38_vgpr39
	s_delay_alu instid0(VALU_DEP_2) | instskip(NEXT) | instid1(VALU_DEP_2)
	v_cmp_ge_i32_e64 s12, v63, v55
	v_cmp_lt_i32_e64 s13, v64, v56
	s_delay_alu instid0(VALU_DEP_2)
	s_or_b32 s11, s12, s11
	s_delay_alu instid0(VALU_DEP_1) | instid1(SALU_CYCLE_1)
	s_and_b32 s11, s13, s11
	s_delay_alu instid0(SALU_CYCLE_1) | instskip(NEXT) | instid1(SALU_CYCLE_1)
	s_xor_b32 s12, s11, -1
	s_and_saveexec_b32 s13, s12
	s_delay_alu instid0(SALU_CYCLE_1)
	s_xor_b32 s12, exec_lo, s13
	s_cbranch_execz .LBB155_128
; %bb.127:
	v_lshl_add_u32 v38, v63, 3, v53
	ds_load_b64 v[38:39], v38 offset:8
.LBB155_128:
	s_or_saveexec_b32 s12, s12
	v_dual_mov_b32 v41, v37 :: v_dual_mov_b32 v40, v36
	s_xor_b32 exec_lo, exec_lo, s12
	s_cbranch_execz .LBB155_130
; %bb.129:
	s_waitcnt lgkmcnt(0)
	v_lshl_add_u32 v38, v64, 3, v53
	ds_load_b64 v[40:41], v38 offset:8
	v_dual_mov_b32 v39, v35 :: v_dual_mov_b32 v38, v34
.LBB155_130:
	s_or_b32 exec_lo, exec_lo, s12
	v_add_nc_u32_e32 v42, 1, v63
	v_add_nc_u32_e32 v43, 1, v64
	s_waitcnt lgkmcnt(0)
	v_cmp_lt_i64_e64 s12, v[40:41], v[38:39]
	s_delay_alu instid0(VALU_DEP_3) | instskip(NEXT) | instid1(VALU_DEP_3)
	v_cndmask_b32_e64 v65, v42, v63, s11
	v_cndmask_b32_e64 v66, v64, v43, s11
                                        ; implicit-def: $vgpr42_vgpr43
	s_delay_alu instid0(VALU_DEP_2) | instskip(NEXT) | instid1(VALU_DEP_2)
	v_cmp_ge_i32_e64 s13, v65, v55
	v_cmp_lt_i32_e64 s14, v66, v56
	s_delay_alu instid0(VALU_DEP_2)
	s_or_b32 s12, s13, s12
	s_delay_alu instid0(VALU_DEP_1) | instid1(SALU_CYCLE_1)
	s_and_b32 s12, s14, s12
	s_delay_alu instid0(SALU_CYCLE_1) | instskip(NEXT) | instid1(SALU_CYCLE_1)
	s_xor_b32 s13, s12, -1
	s_and_saveexec_b32 s14, s13
	s_delay_alu instid0(SALU_CYCLE_1)
	s_xor_b32 s13, exec_lo, s14
	s_cbranch_execz .LBB155_132
; %bb.131:
	v_lshl_add_u32 v42, v65, 3, v53
	ds_load_b64 v[42:43], v42 offset:8
.LBB155_132:
	s_or_saveexec_b32 s13, s13
	v_dual_mov_b32 v45, v41 :: v_dual_mov_b32 v44, v40
	s_xor_b32 exec_lo, exec_lo, s13
	s_cbranch_execz .LBB155_134
; %bb.133:
	s_waitcnt lgkmcnt(0)
	v_lshl_add_u32 v42, v66, 3, v53
	ds_load_b64 v[44:45], v42 offset:8
	v_dual_mov_b32 v43, v39 :: v_dual_mov_b32 v42, v38
.LBB155_134:
	s_or_b32 exec_lo, exec_lo, s13
	v_add_nc_u32_e32 v46, 1, v65
	v_add_nc_u32_e32 v47, 1, v66
	s_waitcnt lgkmcnt(0)
	v_cmp_lt_i64_e64 s13, v[44:45], v[42:43]
                                        ; implicit-def: $vgpr69
	s_delay_alu instid0(VALU_DEP_3) | instskip(NEXT) | instid1(VALU_DEP_3)
	v_cndmask_b32_e64 v70, v46, v65, s12
	v_cndmask_b32_e64 v68, v66, v47, s12
                                        ; implicit-def: $vgpr46_vgpr47
	s_delay_alu instid0(VALU_DEP_2) | instskip(NEXT) | instid1(VALU_DEP_2)
	v_cmp_ge_i32_e64 s14, v70, v55
	v_cmp_lt_i32_e64 s15, v68, v56
	s_delay_alu instid0(VALU_DEP_2)
	s_or_b32 s13, s14, s13
	s_delay_alu instid0(VALU_DEP_1) | instid1(SALU_CYCLE_1)
	s_and_b32 s13, s15, s13
	s_delay_alu instid0(SALU_CYCLE_1) | instskip(NEXT) | instid1(SALU_CYCLE_1)
	s_xor_b32 s14, s13, -1
	s_and_saveexec_b32 s15, s14
	s_delay_alu instid0(SALU_CYCLE_1)
	s_xor_b32 s14, exec_lo, s15
	s_cbranch_execz .LBB155_136
; %bb.135:
	v_lshl_add_u32 v46, v70, 3, v53
	v_add_nc_u32_e32 v69, 1, v70
	ds_load_b64 v[46:47], v46 offset:8
.LBB155_136:
	s_or_saveexec_b32 s14, s14
	v_mov_b32_e32 v49, v45
	v_dual_mov_b32 v67, v70 :: v_dual_mov_b32 v48, v44
	s_xor_b32 exec_lo, exec_lo, s14
	s_cbranch_execz .LBB155_138
; %bb.137:
	s_waitcnt lgkmcnt(0)
	v_lshl_add_u32 v46, v68, 3, v53
	v_mov_b32_e32 v69, v70
	v_mov_b32_e32 v67, v68
	ds_load_b64 v[48:49], v46 offset:8
	v_add_nc_u32_e32 v46, 1, v68
	s_delay_alu instid0(VALU_DEP_1)
	v_dual_mov_b32 v68, v46 :: v_dual_mov_b32 v47, v43
	v_mov_b32_e32 v46, v42
.LBB155_138:
	s_or_b32 exec_lo, exec_lo, s14
	s_waitcnt lgkmcnt(0)
	s_delay_alu instid0(VALU_DEP_1)
	v_cmp_lt_i64_e64 s14, v[48:49], v[46:47]
	v_cmp_ge_i32_e64 s15, v69, v55
	v_cmp_lt_i32_e64 s16, v68, v56
	v_cndmask_b32_e64 v57, v57, v58, s8
	v_cndmask_b32_e64 v59, v59, v60, s9
	;; [unrolled: 1-line block ×3, first 2 shown]
	s_or_b32 s14, s15, s14
	v_cndmask_b32_e64 v55, v63, v64, s11
	s_and_b32 s14, s16, s14
	v_cndmask_b32_e64 v65, v65, v66, s12
	v_cndmask_b32_e64 v58, v69, v68, s14
	; wave barrier
	ds_store_2addr_b64 v54, v[16:17], v[18:19] offset1:1
	ds_store_2addr_b64 v54, v[8:9], v[12:13] offset0:2 offset1:3
	ds_store_2addr_b64 v54, v[10:11], v[14:15] offset0:4 offset1:5
	;; [unrolled: 1-line block ×3, first 2 shown]
	v_lshl_add_u32 v2, v57, 3, v53
	v_lshl_add_u32 v3, v59, 3, v53
	;; [unrolled: 1-line block ×5, first 2 shown]
	; wave barrier
	v_lshl_add_u32 v18, v67, 3, v53
	v_lshl_add_u32 v19, v58, 3, v53
	ds_load_b64 v[16:17], v2
	ds_load_b64 v[14:15], v3
	;; [unrolled: 1-line block ×7, first 2 shown]
	v_cndmask_b32_e64 v19, v23, v25, s7
	v_cndmask_b32_e64 v18, v22, v24, s7
	s_and_saveexec_b32 s15, s6
	s_cbranch_execz .LBB155_140
; %bb.139:
	v_cndmask_b32_e64 v22, v52, v51, s7
	s_delay_alu instid0(VALU_DEP_1) | instskip(SKIP_3) | instid1(VALU_DEP_1)
	v_lshl_add_u32 v22, v22, 3, v53
	ds_load_b64 v[22:23], v22
	s_waitcnt lgkmcnt(0)
	v_add_co_u32 v18, s7, v22, v18
	v_add_co_ci_u32_e64 v19, s7, v23, v19, s7
.LBB155_140:
	s_or_b32 exec_lo, exec_lo, s15
	v_add_co_u32 v0, s7, s18, v0
	s_delay_alu instid0(VALU_DEP_1) | instskip(NEXT) | instid1(VALU_DEP_2)
	v_add_co_ci_u32_e64 v1, s7, s19, v1, s7
	v_add_co_u32 v0, s7, v0, v50
	s_delay_alu instid0(VALU_DEP_1) | instskip(SKIP_1) | instid1(SALU_CYCLE_1)
	v_add_co_ci_u32_e64 v1, s7, 0, v1, s7
	s_and_saveexec_b32 s7, s6
	s_xor_b32 s6, exec_lo, s7
	s_cbranch_execnz .LBB155_149
; %bb.141:
	s_or_b32 exec_lo, exec_lo, s6
	s_and_saveexec_b32 s6, s5
	s_cbranch_execnz .LBB155_150
.LBB155_142:
	s_or_b32 exec_lo, exec_lo, s6
	s_and_saveexec_b32 s5, s4
	s_cbranch_execnz .LBB155_151
.LBB155_143:
	s_or_b32 exec_lo, exec_lo, s5
	s_and_saveexec_b32 s4, s3
	s_cbranch_execnz .LBB155_152
.LBB155_144:
	s_or_b32 exec_lo, exec_lo, s4
	s_and_saveexec_b32 s3, s2
	s_cbranch_execnz .LBB155_153
.LBB155_145:
	s_or_b32 exec_lo, exec_lo, s3
	s_and_saveexec_b32 s2, s1
	s_cbranch_execnz .LBB155_154
.LBB155_146:
	s_or_b32 exec_lo, exec_lo, s2
	s_and_saveexec_b32 s1, s0
	s_cbranch_execnz .LBB155_155
.LBB155_147:
	s_or_b32 exec_lo, exec_lo, s1
	s_and_saveexec_b32 s0, vcc_lo
	s_cbranch_execnz .LBB155_156
.LBB155_148:
	s_nop 0
	s_sendmsg sendmsg(MSG_DEALLOC_VGPRS)
	s_endpgm
.LBB155_149:
	global_store_b64 v[0:1], v[18:19], off
	s_or_b32 exec_lo, exec_lo, s6
	s_and_saveexec_b32 s6, s5
	s_cbranch_execz .LBB155_142
.LBB155_150:
	v_cndmask_b32_e64 v6, v6, v20, s8
	s_waitcnt lgkmcnt(6)
	v_cndmask_b32_e64 v16, 0, v16, s5
	v_cndmask_b32_e64 v7, v7, v21, s8
	v_cndmask_b32_e64 v17, 0, v17, s5
	s_delay_alu instid0(VALU_DEP_3) | instskip(NEXT) | instid1(VALU_DEP_1)
	v_add_co_u32 v6, s5, v16, v6
	v_add_co_ci_u32_e64 v7, s5, v17, v7, s5
	global_store_b64 v[0:1], v[6:7], off offset:8
	s_or_b32 exec_lo, exec_lo, s6
	s_and_saveexec_b32 s5, s4
	s_cbranch_execz .LBB155_143
.LBB155_151:
	v_cndmask_b32_e64 v6, v26, v28, s9
	s_waitcnt lgkmcnt(5)
	v_cndmask_b32_e64 v7, 0, v14, s4
	v_cndmask_b32_e64 v14, v27, v29, s9
	;; [unrolled: 1-line block ×3, first 2 shown]
	s_delay_alu instid0(VALU_DEP_3) | instskip(NEXT) | instid1(VALU_DEP_1)
	v_add_co_u32 v6, s4, v7, v6
	v_add_co_ci_u32_e64 v7, s4, v15, v14, s4
	global_store_b64 v[0:1], v[6:7], off offset:16
	s_or_b32 exec_lo, exec_lo, s5
	s_and_saveexec_b32 s4, s3
	s_cbranch_execz .LBB155_144
.LBB155_152:
	v_cndmask_b32_e64 v6, v30, v32, s10
	s_waitcnt lgkmcnt(4)
	v_cndmask_b32_e64 v7, 0, v12, s3
	v_cndmask_b32_e64 v12, v31, v33, s10
	;; [unrolled: 1-line block ×3, first 2 shown]
	s_delay_alu instid0(VALU_DEP_3) | instskip(NEXT) | instid1(VALU_DEP_1)
	v_add_co_u32 v6, s3, v7, v6
	v_add_co_ci_u32_e64 v7, s3, v13, v12, s3
	global_store_b64 v[0:1], v[6:7], off offset:24
	s_or_b32 exec_lo, exec_lo, s4
	s_and_saveexec_b32 s3, s2
	s_cbranch_execz .LBB155_145
.LBB155_153:
	v_cndmask_b32_e64 v6, v34, v36, s11
	s_waitcnt lgkmcnt(3)
	v_cndmask_b32_e64 v7, 0, v10, s2
	v_cndmask_b32_e64 v10, v35, v37, s11
	;; [unrolled: 1-line block ×3, first 2 shown]
	s_delay_alu instid0(VALU_DEP_3) | instskip(NEXT) | instid1(VALU_DEP_1)
	v_add_co_u32 v6, s2, v7, v6
	v_add_co_ci_u32_e64 v7, s2, v11, v10, s2
	global_store_b64 v[0:1], v[6:7], off offset:32
	s_or_b32 exec_lo, exec_lo, s3
	s_and_saveexec_b32 s2, s1
	s_cbranch_execz .LBB155_146
.LBB155_154:
	v_cndmask_b32_e64 v6, v38, v40, s12
	s_waitcnt lgkmcnt(2)
	v_cndmask_b32_e64 v7, 0, v8, s1
	v_cndmask_b32_e64 v8, v39, v41, s12
	v_cndmask_b32_e64 v9, 0, v9, s1
	s_delay_alu instid0(VALU_DEP_3) | instskip(NEXT) | instid1(VALU_DEP_1)
	v_add_co_u32 v6, s1, v7, v6
	v_add_co_ci_u32_e64 v7, s1, v9, v8, s1
	global_store_b64 v[0:1], v[6:7], off offset:40
	s_or_b32 exec_lo, exec_lo, s2
	s_and_saveexec_b32 s1, s0
	s_cbranch_execz .LBB155_147
.LBB155_155:
	v_cndmask_b32_e64 v6, v42, v44, s13
	s_waitcnt lgkmcnt(1)
	v_cndmask_b32_e64 v4, 0, v4, s0
	v_cndmask_b32_e64 v7, v43, v45, s13
	;; [unrolled: 1-line block ×3, first 2 shown]
	s_delay_alu instid0(VALU_DEP_3) | instskip(NEXT) | instid1(VALU_DEP_1)
	v_add_co_u32 v4, s0, v4, v6
	v_add_co_ci_u32_e64 v5, s0, v5, v7, s0
	global_store_b64 v[0:1], v[4:5], off offset:48
	s_or_b32 exec_lo, exec_lo, s1
	s_and_saveexec_b32 s0, vcc_lo
	s_cbranch_execz .LBB155_148
.LBB155_156:
	s_waitcnt lgkmcnt(1)
	v_cndmask_b32_e64 v4, v46, v48, s14
	s_waitcnt lgkmcnt(0)
	v_dual_cndmask_b32 v2, 0, v2 :: v_dual_cndmask_b32 v3, 0, v3
	v_cndmask_b32_e64 v5, v47, v49, s14
	s_delay_alu instid0(VALU_DEP_2) | instskip(NEXT) | instid1(VALU_DEP_2)
	v_add_co_u32 v2, vcc_lo, v2, v4
	v_add_co_ci_u32_e32 v3, vcc_lo, v3, v5, vcc_lo
	global_store_b64 v[0:1], v[2:3], off offset:56
	s_nop 0
	s_sendmsg sendmsg(MSG_DEALLOC_VGPRS)
	s_endpgm
	.section	.rodata,"a",@progbits
	.p2align	6, 0x0
	.amdhsa_kernel _Z20sort_pairs_segmentedILj256ELj4ELj8ExN10test_utils4lessEEvPKT2_PS2_PKjT3_
		.amdhsa_group_segment_fixed_size 16896
		.amdhsa_private_segment_fixed_size 0
		.amdhsa_kernarg_size 28
		.amdhsa_user_sgpr_count 15
		.amdhsa_user_sgpr_dispatch_ptr 0
		.amdhsa_user_sgpr_queue_ptr 0
		.amdhsa_user_sgpr_kernarg_segment_ptr 1
		.amdhsa_user_sgpr_dispatch_id 0
		.amdhsa_user_sgpr_private_segment_size 0
		.amdhsa_wavefront_size32 1
		.amdhsa_uses_dynamic_stack 0
		.amdhsa_enable_private_segment 0
		.amdhsa_system_sgpr_workgroup_id_x 1
		.amdhsa_system_sgpr_workgroup_id_y 0
		.amdhsa_system_sgpr_workgroup_id_z 0
		.amdhsa_system_sgpr_workgroup_info 0
		.amdhsa_system_vgpr_workitem_id 0
		.amdhsa_next_free_vgpr 73
		.amdhsa_next_free_sgpr 20
		.amdhsa_reserve_vcc 1
		.amdhsa_float_round_mode_32 0
		.amdhsa_float_round_mode_16_64 0
		.amdhsa_float_denorm_mode_32 3
		.amdhsa_float_denorm_mode_16_64 3
		.amdhsa_dx10_clamp 1
		.amdhsa_ieee_mode 1
		.amdhsa_fp16_overflow 0
		.amdhsa_workgroup_processor_mode 1
		.amdhsa_memory_ordered 1
		.amdhsa_forward_progress 0
		.amdhsa_shared_vgpr_count 0
		.amdhsa_exception_fp_ieee_invalid_op 0
		.amdhsa_exception_fp_denorm_src 0
		.amdhsa_exception_fp_ieee_div_zero 0
		.amdhsa_exception_fp_ieee_overflow 0
		.amdhsa_exception_fp_ieee_underflow 0
		.amdhsa_exception_fp_ieee_inexact 0
		.amdhsa_exception_int_div_zero 0
	.end_amdhsa_kernel
	.section	.text._Z20sort_pairs_segmentedILj256ELj4ELj8ExN10test_utils4lessEEvPKT2_PS2_PKjT3_,"axG",@progbits,_Z20sort_pairs_segmentedILj256ELj4ELj8ExN10test_utils4lessEEvPKT2_PS2_PKjT3_,comdat
.Lfunc_end155:
	.size	_Z20sort_pairs_segmentedILj256ELj4ELj8ExN10test_utils4lessEEvPKT2_PS2_PKjT3_, .Lfunc_end155-_Z20sort_pairs_segmentedILj256ELj4ELj8ExN10test_utils4lessEEvPKT2_PS2_PKjT3_
                                        ; -- End function
	.section	.AMDGPU.csdata,"",@progbits
; Kernel info:
; codeLenInByte = 6976
; NumSgprs: 22
; NumVgprs: 73
; ScratchSize: 0
; MemoryBound: 0
; FloatMode: 240
; IeeeMode: 1
; LDSByteSize: 16896 bytes/workgroup (compile time only)
; SGPRBlocks: 2
; VGPRBlocks: 9
; NumSGPRsForWavesPerEU: 22
; NumVGPRsForWavesPerEU: 73
; Occupancy: 14
; WaveLimiterHint : 0
; COMPUTE_PGM_RSRC2:SCRATCH_EN: 0
; COMPUTE_PGM_RSRC2:USER_SGPR: 15
; COMPUTE_PGM_RSRC2:TRAP_HANDLER: 0
; COMPUTE_PGM_RSRC2:TGID_X_EN: 1
; COMPUTE_PGM_RSRC2:TGID_Y_EN: 0
; COMPUTE_PGM_RSRC2:TGID_Z_EN: 0
; COMPUTE_PGM_RSRC2:TIDIG_COMP_CNT: 0
	.section	.text._Z9sort_keysILj256ELj16ELj1ExN10test_utils4lessEEvPKT2_PS2_T3_,"axG",@progbits,_Z9sort_keysILj256ELj16ELj1ExN10test_utils4lessEEvPKT2_PS2_T3_,comdat
	.protected	_Z9sort_keysILj256ELj16ELj1ExN10test_utils4lessEEvPKT2_PS2_T3_ ; -- Begin function _Z9sort_keysILj256ELj16ELj1ExN10test_utils4lessEEvPKT2_PS2_T3_
	.globl	_Z9sort_keysILj256ELj16ELj1ExN10test_utils4lessEEvPKT2_PS2_T3_
	.p2align	8
	.type	_Z9sort_keysILj256ELj16ELj1ExN10test_utils4lessEEvPKT2_PS2_T3_,@function
_Z9sort_keysILj256ELj16ELj1ExN10test_utils4lessEEvPKT2_PS2_T3_: ; @_Z9sort_keysILj256ELj16ELj1ExN10test_utils4lessEEvPKT2_PS2_T3_
; %bb.0:
	s_load_b128 s[0:3], s[0:1], 0x0
	s_mov_b32 s7, 0
	s_lshl_b32 s6, s15, 8
	v_lshlrev_b32_e32 v1, 3, v0
	s_lshl_b64 s[4:5], s[6:7], 3
	v_mbcnt_lo_u32_b32 v4, -1, 0
	v_lshrrev_b32_e32 v0, 4, v0
	s_delay_alu instid0(VALU_DEP_2) | instskip(SKIP_1) | instid1(VALU_DEP_2)
	v_and_b32_e32 v7, 14, v4
	v_and_b32_e32 v5, 1, v4
	v_or_b32_e32 v6, 1, v7
	s_delay_alu instid0(VALU_DEP_1)
	v_sub_nc_u32_e32 v2, v7, v6
	s_waitcnt lgkmcnt(0)
	s_add_u32 s0, s0, s4
	s_addc_u32 s1, s1, s5
	v_sub_nc_u32_e32 v8, v6, v7
	global_load_b64 v[10:11], v1, s[0:1]
	v_add_nc_u32_e32 v3, 2, v2
	s_mov_b32 s0, exec_lo
	v_min_i32_e32 v8, v5, v8
	; wave barrier
	s_delay_alu instid0(VALU_DEP_2) | instskip(SKIP_1) | instid1(VALU_DEP_2)
	v_sub_nc_u32_e32 v9, v5, v3
	v_cmp_ge_i32_e32 vcc_lo, v5, v3
	v_dual_cndmask_b32 v9, 0, v9 :: v_dual_and_b32 v2, 15, v4
	s_delay_alu instid0(VALU_DEP_1) | instskip(NEXT) | instid1(VALU_DEP_1)
	v_lshlrev_b32_e32 v12, 3, v2
	v_mad_u32_u24 v3, 0x88, v0, v12
	v_mul_u32_u24_e32 v0, 0x88, v0
	s_waitcnt vmcnt(0)
	ds_store_b64 v3, v[10:11]
	; wave barrier
	v_cmpx_lt_i32_e64 v9, v8
	s_cbranch_execz .LBB156_4
; %bb.1:
	v_lshl_add_u32 v10, v7, 3, v0
	v_lshlrev_b32_e32 v11, 3, v5
	s_delay_alu instid0(VALU_DEP_1)
	v_add3_u32 v11, v10, v11, 8
	.p2align	6
.LBB156_2:                              ; =>This Inner Loop Header: Depth=1
	v_sub_nc_u32_e32 v12, v8, v9
	s_delay_alu instid0(VALU_DEP_1) | instskip(NEXT) | instid1(VALU_DEP_1)
	v_lshrrev_b32_e32 v13, 31, v12
	v_add_nc_u32_e32 v12, v12, v13
	s_delay_alu instid0(VALU_DEP_1) | instskip(NEXT) | instid1(VALU_DEP_1)
	v_ashrrev_i32_e32 v12, 1, v12
	v_add_nc_u32_e32 v16, v12, v9
	s_delay_alu instid0(VALU_DEP_1) | instskip(SKIP_1) | instid1(VALU_DEP_2)
	v_not_b32_e32 v12, v16
	v_lshl_add_u32 v13, v16, 3, v10
	v_lshl_add_u32 v14, v12, 3, v11
	ds_load_b64 v[12:13], v13
	ds_load_b64 v[14:15], v14
	s_waitcnt lgkmcnt(0)
	v_cmp_lt_i64_e32 vcc_lo, v[14:15], v[12:13]
	v_add_nc_u32_e32 v12, 1, v16
	v_cndmask_b32_e32 v8, v8, v16, vcc_lo
	s_delay_alu instid0(VALU_DEP_2) | instskip(NEXT) | instid1(VALU_DEP_1)
	v_cndmask_b32_e32 v9, v12, v9, vcc_lo
	v_cmp_ge_i32_e32 vcc_lo, v9, v8
	s_or_b32 s7, vcc_lo, s7
	s_delay_alu instid0(SALU_CYCLE_1)
	s_and_not1_b32 exec_lo, exec_lo, s7
	s_cbranch_execnz .LBB156_2
; %bb.3:
	s_or_b32 exec_lo, exec_lo, s7
.LBB156_4:
	s_delay_alu instid0(SALU_CYCLE_1) | instskip(SKIP_4) | instid1(VALU_DEP_4)
	s_or_b32 exec_lo, exec_lo, s0
	v_add_nc_u32_e32 v8, v7, v5
	v_lshlrev_b32_e32 v10, 3, v9
	v_lshlrev_b32_e32 v7, 3, v7
	v_cmp_lt_i32_e64 s0, 0, v9
	v_sub_nc_u32_e32 v8, v8, v9
	s_delay_alu instid0(VALU_DEP_3) | instskip(NEXT) | instid1(VALU_DEP_2)
	v_add3_u32 v7, v0, v10, v7
	v_lshl_add_u32 v8, v8, 3, v0
	ds_load_b64 v[11:12], v7
	ds_load_b64 v[13:14], v8 offset:8
	v_and_b32_e32 v10, 12, v4
	v_add_nc_u32_e32 v15, v6, v5
	v_and_b32_e32 v8, 3, v4
	; wave barrier
	s_delay_alu instid0(VALU_DEP_3) | instskip(SKIP_1) | instid1(VALU_DEP_4)
	v_or_b32_e32 v7, 2, v10
	v_add_nc_u32_e32 v5, 4, v10
	v_sub_nc_u32_e32 v15, v15, v9
	s_delay_alu instid0(VALU_DEP_2) | instskip(NEXT) | instid1(VALU_DEP_2)
	v_sub_nc_u32_e32 v16, v5, v7
	v_cmp_ge_i32_e64 s1, v6, v15
	s_delay_alu instid0(VALU_DEP_2)
	v_sub_nc_u32_e32 v18, v8, v16
	s_waitcnt lgkmcnt(0)
	v_cmp_lt_i64_e32 vcc_lo, v[13:14], v[11:12]
	s_or_b32 s0, s0, vcc_lo
	v_cmp_ge_i32_e32 vcc_lo, v8, v16
	v_cndmask_b32_e32 v6, 0, v18, vcc_lo
	s_and_b32 vcc_lo, s1, s0
	s_mov_b32 s0, 0
	v_dual_cndmask_b32 v12, v12, v14 :: v_dual_cndmask_b32 v11, v11, v13
	v_sub_nc_u32_e32 v17, v7, v10
	s_mov_b32 s1, exec_lo
	ds_store_b64 v3, v[11:12]
	v_min_i32_e32 v9, v8, v17
	; wave barrier
	s_delay_alu instid0(VALU_DEP_1)
	v_cmpx_lt_i32_e64 v6, v9
	s_cbranch_execz .LBB156_8
; %bb.5:
	v_lshl_add_u32 v11, v10, 3, v0
	v_lshlrev_b32_e32 v12, 3, v8
	s_delay_alu instid0(VALU_DEP_1)
	v_add3_u32 v12, v11, v12, 16
	.p2align	6
.LBB156_6:                              ; =>This Inner Loop Header: Depth=1
	v_sub_nc_u32_e32 v13, v9, v6
	s_delay_alu instid0(VALU_DEP_1) | instskip(NEXT) | instid1(VALU_DEP_1)
	v_lshrrev_b32_e32 v14, 31, v13
	v_add_nc_u32_e32 v13, v13, v14
	s_delay_alu instid0(VALU_DEP_1) | instskip(NEXT) | instid1(VALU_DEP_1)
	v_ashrrev_i32_e32 v13, 1, v13
	v_add_nc_u32_e32 v17, v13, v6
	s_delay_alu instid0(VALU_DEP_1) | instskip(SKIP_1) | instid1(VALU_DEP_2)
	v_not_b32_e32 v13, v17
	v_lshl_add_u32 v14, v17, 3, v11
	v_lshl_add_u32 v15, v13, 3, v12
	ds_load_b64 v[13:14], v14
	ds_load_b64 v[15:16], v15
	s_waitcnt lgkmcnt(0)
	v_cmp_lt_i64_e32 vcc_lo, v[15:16], v[13:14]
	v_add_nc_u32_e32 v13, 1, v17
	v_cndmask_b32_e32 v9, v9, v17, vcc_lo
	s_delay_alu instid0(VALU_DEP_2) | instskip(NEXT) | instid1(VALU_DEP_1)
	v_cndmask_b32_e32 v6, v13, v6, vcc_lo
	v_cmp_ge_i32_e32 vcc_lo, v6, v9
	s_or_b32 s0, vcc_lo, s0
	s_delay_alu instid0(SALU_CYCLE_1)
	s_and_not1_b32 exec_lo, exec_lo, s0
	s_cbranch_execnz .LBB156_6
; %bb.7:
	s_or_b32 exec_lo, exec_lo, s0
.LBB156_8:
	s_delay_alu instid0(SALU_CYCLE_1)
	s_or_b32 exec_lo, exec_lo, s1
	v_add_nc_u32_e32 v9, v10, v8
	v_lshlrev_b32_e32 v11, 3, v6
	v_lshlrev_b32_e32 v10, 3, v10
	v_add_nc_u32_e32 v14, v7, v8
	v_cmp_lt_i32_e64 s0, 1, v6
	v_sub_nc_u32_e32 v9, v9, v6
	s_delay_alu instid0(VALU_DEP_4) | instskip(NEXT) | instid1(VALU_DEP_4)
	v_add3_u32 v10, v0, v11, v10
	v_sub_nc_u32_e32 v14, v14, v6
	s_delay_alu instid0(VALU_DEP_3)
	v_lshl_add_u32 v9, v9, 3, v0
	ds_load_b64 v[10:11], v10
	ds_load_b64 v[12:13], v9 offset:16
	v_and_b32_e32 v9, 8, v4
	v_and_b32_e32 v4, 7, v4
	v_cmp_gt_i32_e64 s1, v5, v14
	; wave barrier
	s_delay_alu instid0(VALU_DEP_3) | instskip(SKIP_1) | instid1(VALU_DEP_2)
	v_or_b32_e32 v8, 4, v9
	v_add_nc_u32_e32 v7, 8, v9
	v_sub_nc_u32_e32 v16, v8, v9
	s_delay_alu instid0(VALU_DEP_2) | instskip(NEXT) | instid1(VALU_DEP_1)
	v_sub_nc_u32_e32 v15, v7, v8
	v_sub_nc_u32_e32 v17, v4, v15
	s_waitcnt lgkmcnt(0)
	v_cmp_lt_i64_e32 vcc_lo, v[12:13], v[10:11]
	s_or_b32 s0, s0, vcc_lo
	v_cmp_ge_i32_e32 vcc_lo, v4, v15
	v_cndmask_b32_e32 v5, 0, v17, vcc_lo
	s_and_b32 vcc_lo, s1, s0
	s_mov_b32 s0, 0
	v_cndmask_b32_e32 v11, v11, v13, vcc_lo
	v_min_i32_e32 v6, v4, v16
	v_cndmask_b32_e32 v10, v10, v12, vcc_lo
	s_mov_b32 s1, exec_lo
	ds_store_b64 v3, v[10:11]
	; wave barrier
	v_cmpx_lt_i32_e64 v5, v6
	s_cbranch_execz .LBB156_12
; %bb.9:
	v_lshl_add_u32 v10, v9, 3, v0
	v_lshlrev_b32_e32 v11, 3, v4
	s_delay_alu instid0(VALU_DEP_1)
	v_add3_u32 v11, v10, v11, 32
	.p2align	6
.LBB156_10:                             ; =>This Inner Loop Header: Depth=1
	v_sub_nc_u32_e32 v12, v6, v5
	s_delay_alu instid0(VALU_DEP_1) | instskip(NEXT) | instid1(VALU_DEP_1)
	v_lshrrev_b32_e32 v13, 31, v12
	v_add_nc_u32_e32 v12, v12, v13
	s_delay_alu instid0(VALU_DEP_1) | instskip(NEXT) | instid1(VALU_DEP_1)
	v_ashrrev_i32_e32 v12, 1, v12
	v_add_nc_u32_e32 v16, v12, v5
	s_delay_alu instid0(VALU_DEP_1) | instskip(SKIP_1) | instid1(VALU_DEP_2)
	v_not_b32_e32 v12, v16
	v_lshl_add_u32 v13, v16, 3, v10
	v_lshl_add_u32 v14, v12, 3, v11
	ds_load_b64 v[12:13], v13
	ds_load_b64 v[14:15], v14
	s_waitcnt lgkmcnt(0)
	v_cmp_lt_i64_e32 vcc_lo, v[14:15], v[12:13]
	v_add_nc_u32_e32 v12, 1, v16
	s_delay_alu instid0(VALU_DEP_1) | instskip(NEXT) | instid1(VALU_DEP_1)
	v_dual_cndmask_b32 v6, v6, v16 :: v_dual_cndmask_b32 v5, v12, v5
	v_cmp_ge_i32_e32 vcc_lo, v5, v6
	s_or_b32 s0, vcc_lo, s0
	s_delay_alu instid0(SALU_CYCLE_1)
	s_and_not1_b32 exec_lo, exec_lo, s0
	s_cbranch_execnz .LBB156_10
; %bb.11:
	s_or_b32 exec_lo, exec_lo, s0
.LBB156_12:
	s_delay_alu instid0(SALU_CYCLE_1)
	s_or_b32 exec_lo, exec_lo, s1
	v_add_nc_u32_e32 v6, v9, v4
	v_lshlrev_b32_e32 v10, 3, v5
	v_lshlrev_b32_e32 v9, 3, v9
	v_add_nc_u32_e32 v4, v8, v4
	v_cmp_lt_i32_e64 s0, 3, v5
	v_sub_nc_u32_e32 v6, v6, v5
	s_delay_alu instid0(VALU_DEP_4) | instskip(NEXT) | instid1(VALU_DEP_4)
	v_add3_u32 v9, v0, v10, v9
	v_sub_nc_u32_e32 v4, v4, v5
	v_min_i32_e32 v5, 8, v2
	s_delay_alu instid0(VALU_DEP_4)
	v_lshl_add_u32 v6, v6, 3, v0
	ds_load_b64 v[9:10], v9
	ds_load_b64 v[11:12], v6 offset:32
	v_cmp_gt_i32_e64 s1, v7, v4
	v_sub_nc_u32_e64 v4, v2, 8 clamp
	; wave barrier
	s_waitcnt lgkmcnt(0)
	v_cmp_lt_i64_e32 vcc_lo, v[11:12], v[9:10]
	s_or_b32 s0, s0, vcc_lo
	s_delay_alu instid0(SALU_CYCLE_1)
	s_and_b32 vcc_lo, s1, s0
	s_mov_b32 s0, exec_lo
	v_dual_cndmask_b32 v7, v10, v12 :: v_dual_cndmask_b32 v6, v9, v11
	ds_store_b64 v3, v[6:7]
	; wave barrier
	v_cmpx_lt_u32_e64 v4, v5
	s_cbranch_execz .LBB156_16
; %bb.13:
	v_add_nc_u32_e32 v3, 64, v3
	s_mov_b32 s1, 0
	.p2align	6
.LBB156_14:                             ; =>This Inner Loop Header: Depth=1
	v_sub_nc_u32_e32 v6, v5, v4
	s_delay_alu instid0(VALU_DEP_1) | instskip(NEXT) | instid1(VALU_DEP_1)
	v_lshrrev_b32_e32 v7, 31, v6
	v_add_nc_u32_e32 v6, v6, v7
	s_delay_alu instid0(VALU_DEP_1) | instskip(NEXT) | instid1(VALU_DEP_1)
	v_ashrrev_i32_e32 v6, 1, v6
	v_add_nc_u32_e32 v10, v6, v4
	s_delay_alu instid0(VALU_DEP_1) | instskip(SKIP_1) | instid1(VALU_DEP_2)
	v_not_b32_e32 v6, v10
	v_lshl_add_u32 v7, v10, 3, v0
	v_lshl_add_u32 v8, v6, 3, v3
	ds_load_b64 v[6:7], v7
	ds_load_b64 v[8:9], v8
	s_waitcnt lgkmcnt(0)
	v_cmp_lt_i64_e32 vcc_lo, v[8:9], v[6:7]
	v_add_nc_u32_e32 v6, 1, v10
	s_delay_alu instid0(VALU_DEP_1) | instskip(NEXT) | instid1(VALU_DEP_1)
	v_dual_cndmask_b32 v5, v5, v10 :: v_dual_cndmask_b32 v4, v6, v4
	v_cmp_ge_i32_e32 vcc_lo, v4, v5
	s_or_b32 s1, vcc_lo, s1
	s_delay_alu instid0(SALU_CYCLE_1)
	s_and_not1_b32 exec_lo, exec_lo, s1
	s_cbranch_execnz .LBB156_14
; %bb.15:
	s_or_b32 exec_lo, exec_lo, s1
.LBB156_16:
	s_delay_alu instid0(SALU_CYCLE_1) | instskip(SKIP_3) | instid1(VALU_DEP_3)
	s_or_b32 exec_lo, exec_lo, s0
	v_sub_nc_u32_e32 v7, v2, v4
	v_lshl_add_u32 v2, v4, 3, v0
	v_cmp_lt_i32_e64 s0, 7, v4
	v_lshl_add_u32 v0, v7, 3, v0
	ds_load_b64 v[2:3], v2
	ds_load_b64 v[5:6], v0 offset:64
	v_add_nc_u32_e32 v0, 8, v7
	s_delay_alu instid0(VALU_DEP_1)
	v_cmp_gt_i32_e64 s1, 16, v0
	s_waitcnt lgkmcnt(0)
	v_cmp_lt_i64_e32 vcc_lo, v[5:6], v[2:3]
	s_or_b32 s0, s0, vcc_lo
	s_delay_alu instid0(VALU_DEP_2) | instid1(SALU_CYCLE_1)
	s_and_b32 vcc_lo, s1, s0
	s_add_u32 s0, s2, s4
	v_dual_cndmask_b32 v3, v3, v6 :: v_dual_cndmask_b32 v2, v2, v5
	s_addc_u32 s1, s3, s5
	global_store_b64 v1, v[2:3], s[0:1]
	s_nop 0
	s_sendmsg sendmsg(MSG_DEALLOC_VGPRS)
	s_endpgm
	.section	.rodata,"a",@progbits
	.p2align	6, 0x0
	.amdhsa_kernel _Z9sort_keysILj256ELj16ELj1ExN10test_utils4lessEEvPKT2_PS2_T3_
		.amdhsa_group_segment_fixed_size 2176
		.amdhsa_private_segment_fixed_size 0
		.amdhsa_kernarg_size 20
		.amdhsa_user_sgpr_count 15
		.amdhsa_user_sgpr_dispatch_ptr 0
		.amdhsa_user_sgpr_queue_ptr 0
		.amdhsa_user_sgpr_kernarg_segment_ptr 1
		.amdhsa_user_sgpr_dispatch_id 0
		.amdhsa_user_sgpr_private_segment_size 0
		.amdhsa_wavefront_size32 1
		.amdhsa_uses_dynamic_stack 0
		.amdhsa_enable_private_segment 0
		.amdhsa_system_sgpr_workgroup_id_x 1
		.amdhsa_system_sgpr_workgroup_id_y 0
		.amdhsa_system_sgpr_workgroup_id_z 0
		.amdhsa_system_sgpr_workgroup_info 0
		.amdhsa_system_vgpr_workitem_id 0
		.amdhsa_next_free_vgpr 19
		.amdhsa_next_free_sgpr 16
		.amdhsa_reserve_vcc 1
		.amdhsa_float_round_mode_32 0
		.amdhsa_float_round_mode_16_64 0
		.amdhsa_float_denorm_mode_32 3
		.amdhsa_float_denorm_mode_16_64 3
		.amdhsa_dx10_clamp 1
		.amdhsa_ieee_mode 1
		.amdhsa_fp16_overflow 0
		.amdhsa_workgroup_processor_mode 1
		.amdhsa_memory_ordered 1
		.amdhsa_forward_progress 0
		.amdhsa_shared_vgpr_count 0
		.amdhsa_exception_fp_ieee_invalid_op 0
		.amdhsa_exception_fp_denorm_src 0
		.amdhsa_exception_fp_ieee_div_zero 0
		.amdhsa_exception_fp_ieee_overflow 0
		.amdhsa_exception_fp_ieee_underflow 0
		.amdhsa_exception_fp_ieee_inexact 0
		.amdhsa_exception_int_div_zero 0
	.end_amdhsa_kernel
	.section	.text._Z9sort_keysILj256ELj16ELj1ExN10test_utils4lessEEvPKT2_PS2_T3_,"axG",@progbits,_Z9sort_keysILj256ELj16ELj1ExN10test_utils4lessEEvPKT2_PS2_T3_,comdat
.Lfunc_end156:
	.size	_Z9sort_keysILj256ELj16ELj1ExN10test_utils4lessEEvPKT2_PS2_T3_, .Lfunc_end156-_Z9sort_keysILj256ELj16ELj1ExN10test_utils4lessEEvPKT2_PS2_T3_
                                        ; -- End function
	.section	.AMDGPU.csdata,"",@progbits
; Kernel info:
; codeLenInByte = 1368
; NumSgprs: 18
; NumVgprs: 19
; ScratchSize: 0
; MemoryBound: 0
; FloatMode: 240
; IeeeMode: 1
; LDSByteSize: 2176 bytes/workgroup (compile time only)
; SGPRBlocks: 2
; VGPRBlocks: 2
; NumSGPRsForWavesPerEU: 18
; NumVGPRsForWavesPerEU: 19
; Occupancy: 16
; WaveLimiterHint : 0
; COMPUTE_PGM_RSRC2:SCRATCH_EN: 0
; COMPUTE_PGM_RSRC2:USER_SGPR: 15
; COMPUTE_PGM_RSRC2:TRAP_HANDLER: 0
; COMPUTE_PGM_RSRC2:TGID_X_EN: 1
; COMPUTE_PGM_RSRC2:TGID_Y_EN: 0
; COMPUTE_PGM_RSRC2:TGID_Z_EN: 0
; COMPUTE_PGM_RSRC2:TIDIG_COMP_CNT: 0
	.section	.text._Z10sort_pairsILj256ELj16ELj1ExN10test_utils4lessEEvPKT2_PS2_T3_,"axG",@progbits,_Z10sort_pairsILj256ELj16ELj1ExN10test_utils4lessEEvPKT2_PS2_T3_,comdat
	.protected	_Z10sort_pairsILj256ELj16ELj1ExN10test_utils4lessEEvPKT2_PS2_T3_ ; -- Begin function _Z10sort_pairsILj256ELj16ELj1ExN10test_utils4lessEEvPKT2_PS2_T3_
	.globl	_Z10sort_pairsILj256ELj16ELj1ExN10test_utils4lessEEvPKT2_PS2_T3_
	.p2align	8
	.type	_Z10sort_pairsILj256ELj16ELj1ExN10test_utils4lessEEvPKT2_PS2_T3_,@function
_Z10sort_pairsILj256ELj16ELj1ExN10test_utils4lessEEvPKT2_PS2_T3_: ; @_Z10sort_pairsILj256ELj16ELj1ExN10test_utils4lessEEvPKT2_PS2_T3_
; %bb.0:
	s_load_b128 s[4:7], s[0:1], 0x0
	s_mov_b32 s1, 0
	s_lshl_b32 s0, s15, 8
	v_lshlrev_b32_e32 v3, 3, v0
	s_lshl_b64 s[8:9], s[0:1], 3
	v_mbcnt_lo_u32_b32 v7, -1, 0
	v_lshrrev_b32_e32 v6, 4, v0
	s_mov_b32 s0, exec_lo
	s_delay_alu instid0(VALU_DEP_2) | instskip(SKIP_1) | instid1(VALU_DEP_2)
	v_and_b32_e32 v8, 14, v7
	v_and_b32_e32 v10, 1, v7
	v_or_b32_e32 v9, 1, v8
	v_lshlrev_b32_e32 v14, 3, v8
	s_delay_alu instid0(VALU_DEP_2)
	v_sub_nc_u32_e32 v4, v8, v9
	s_waitcnt lgkmcnt(0)
	s_add_u32 s2, s4, s8
	s_addc_u32 s3, s5, s9
	v_sub_nc_u32_e32 v11, v9, v8
	global_load_b64 v[1:2], v3, s[2:3]
	v_add_nc_u32_e32 v4, 2, v4
	; wave barrier
	v_min_i32_e32 v12, v10, v11
	v_mad_u32_u24 v11, 0x88, v6, v14
	s_delay_alu instid0(VALU_DEP_3) | instskip(SKIP_1) | instid1(VALU_DEP_2)
	v_sub_nc_u32_e32 v0, v10, v4
	v_cmp_ge_i32_e32 vcc_lo, v10, v4
	v_dual_cndmask_b32 v0, 0, v0 :: v_dual_and_b32 v5, 15, v7
	s_delay_alu instid0(VALU_DEP_1) | instskip(NEXT) | instid1(VALU_DEP_1)
	v_lshlrev_b32_e32 v13, 3, v5
	v_mad_u32_u24 v4, 0x88, v6, v13
	s_waitcnt vmcnt(0)
	ds_store_b64 v4, v[1:2]
	; wave barrier
	v_cmpx_lt_i32_e64 v0, v12
	s_cbranch_execz .LBB157_4
; %bb.1:
	v_lshlrev_b32_e32 v13, 3, v10
	s_delay_alu instid0(VALU_DEP_1)
	v_add3_u32 v13, v11, v13, 8
	.p2align	6
.LBB157_2:                              ; =>This Inner Loop Header: Depth=1
	v_sub_nc_u32_e32 v14, v12, v0
	s_delay_alu instid0(VALU_DEP_1) | instskip(NEXT) | instid1(VALU_DEP_1)
	v_lshrrev_b32_e32 v15, 31, v14
	v_add_nc_u32_e32 v14, v14, v15
	s_delay_alu instid0(VALU_DEP_1) | instskip(NEXT) | instid1(VALU_DEP_1)
	v_ashrrev_i32_e32 v14, 1, v14
	v_add_nc_u32_e32 v18, v14, v0
	s_delay_alu instid0(VALU_DEP_1) | instskip(SKIP_1) | instid1(VALU_DEP_2)
	v_not_b32_e32 v14, v18
	v_lshl_add_u32 v15, v18, 3, v11
	v_lshl_add_u32 v16, v14, 3, v13
	ds_load_b64 v[14:15], v15
	ds_load_b64 v[16:17], v16
	s_waitcnt lgkmcnt(0)
	v_cmp_lt_i64_e32 vcc_lo, v[16:17], v[14:15]
	v_add_nc_u32_e32 v14, 1, v18
	v_cndmask_b32_e32 v12, v12, v18, vcc_lo
	s_delay_alu instid0(VALU_DEP_2) | instskip(NEXT) | instid1(VALU_DEP_1)
	v_cndmask_b32_e32 v0, v14, v0, vcc_lo
	v_cmp_ge_i32_e32 vcc_lo, v0, v12
	s_or_b32 s1, vcc_lo, s1
	s_delay_alu instid0(SALU_CYCLE_1)
	s_and_not1_b32 exec_lo, exec_lo, s1
	s_cbranch_execnz .LBB157_2
; %bb.3:
	s_or_b32 exec_lo, exec_lo, s1
.LBB157_4:
	s_delay_alu instid0(SALU_CYCLE_1)
	s_or_b32 exec_lo, exec_lo, s0
	v_add_nc_u32_e32 v12, v8, v10
	v_mul_u32_u24_e32 v6, 0x88, v6
	v_lshl_add_u32 v11, v0, 3, v11
	v_add_nc_u32_e32 v10, v9, v10
	v_cmp_lt_i32_e32 vcc_lo, 0, v0
	v_sub_nc_u32_e32 v12, v12, v0
	s_delay_alu instid0(VALU_DEP_1) | instskip(SKIP_4) | instid1(VALU_DEP_2)
	v_lshl_add_u32 v14, v12, 3, v6
	ds_load_b64 v[12:13], v11
	ds_load_b64 v[14:15], v14 offset:8
	v_sub_nc_u32_e32 v11, v10, v0
	v_add_nc_u32_e32 v0, v0, v8
	; wave barrier
	v_cmp_ge_i32_e64 s0, v9, v11
	v_add_co_u32 v9, s2, v1, 1
	s_delay_alu instid0(VALU_DEP_1)
	v_add_co_ci_u32_e64 v10, s2, 0, v2, s2
	v_and_b32_e32 v2, 12, v7
	ds_store_b64 v4, v[9:10]
	v_or_b32_e32 v9, 2, v2
	v_add_nc_u32_e32 v8, 4, v2
	; wave barrier
	v_and_b32_e32 v10, 3, v7
	s_waitcnt lgkmcnt(1)
	v_cmp_lt_i64_e64 s1, v[14:15], v[12:13]
	v_sub_nc_u32_e32 v16, v9, v2
	s_delay_alu instid0(VALU_DEP_2) | instskip(NEXT) | instid1(SALU_CYCLE_1)
	s_or_b32 s1, vcc_lo, s1
	s_and_b32 vcc_lo, s0, s1
	s_mov_b32 s1, exec_lo
	v_cndmask_b32_e32 v15, v13, v15, vcc_lo
	v_cndmask_b32_e32 v0, v0, v11, vcc_lo
	v_sub_nc_u32_e32 v11, v8, v9
	v_cndmask_b32_e32 v14, v12, v14, vcc_lo
	v_lshl_add_u32 v12, v2, 3, v6
	s_delay_alu instid0(VALU_DEP_4) | instskip(NEXT) | instid1(VALU_DEP_4)
	v_lshl_add_u32 v0, v0, 3, v6
	v_sub_nc_u32_e32 v13, v10, v11
	v_cmp_ge_i32_e64 s0, v10, v11
	ds_load_b64 v[0:1], v0
	v_cndmask_b32_e64 v11, 0, v13, s0
	v_min_i32_e32 v13, v10, v16
	s_mov_b32 s0, 0
	; wave barrier
	ds_store_b64 v4, v[14:15]
	; wave barrier
	v_cmpx_lt_i32_e64 v11, v13
	s_cbranch_execz .LBB157_8
; %bb.5:
	v_lshlrev_b32_e32 v14, 3, v10
	s_delay_alu instid0(VALU_DEP_1)
	v_add3_u32 v14, v12, v14, 16
	.p2align	6
.LBB157_6:                              ; =>This Inner Loop Header: Depth=1
	v_sub_nc_u32_e32 v15, v13, v11
	s_delay_alu instid0(VALU_DEP_1) | instskip(NEXT) | instid1(VALU_DEP_1)
	v_lshrrev_b32_e32 v16, 31, v15
	v_add_nc_u32_e32 v15, v15, v16
	s_delay_alu instid0(VALU_DEP_1) | instskip(NEXT) | instid1(VALU_DEP_1)
	v_ashrrev_i32_e32 v15, 1, v15
	v_add_nc_u32_e32 v19, v15, v11
	s_delay_alu instid0(VALU_DEP_1) | instskip(SKIP_1) | instid1(VALU_DEP_2)
	v_not_b32_e32 v15, v19
	v_lshl_add_u32 v16, v19, 3, v12
	v_lshl_add_u32 v17, v15, 3, v14
	ds_load_b64 v[15:16], v16
	ds_load_b64 v[17:18], v17
	s_waitcnt lgkmcnt(0)
	v_cmp_lt_i64_e32 vcc_lo, v[17:18], v[15:16]
	v_add_nc_u32_e32 v15, 1, v19
	v_cndmask_b32_e32 v13, v13, v19, vcc_lo
	s_delay_alu instid0(VALU_DEP_2) | instskip(NEXT) | instid1(VALU_DEP_1)
	v_cndmask_b32_e32 v11, v15, v11, vcc_lo
	v_cmp_ge_i32_e32 vcc_lo, v11, v13
	s_or_b32 s0, vcc_lo, s0
	s_delay_alu instid0(SALU_CYCLE_1)
	s_and_not1_b32 exec_lo, exec_lo, s0
	s_cbranch_execnz .LBB157_6
; %bb.7:
	s_or_b32 exec_lo, exec_lo, s0
.LBB157_8:
	s_delay_alu instid0(SALU_CYCLE_1) | instskip(SKIP_3) | instid1(VALU_DEP_3)
	s_or_b32 exec_lo, exec_lo, s1
	v_add_nc_u32_e32 v9, v9, v10
	v_lshl_add_u32 v12, v11, 3, v12
	v_cmp_lt_i32_e64 s0, 1, v11
	v_sub_nc_u32_e32 v9, v9, v11
	s_delay_alu instid0(VALU_DEP_1) | instskip(SKIP_4) | instid1(VALU_DEP_3)
	v_cmp_gt_i32_e64 s1, v8, v9
	v_add_nc_u32_e32 v8, v11, v2
	v_add_nc_u32_e32 v13, v2, v10
	v_and_b32_e32 v2, 8, v7
	v_and_b32_e32 v7, 7, v7
	v_sub_nc_u32_e32 v13, v13, v11
	s_delay_alu instid0(VALU_DEP_1)
	v_lshl_add_u32 v15, v13, 3, v6
	ds_load_b64 v[13:14], v12
	ds_load_b64 v[15:16], v15 offset:16
	; wave barrier
	s_waitcnt lgkmcnt(3)
	ds_store_b64 v4, v[0:1]
	; wave barrier
	s_waitcnt lgkmcnt(1)
	v_cmp_lt_i64_e32 vcc_lo, v[15:16], v[13:14]
	s_or_b32 s0, s0, vcc_lo
	s_delay_alu instid0(SALU_CYCLE_1)
	s_and_b32 vcc_lo, s1, s0
	s_mov_b32 s1, 0
	v_dual_cndmask_b32 v13, v13, v15 :: v_dual_cndmask_b32 v10, v8, v9
	v_or_b32_e32 v9, 4, v2
	v_add_nc_u32_e32 v8, 8, v2
	v_cndmask_b32_e32 v14, v14, v16, vcc_lo
	s_delay_alu instid0(VALU_DEP_4) | instskip(NEXT) | instid1(VALU_DEP_4)
	v_lshl_add_u32 v0, v10, 3, v6
	v_sub_nc_u32_e32 v12, v9, v2
	s_delay_alu instid0(VALU_DEP_4)
	v_sub_nc_u32_e32 v10, v8, v9
	ds_load_b64 v[0:1], v0
	v_min_i32_e32 v12, v7, v12
	v_sub_nc_u32_e32 v11, v7, v10
	v_cmp_ge_i32_e64 s0, v7, v10
	; wave barrier
	ds_store_b64 v4, v[13:14]
	v_cndmask_b32_e64 v10, 0, v11, s0
	v_lshl_add_u32 v11, v2, 3, v6
	s_mov_b32 s0, exec_lo
	; wave barrier
	s_delay_alu instid0(VALU_DEP_2)
	v_cmpx_lt_i32_e64 v10, v12
	s_cbranch_execz .LBB157_12
; %bb.9:
	v_lshlrev_b32_e32 v13, 3, v7
	s_delay_alu instid0(VALU_DEP_1)
	v_add3_u32 v13, v11, v13, 32
	.p2align	6
.LBB157_10:                             ; =>This Inner Loop Header: Depth=1
	v_sub_nc_u32_e32 v14, v12, v10
	s_delay_alu instid0(VALU_DEP_1) | instskip(NEXT) | instid1(VALU_DEP_1)
	v_lshrrev_b32_e32 v15, 31, v14
	v_add_nc_u32_e32 v14, v14, v15
	s_delay_alu instid0(VALU_DEP_1) | instskip(NEXT) | instid1(VALU_DEP_1)
	v_ashrrev_i32_e32 v14, 1, v14
	v_add_nc_u32_e32 v18, v14, v10
	s_delay_alu instid0(VALU_DEP_1) | instskip(SKIP_1) | instid1(VALU_DEP_2)
	v_not_b32_e32 v14, v18
	v_lshl_add_u32 v15, v18, 3, v11
	v_lshl_add_u32 v16, v14, 3, v13
	ds_load_b64 v[14:15], v15
	ds_load_b64 v[16:17], v16
	s_waitcnt lgkmcnt(0)
	v_cmp_lt_i64_e32 vcc_lo, v[16:17], v[14:15]
	v_add_nc_u32_e32 v14, 1, v18
	v_cndmask_b32_e32 v12, v12, v18, vcc_lo
	s_delay_alu instid0(VALU_DEP_2) | instskip(NEXT) | instid1(VALU_DEP_1)
	v_cndmask_b32_e32 v10, v14, v10, vcc_lo
	v_cmp_ge_i32_e32 vcc_lo, v10, v12
	s_or_b32 s1, vcc_lo, s1
	s_delay_alu instid0(SALU_CYCLE_1)
	s_and_not1_b32 exec_lo, exec_lo, s1
	s_cbranch_execnz .LBB157_10
; %bb.11:
	s_or_b32 exec_lo, exec_lo, s1
.LBB157_12:
	s_delay_alu instid0(SALU_CYCLE_1) | instskip(SKIP_4) | instid1(VALU_DEP_4)
	s_or_b32 exec_lo, exec_lo, s0
	v_add_nc_u32_e32 v12, v2, v7
	v_lshl_add_u32 v11, v10, 3, v11
	v_cmp_lt_i32_e64 s0, 3, v10
	v_add_nc_u32_e32 v2, v10, v2
	v_sub_nc_u32_e32 v12, v12, v10
	s_delay_alu instid0(VALU_DEP_1)
	v_lshl_add_u32 v13, v12, 3, v6
	ds_load_b64 v[11:12], v11
	ds_load_b64 v[13:14], v13 offset:32
	v_add_nc_u32_e32 v7, v9, v7
	; wave barrier
	s_waitcnt lgkmcnt(3)
	ds_store_b64 v4, v[0:1]
	v_sub_nc_u32_e32 v7, v7, v10
	; wave barrier
	s_delay_alu instid0(VALU_DEP_1)
	v_cmp_gt_i32_e64 s1, v8, v7
	s_waitcnt lgkmcnt(1)
	v_cmp_lt_i64_e32 vcc_lo, v[13:14], v[11:12]
	s_or_b32 s0, s0, vcc_lo
	s_delay_alu instid0(VALU_DEP_2) | instid1(SALU_CYCLE_1)
	s_and_b32 vcc_lo, s1, s0
	s_mov_b32 s0, exec_lo
	v_dual_cndmask_b32 v8, v11, v13 :: v_dual_cndmask_b32 v9, v12, v14
	v_cndmask_b32_e32 v2, v2, v7, vcc_lo
	v_min_i32_e32 v7, 8, v5
	s_delay_alu instid0(VALU_DEP_2)
	v_lshl_add_u32 v2, v2, 3, v6
	ds_load_b64 v[0:1], v2
	v_sub_nc_u32_e64 v2, v5, 8 clamp
	; wave barrier
	ds_store_b64 v4, v[8:9]
	; wave barrier
	v_cmpx_lt_u32_e64 v2, v7
	s_cbranch_execz .LBB157_16
; %bb.13:
	v_add_nc_u32_e32 v8, 64, v4
	s_mov_b32 s1, 0
	.p2align	6
.LBB157_14:                             ; =>This Inner Loop Header: Depth=1
	v_sub_nc_u32_e32 v9, v7, v2
	s_delay_alu instid0(VALU_DEP_1) | instskip(NEXT) | instid1(VALU_DEP_1)
	v_lshrrev_b32_e32 v10, 31, v9
	v_add_nc_u32_e32 v9, v9, v10
	s_delay_alu instid0(VALU_DEP_1) | instskip(NEXT) | instid1(VALU_DEP_1)
	v_ashrrev_i32_e32 v9, 1, v9
	v_add_nc_u32_e32 v13, v9, v2
	s_delay_alu instid0(VALU_DEP_1) | instskip(SKIP_1) | instid1(VALU_DEP_2)
	v_not_b32_e32 v9, v13
	v_lshl_add_u32 v10, v13, 3, v6
	v_lshl_add_u32 v11, v9, 3, v8
	ds_load_b64 v[9:10], v10
	ds_load_b64 v[11:12], v11
	s_waitcnt lgkmcnt(0)
	v_cmp_lt_i64_e32 vcc_lo, v[11:12], v[9:10]
	v_add_nc_u32_e32 v9, 1, v13
	s_delay_alu instid0(VALU_DEP_1) | instskip(NEXT) | instid1(VALU_DEP_1)
	v_dual_cndmask_b32 v7, v7, v13 :: v_dual_cndmask_b32 v2, v9, v2
	v_cmp_ge_i32_e32 vcc_lo, v2, v7
	s_or_b32 s1, vcc_lo, s1
	s_delay_alu instid0(SALU_CYCLE_1)
	s_and_not1_b32 exec_lo, exec_lo, s1
	s_cbranch_execnz .LBB157_14
; %bb.15:
	s_or_b32 exec_lo, exec_lo, s1
.LBB157_16:
	s_delay_alu instid0(SALU_CYCLE_1) | instskip(SKIP_3) | instid1(VALU_DEP_3)
	s_or_b32 exec_lo, exec_lo, s0
	v_sub_nc_u32_e32 v5, v5, v2
	v_lshl_add_u32 v7, v2, 3, v6
	v_cmp_lt_i32_e64 s0, 7, v2
	v_lshl_add_u32 v9, v5, 3, v6
	ds_load_b64 v[7:8], v7
	ds_load_b64 v[9:10], v9 offset:64
	v_add_nc_u32_e32 v5, 8, v5
	; wave barrier
	s_waitcnt lgkmcnt(3)
	ds_store_b64 v4, v[0:1]
	v_cmp_gt_i32_e64 s1, 16, v5
	; wave barrier
	s_waitcnt lgkmcnt(1)
	v_cmp_lt_i64_e32 vcc_lo, v[9:10], v[7:8]
	s_or_b32 s0, s0, vcc_lo
	s_delay_alu instid0(VALU_DEP_2) | instid1(SALU_CYCLE_1)
	s_and_b32 vcc_lo, s1, s0
	s_add_u32 s0, s6, s8
	v_cndmask_b32_e32 v8, v8, v10, vcc_lo
	v_cndmask_b32_e32 v2, v2, v5, vcc_lo
	s_addc_u32 s1, s7, s9
	s_delay_alu instid0(VALU_DEP_1) | instskip(SKIP_3) | instid1(VALU_DEP_1)
	v_lshl_add_u32 v2, v2, 3, v6
	ds_load_b64 v[0:1], v2
	v_cndmask_b32_e32 v2, v7, v9, vcc_lo
	s_waitcnt lgkmcnt(0)
	v_add_co_u32 v0, vcc_lo, v0, v2
	v_add_co_ci_u32_e32 v1, vcc_lo, v1, v8, vcc_lo
	global_store_b64 v3, v[0:1], s[0:1]
	s_nop 0
	s_sendmsg sendmsg(MSG_DEALLOC_VGPRS)
	s_endpgm
	.section	.rodata,"a",@progbits
	.p2align	6, 0x0
	.amdhsa_kernel _Z10sort_pairsILj256ELj16ELj1ExN10test_utils4lessEEvPKT2_PS2_T3_
		.amdhsa_group_segment_fixed_size 2176
		.amdhsa_private_segment_fixed_size 0
		.amdhsa_kernarg_size 20
		.amdhsa_user_sgpr_count 15
		.amdhsa_user_sgpr_dispatch_ptr 0
		.amdhsa_user_sgpr_queue_ptr 0
		.amdhsa_user_sgpr_kernarg_segment_ptr 1
		.amdhsa_user_sgpr_dispatch_id 0
		.amdhsa_user_sgpr_private_segment_size 0
		.amdhsa_wavefront_size32 1
		.amdhsa_uses_dynamic_stack 0
		.amdhsa_enable_private_segment 0
		.amdhsa_system_sgpr_workgroup_id_x 1
		.amdhsa_system_sgpr_workgroup_id_y 0
		.amdhsa_system_sgpr_workgroup_id_z 0
		.amdhsa_system_sgpr_workgroup_info 0
		.amdhsa_system_vgpr_workitem_id 0
		.amdhsa_next_free_vgpr 20
		.amdhsa_next_free_sgpr 16
		.amdhsa_reserve_vcc 1
		.amdhsa_float_round_mode_32 0
		.amdhsa_float_round_mode_16_64 0
		.amdhsa_float_denorm_mode_32 3
		.amdhsa_float_denorm_mode_16_64 3
		.amdhsa_dx10_clamp 1
		.amdhsa_ieee_mode 1
		.amdhsa_fp16_overflow 0
		.amdhsa_workgroup_processor_mode 1
		.amdhsa_memory_ordered 1
		.amdhsa_forward_progress 0
		.amdhsa_shared_vgpr_count 0
		.amdhsa_exception_fp_ieee_invalid_op 0
		.amdhsa_exception_fp_denorm_src 0
		.amdhsa_exception_fp_ieee_div_zero 0
		.amdhsa_exception_fp_ieee_overflow 0
		.amdhsa_exception_fp_ieee_underflow 0
		.amdhsa_exception_fp_ieee_inexact 0
		.amdhsa_exception_int_div_zero 0
	.end_amdhsa_kernel
	.section	.text._Z10sort_pairsILj256ELj16ELj1ExN10test_utils4lessEEvPKT2_PS2_T3_,"axG",@progbits,_Z10sort_pairsILj256ELj16ELj1ExN10test_utils4lessEEvPKT2_PS2_T3_,comdat
.Lfunc_end157:
	.size	_Z10sort_pairsILj256ELj16ELj1ExN10test_utils4lessEEvPKT2_PS2_T3_, .Lfunc_end157-_Z10sort_pairsILj256ELj16ELj1ExN10test_utils4lessEEvPKT2_PS2_T3_
                                        ; -- End function
	.section	.AMDGPU.csdata,"",@progbits
; Kernel info:
; codeLenInByte = 1544
; NumSgprs: 18
; NumVgprs: 20
; ScratchSize: 0
; MemoryBound: 0
; FloatMode: 240
; IeeeMode: 1
; LDSByteSize: 2176 bytes/workgroup (compile time only)
; SGPRBlocks: 2
; VGPRBlocks: 2
; NumSGPRsForWavesPerEU: 18
; NumVGPRsForWavesPerEU: 20
; Occupancy: 16
; WaveLimiterHint : 0
; COMPUTE_PGM_RSRC2:SCRATCH_EN: 0
; COMPUTE_PGM_RSRC2:USER_SGPR: 15
; COMPUTE_PGM_RSRC2:TRAP_HANDLER: 0
; COMPUTE_PGM_RSRC2:TGID_X_EN: 1
; COMPUTE_PGM_RSRC2:TGID_Y_EN: 0
; COMPUTE_PGM_RSRC2:TGID_Z_EN: 0
; COMPUTE_PGM_RSRC2:TIDIG_COMP_CNT: 0
	.section	.text._Z19sort_keys_segmentedILj256ELj16ELj1ExN10test_utils4lessEEvPKT2_PS2_PKjT3_,"axG",@progbits,_Z19sort_keys_segmentedILj256ELj16ELj1ExN10test_utils4lessEEvPKT2_PS2_PKjT3_,comdat
	.protected	_Z19sort_keys_segmentedILj256ELj16ELj1ExN10test_utils4lessEEvPKT2_PS2_PKjT3_ ; -- Begin function _Z19sort_keys_segmentedILj256ELj16ELj1ExN10test_utils4lessEEvPKT2_PS2_PKjT3_
	.globl	_Z19sort_keys_segmentedILj256ELj16ELj1ExN10test_utils4lessEEvPKT2_PS2_PKjT3_
	.p2align	8
	.type	_Z19sort_keys_segmentedILj256ELj16ELj1ExN10test_utils4lessEEvPKT2_PS2_PKjT3_,@function
_Z19sort_keys_segmentedILj256ELj16ELj1ExN10test_utils4lessEEvPKT2_PS2_PKjT3_: ; @_Z19sort_keys_segmentedILj256ELj16ELj1ExN10test_utils4lessEEvPKT2_PS2_PKjT3_
; %bb.0:
	s_clause 0x1
	s_load_b64 s[2:3], s[0:1], 0x10
	s_load_b128 s[4:7], s[0:1], 0x0
	v_lshrrev_b32_e32 v10, 4, v0
	v_mbcnt_lo_u32_b32 v9, -1, 0
	v_mov_b32_e32 v3, 0
	s_delay_alu instid0(VALU_DEP_3) | instskip(NEXT) | instid1(VALU_DEP_1)
	v_lshl_or_b32 v2, s15, 4, v10
	v_lshlrev_b64 v[0:1], 2, v[2:3]
	v_lshlrev_b32_e32 v2, 4, v2
	s_waitcnt lgkmcnt(0)
	s_delay_alu instid0(VALU_DEP_2) | instskip(NEXT) | instid1(VALU_DEP_3)
	v_add_co_u32 v0, vcc_lo, s2, v0
	v_add_co_ci_u32_e32 v1, vcc_lo, s3, v1, vcc_lo
	global_load_b32 v7, v[0:1], off
	v_and_b32_e32 v0, 15, v9
	s_waitcnt vmcnt(0)
	s_delay_alu instid0(VALU_DEP_1) | instskip(SKIP_1) | instid1(VALU_DEP_1)
	v_cmp_lt_u32_e32 vcc_lo, v0, v7
	v_cmp_ge_u32_e64 s0, v0, v7
	s_and_saveexec_b32 s1, s0
	s_delay_alu instid0(SALU_CYCLE_1)
	s_xor_b32 s0, exec_lo, s1
; %bb.1:
	v_mov_b32_e32 v1, v3
; %bb.2:
	s_or_saveexec_b32 s1, s0
	v_lshlrev_b64 v[2:3], 3, v[2:3]
                                        ; implicit-def: $vgpr4_vgpr5
	s_xor_b32 exec_lo, exec_lo, s1
	s_cbranch_execz .LBB158_4
; %bb.3:
	v_lshlrev_b32_e32 v1, 3, v0
	s_delay_alu instid0(VALU_DEP_2) | instskip(NEXT) | instid1(VALU_DEP_1)
	v_add_co_u32 v4, s0, s4, v2
	v_add_co_ci_u32_e64 v5, s0, s5, v3, s0
	s_delay_alu instid0(VALU_DEP_2) | instskip(NEXT) | instid1(VALU_DEP_1)
	v_add_co_u32 v4, s0, v4, v1
	v_add_co_ci_u32_e64 v5, s0, 0, v5, s0
	v_mov_b32_e32 v1, 0
	global_load_b64 v[4:5], v[4:5], off
.LBB158_4:
	s_or_b32 exec_lo, exec_lo, s1
	v_and_b32_e32 v6, 14, v9
	v_and_b32_e32 v8, 1, v9
	v_lshlrev_b32_e32 v17, 3, v0
	s_mov_b32 s2, 0
	s_mov_b32 s1, exec_lo
	v_min_i32_e32 v13, v7, v6
	v_min_i32_e32 v15, v7, v8
	; wave barrier
	s_delay_alu instid0(VALU_DEP_2) | instskip(SKIP_1) | instid1(VALU_DEP_2)
	v_add_nc_u32_e32 v6, 1, v13
	v_lshlrev_b32_e32 v18, 3, v13
	v_min_i32_e32 v12, v7, v6
	s_delay_alu instid0(VALU_DEP_1) | instskip(SKIP_1) | instid1(VALU_DEP_2)
	v_add_nc_u32_e32 v6, 1, v12
	v_sub_nc_u32_e32 v16, v12, v13
	v_min_i32_e32 v11, v7, v6
	v_mul_u32_u24_e32 v6, 0x88, v10
	s_delay_alu instid0(VALU_DEP_3) | instskip(NEXT) | instid1(VALU_DEP_3)
	v_min_i32_e32 v16, v15, v16
	v_sub_nc_u32_e32 v8, v11, v12
	s_delay_alu instid0(VALU_DEP_1) | instskip(SKIP_3) | instid1(VALU_DEP_3)
	v_sub_nc_u32_e32 v14, v15, v8
	v_cmp_ge_i32_e64 s0, v15, v8
	v_mad_u32_u24 v8, 0x88, v10, v17
	v_mad_u32_u24 v10, 0x88, v10, v18
	v_cndmask_b32_e64 v14, 0, v14, s0
	s_waitcnt vmcnt(0)
	ds_store_b64 v8, v[4:5]
	; wave barrier
	v_cmpx_lt_i32_e64 v14, v16
	s_cbranch_execz .LBB158_8
; %bb.5:
	v_lshlrev_b32_e32 v4, 3, v12
	v_lshlrev_b32_e32 v5, 3, v15
	s_delay_alu instid0(VALU_DEP_1)
	v_add3_u32 v4, v6, v4, v5
	.p2align	6
.LBB158_6:                              ; =>This Inner Loop Header: Depth=1
	v_sub_nc_u32_e32 v5, v16, v14
	s_delay_alu instid0(VALU_DEP_1) | instskip(NEXT) | instid1(VALU_DEP_1)
	v_lshrrev_b32_e32 v17, 31, v5
	v_add_nc_u32_e32 v5, v5, v17
	s_delay_alu instid0(VALU_DEP_1) | instskip(NEXT) | instid1(VALU_DEP_1)
	v_ashrrev_i32_e32 v5, 1, v5
	v_add_nc_u32_e32 v5, v5, v14
	s_delay_alu instid0(VALU_DEP_1) | instskip(SKIP_1) | instid1(VALU_DEP_2)
	v_not_b32_e32 v17, v5
	v_lshl_add_u32 v18, v5, 3, v10
	v_lshl_add_u32 v19, v17, 3, v4
	ds_load_b64 v[17:18], v18
	ds_load_b64 v[19:20], v19
	s_waitcnt lgkmcnt(0)
	v_cmp_lt_i64_e64 s0, v[19:20], v[17:18]
	v_add_nc_u32_e32 v17, 1, v5
	s_delay_alu instid0(VALU_DEP_2) | instskip(NEXT) | instid1(VALU_DEP_2)
	v_cndmask_b32_e64 v16, v16, v5, s0
	v_cndmask_b32_e64 v14, v17, v14, s0
	s_delay_alu instid0(VALU_DEP_1) | instskip(NEXT) | instid1(VALU_DEP_1)
	v_cmp_ge_i32_e64 s0, v14, v16
	s_or_b32 s2, s0, s2
	s_delay_alu instid0(SALU_CYCLE_1)
	s_and_not1_b32 exec_lo, exec_lo, s2
	s_cbranch_execnz .LBB158_6
; %bb.7:
	s_or_b32 exec_lo, exec_lo, s2
.LBB158_8:
	s_delay_alu instid0(SALU_CYCLE_1) | instskip(SKIP_4) | instid1(VALU_DEP_3)
	s_or_b32 exec_lo, exec_lo, s1
	v_add_nc_u32_e32 v4, v12, v15
	v_and_b32_e32 v5, 12, v9
	v_add_nc_u32_e32 v13, v14, v13
	s_mov_b32 s3, 0
	v_sub_nc_u32_e32 v19, v4, v14
	v_lshl_add_u32 v4, v14, 3, v10
	v_min_i32_e32 v5, v7, v5
	v_cmp_le_i32_e64 s1, v12, v13
	s_delay_alu instid0(VALU_DEP_4) | instskip(SKIP_1) | instid1(VALU_DEP_4)
	v_lshl_add_u32 v10, v19, 3, v6
	v_cmp_gt_i32_e64 s2, v11, v19
	v_add_nc_u32_e32 v20, 2, v5
	ds_load_b64 v[15:16], v4
	ds_load_b64 v[17:18], v10
	; wave barrier
	v_min_i32_e32 v10, v7, v20
	v_and_b32_e32 v20, 3, v9
	s_delay_alu instid0(VALU_DEP_2) | instskip(NEXT) | instid1(VALU_DEP_2)
	v_add_nc_u32_e32 v4, 2, v10
	v_min_i32_e32 v14, v7, v20
	v_sub_nc_u32_e32 v21, v10, v5
	s_delay_alu instid0(VALU_DEP_3) | instskip(NEXT) | instid1(VALU_DEP_2)
	v_min_i32_e32 v4, v7, v4
	v_min_i32_e32 v11, v14, v21
	s_delay_alu instid0(VALU_DEP_2) | instskip(SKIP_2) | instid1(VALU_DEP_2)
	v_sub_nc_u32_e32 v20, v4, v10
	s_waitcnt lgkmcnt(0)
	v_cmp_lt_i64_e64 s0, v[17:18], v[15:16]
	v_sub_nc_u32_e32 v12, v14, v20
	s_delay_alu instid0(VALU_DEP_2) | instskip(SKIP_1) | instid1(VALU_DEP_1)
	s_or_b32 s1, s1, s0
	v_cmp_ge_i32_e64 s0, v14, v20
	v_cndmask_b32_e64 v13, 0, v12, s0
	s_and_b32 s0, s2, s1
	v_lshl_add_u32 v12, v5, 3, v6
	v_cndmask_b32_e64 v16, v16, v18, s0
	v_cndmask_b32_e64 v15, v15, v17, s0
	s_mov_b32 s1, exec_lo
	ds_store_b64 v8, v[15:16]
	; wave barrier
	v_cmpx_lt_i32_e64 v13, v11
	s_cbranch_execz .LBB158_12
; %bb.9:
	v_lshlrev_b32_e32 v15, 3, v10
	v_lshlrev_b32_e32 v16, 3, v14
	s_delay_alu instid0(VALU_DEP_1)
	v_add3_u32 v15, v6, v15, v16
	.p2align	6
.LBB158_10:                             ; =>This Inner Loop Header: Depth=1
	v_sub_nc_u32_e32 v16, v11, v13
	s_delay_alu instid0(VALU_DEP_1) | instskip(NEXT) | instid1(VALU_DEP_1)
	v_lshrrev_b32_e32 v17, 31, v16
	v_add_nc_u32_e32 v16, v16, v17
	s_delay_alu instid0(VALU_DEP_1) | instskip(NEXT) | instid1(VALU_DEP_1)
	v_ashrrev_i32_e32 v16, 1, v16
	v_add_nc_u32_e32 v20, v16, v13
	s_delay_alu instid0(VALU_DEP_1) | instskip(SKIP_1) | instid1(VALU_DEP_2)
	v_not_b32_e32 v16, v20
	v_lshl_add_u32 v17, v20, 3, v12
	v_lshl_add_u32 v18, v16, 3, v15
	ds_load_b64 v[16:17], v17
	ds_load_b64 v[18:19], v18
	s_waitcnt lgkmcnt(0)
	v_cmp_lt_i64_e64 s0, v[18:19], v[16:17]
	v_add_nc_u32_e32 v16, 1, v20
	s_delay_alu instid0(VALU_DEP_2) | instskip(NEXT) | instid1(VALU_DEP_2)
	v_cndmask_b32_e64 v11, v11, v20, s0
	v_cndmask_b32_e64 v13, v16, v13, s0
	s_delay_alu instid0(VALU_DEP_1) | instskip(NEXT) | instid1(VALU_DEP_1)
	v_cmp_ge_i32_e64 s0, v13, v11
	s_or_b32 s3, s0, s3
	s_delay_alu instid0(SALU_CYCLE_1)
	s_and_not1_b32 exec_lo, exec_lo, s3
	s_cbranch_execnz .LBB158_10
; %bb.11:
	s_or_b32 exec_lo, exec_lo, s3
.LBB158_12:
	s_delay_alu instid0(SALU_CYCLE_1)
	s_or_b32 exec_lo, exec_lo, s1
	v_add_nc_u32_e32 v11, v10, v14
	v_and_b32_e32 v14, 8, v9
	v_lshl_add_u32 v12, v13, 3, v12
	v_add_nc_u32_e32 v5, v13, v5
	s_mov_b32 s3, 0
	v_sub_nc_u32_e32 v19, v11, v13
	v_min_i32_e32 v11, v7, v14
	s_delay_alu instid0(VALU_DEP_3) | instskip(NEXT) | instid1(VALU_DEP_3)
	v_cmp_le_i32_e64 s1, v10, v5
	v_lshl_add_u32 v14, v19, 3, v6
	s_delay_alu instid0(VALU_DEP_3)
	v_add_nc_u32_e32 v20, 4, v11
	v_cmp_gt_i32_e64 s2, v4, v19
	ds_load_b64 v[15:16], v12
	ds_load_b64 v[17:18], v14
	v_min_i32_e32 v12, v7, v20
	v_and_b32_e32 v20, 7, v9
	; wave barrier
	s_delay_alu instid0(VALU_DEP_2) | instskip(NEXT) | instid1(VALU_DEP_1)
	v_add_nc_u32_e32 v14, 4, v12
	v_min_i32_e32 v9, v7, v14
	s_delay_alu instid0(VALU_DEP_3) | instskip(SKIP_1) | instid1(VALU_DEP_3)
	v_min_i32_e32 v14, v7, v20
	v_sub_nc_u32_e32 v20, v12, v11
	v_sub_nc_u32_e32 v13, v9, v12
	s_delay_alu instid0(VALU_DEP_2) | instskip(SKIP_2) | instid1(VALU_DEP_3)
	v_min_i32_e32 v4, v14, v20
	s_waitcnt lgkmcnt(0)
	v_cmp_lt_i64_e64 s0, v[17:18], v[15:16]
	v_sub_nc_u32_e32 v5, v14, v13
	s_delay_alu instid0(VALU_DEP_2) | instskip(SKIP_1) | instid1(VALU_DEP_1)
	s_or_b32 s1, s1, s0
	v_cmp_ge_i32_e64 s0, v14, v13
	v_cndmask_b32_e64 v13, 0, v5, s0
	s_and_b32 s0, s2, s1
	v_lshl_add_u32 v5, v11, 3, v6
	v_cndmask_b32_e64 v16, v16, v18, s0
	v_cndmask_b32_e64 v15, v15, v17, s0
	s_mov_b32 s1, exec_lo
	ds_store_b64 v8, v[15:16]
	; wave barrier
	v_cmpx_lt_i32_e64 v13, v4
	s_cbranch_execz .LBB158_16
; %bb.13:
	v_lshlrev_b32_e32 v10, 3, v12
	v_lshlrev_b32_e32 v15, 3, v14
	s_delay_alu instid0(VALU_DEP_1)
	v_add3_u32 v10, v6, v10, v15
	.p2align	6
.LBB158_14:                             ; =>This Inner Loop Header: Depth=1
	v_sub_nc_u32_e32 v15, v4, v13
	s_delay_alu instid0(VALU_DEP_1) | instskip(NEXT) | instid1(VALU_DEP_1)
	v_lshrrev_b32_e32 v16, 31, v15
	v_add_nc_u32_e32 v15, v15, v16
	s_delay_alu instid0(VALU_DEP_1) | instskip(NEXT) | instid1(VALU_DEP_1)
	v_ashrrev_i32_e32 v15, 1, v15
	v_add_nc_u32_e32 v19, v15, v13
	s_delay_alu instid0(VALU_DEP_1) | instskip(SKIP_1) | instid1(VALU_DEP_2)
	v_not_b32_e32 v15, v19
	v_lshl_add_u32 v16, v19, 3, v5
	v_lshl_add_u32 v17, v15, 3, v10
	ds_load_b64 v[15:16], v16
	ds_load_b64 v[17:18], v17
	s_waitcnt lgkmcnt(0)
	v_cmp_lt_i64_e64 s0, v[17:18], v[15:16]
	v_add_nc_u32_e32 v15, 1, v19
	s_delay_alu instid0(VALU_DEP_2) | instskip(NEXT) | instid1(VALU_DEP_2)
	v_cndmask_b32_e64 v4, v4, v19, s0
	v_cndmask_b32_e64 v13, v15, v13, s0
	s_delay_alu instid0(VALU_DEP_1) | instskip(NEXT) | instid1(VALU_DEP_1)
	v_cmp_ge_i32_e64 s0, v13, v4
	s_or_b32 s3, s0, s3
	s_delay_alu instid0(SALU_CYCLE_1)
	s_and_not1_b32 exec_lo, exec_lo, s3
	s_cbranch_execnz .LBB158_14
; %bb.15:
	s_or_b32 exec_lo, exec_lo, s3
.LBB158_16:
	s_delay_alu instid0(SALU_CYCLE_1) | instskip(SKIP_4) | instid1(VALU_DEP_3)
	s_or_b32 exec_lo, exec_lo, s1
	v_add_nc_u32_e32 v4, v12, v14
	v_lshl_add_u32 v5, v13, 3, v5
	v_add_nc_u32_e32 v11, v13, v11
	s_mov_b32 s3, 0
	v_sub_nc_u32_e32 v18, v4, v13
	v_min_i32_e32 v4, 0, v7
	s_delay_alu instid0(VALU_DEP_3) | instskip(NEXT) | instid1(VALU_DEP_3)
	v_cmp_le_i32_e64 s1, v12, v11
	v_lshl_add_u32 v10, v18, 3, v6
	s_delay_alu instid0(VALU_DEP_3) | instskip(SKIP_4) | instid1(VALU_DEP_1)
	v_add_nc_u32_e32 v19, 8, v4
	v_cmp_gt_i32_e64 s2, v9, v18
	ds_load_b64 v[14:15], v5
	ds_load_b64 v[16:17], v10
	v_min_i32_e32 v10, v7, v19
	; wave barrier
	v_add_nc_u32_e32 v5, 8, v10
	v_sub_nc_u32_e32 v19, v10, v4
	s_delay_alu instid0(VALU_DEP_2) | instskip(SKIP_1) | instid1(VALU_DEP_2)
	v_min_i32_e32 v5, v7, v5
	v_min_i32_e32 v7, v7, v0
	v_sub_nc_u32_e32 v13, v5, v10
	s_delay_alu instid0(VALU_DEP_2) | instskip(SKIP_2) | instid1(VALU_DEP_3)
	v_min_i32_e32 v12, v7, v19
	s_waitcnt lgkmcnt(0)
	v_cmp_lt_i64_e64 s0, v[16:17], v[14:15]
	v_sub_nc_u32_e32 v11, v7, v13
	s_delay_alu instid0(VALU_DEP_2) | instskip(SKIP_1) | instid1(VALU_DEP_1)
	s_or_b32 s1, s1, s0
	v_cmp_ge_i32_e64 s0, v7, v13
	v_cndmask_b32_e64 v9, 0, v11, s0
	s_and_b32 s0, s2, s1
	v_lshl_add_u32 v11, v4, 3, v6
	v_cndmask_b32_e64 v15, v15, v17, s0
	v_cndmask_b32_e64 v14, v14, v16, s0
	s_mov_b32 s1, exec_lo
	ds_store_b64 v8, v[14:15]
	; wave barrier
	v_cmpx_lt_i32_e64 v9, v12
	s_cbranch_execnz .LBB158_19
; %bb.17:
	s_or_b32 exec_lo, exec_lo, s1
	s_and_saveexec_b32 s0, vcc_lo
	s_cbranch_execnz .LBB158_22
.LBB158_18:
	s_endpgm
.LBB158_19:
	v_lshlrev_b32_e32 v8, 3, v10
	v_lshlrev_b32_e32 v13, 3, v7
	s_delay_alu instid0(VALU_DEP_1)
	v_add3_u32 v8, v6, v8, v13
	.p2align	6
.LBB158_20:                             ; =>This Inner Loop Header: Depth=1
	v_sub_nc_u32_e32 v13, v12, v9
	s_delay_alu instid0(VALU_DEP_1) | instskip(NEXT) | instid1(VALU_DEP_1)
	v_lshrrev_b32_e32 v14, 31, v13
	v_add_nc_u32_e32 v13, v13, v14
	s_delay_alu instid0(VALU_DEP_1) | instskip(NEXT) | instid1(VALU_DEP_1)
	v_ashrrev_i32_e32 v13, 1, v13
	v_add_nc_u32_e32 v17, v13, v9
	s_delay_alu instid0(VALU_DEP_1) | instskip(SKIP_1) | instid1(VALU_DEP_2)
	v_not_b32_e32 v13, v17
	v_lshl_add_u32 v14, v17, 3, v11
	v_lshl_add_u32 v15, v13, 3, v8
	ds_load_b64 v[13:14], v14
	ds_load_b64 v[15:16], v15
	s_waitcnt lgkmcnt(0)
	v_cmp_lt_i64_e64 s0, v[15:16], v[13:14]
	v_add_nc_u32_e32 v13, 1, v17
	s_delay_alu instid0(VALU_DEP_2) | instskip(NEXT) | instid1(VALU_DEP_2)
	v_cndmask_b32_e64 v12, v12, v17, s0
	v_cndmask_b32_e64 v9, v13, v9, s0
	s_delay_alu instid0(VALU_DEP_1) | instskip(NEXT) | instid1(VALU_DEP_1)
	v_cmp_ge_i32_e64 s0, v9, v12
	s_or_b32 s3, s0, s3
	s_delay_alu instid0(SALU_CYCLE_1)
	s_and_not1_b32 exec_lo, exec_lo, s3
	s_cbranch_execnz .LBB158_20
; %bb.21:
	s_or_b32 exec_lo, exec_lo, s3
	s_delay_alu instid0(SALU_CYCLE_1)
	s_or_b32 exec_lo, exec_lo, s1
	s_and_saveexec_b32 s0, vcc_lo
	s_cbranch_execz .LBB158_18
.LBB158_22:
	v_add_nc_u32_e32 v7, v10, v7
	v_lshl_add_u32 v11, v9, 3, v11
	v_lshlrev_b64 v[0:1], 3, v[0:1]
	v_add_co_u32 v2, s1, s6, v2
	s_delay_alu instid0(VALU_DEP_4) | instskip(SKIP_1) | instid1(VALU_DEP_2)
	v_sub_nc_u32_e32 v8, v7, v9
	v_add_co_ci_u32_e64 v3, s1, s7, v3, s1
	v_lshl_add_u32 v6, v8, 3, v6
	v_cmp_gt_i32_e64 s1, v5, v8
	ds_load_b64 v[6:7], v6
	ds_load_b64 v[11:12], v11
	v_add_nc_u32_e32 v4, v9, v4
	s_delay_alu instid0(VALU_DEP_1) | instskip(SKIP_2) | instid1(VALU_DEP_1)
	v_cmp_le_i32_e32 vcc_lo, v10, v4
	s_waitcnt lgkmcnt(0)
	v_cmp_lt_i64_e64 s0, v[6:7], v[11:12]
	s_or_b32 s0, vcc_lo, s0
	v_add_co_u32 v0, vcc_lo, v2, v0
	v_add_co_ci_u32_e32 v1, vcc_lo, v3, v1, vcc_lo
	s_and_b32 vcc_lo, s1, s0
	v_dual_cndmask_b32 v3, v12, v7 :: v_dual_cndmask_b32 v2, v11, v6
	global_store_b64 v[0:1], v[2:3], off
	s_nop 0
	s_sendmsg sendmsg(MSG_DEALLOC_VGPRS)
	s_endpgm
	.section	.rodata,"a",@progbits
	.p2align	6, 0x0
	.amdhsa_kernel _Z19sort_keys_segmentedILj256ELj16ELj1ExN10test_utils4lessEEvPKT2_PS2_PKjT3_
		.amdhsa_group_segment_fixed_size 2176
		.amdhsa_private_segment_fixed_size 0
		.amdhsa_kernarg_size 28
		.amdhsa_user_sgpr_count 15
		.amdhsa_user_sgpr_dispatch_ptr 0
		.amdhsa_user_sgpr_queue_ptr 0
		.amdhsa_user_sgpr_kernarg_segment_ptr 1
		.amdhsa_user_sgpr_dispatch_id 0
		.amdhsa_user_sgpr_private_segment_size 0
		.amdhsa_wavefront_size32 1
		.amdhsa_uses_dynamic_stack 0
		.amdhsa_enable_private_segment 0
		.amdhsa_system_sgpr_workgroup_id_x 1
		.amdhsa_system_sgpr_workgroup_id_y 0
		.amdhsa_system_sgpr_workgroup_id_z 0
		.amdhsa_system_sgpr_workgroup_info 0
		.amdhsa_system_vgpr_workitem_id 0
		.amdhsa_next_free_vgpr 22
		.amdhsa_next_free_sgpr 16
		.amdhsa_reserve_vcc 1
		.amdhsa_float_round_mode_32 0
		.amdhsa_float_round_mode_16_64 0
		.amdhsa_float_denorm_mode_32 3
		.amdhsa_float_denorm_mode_16_64 3
		.amdhsa_dx10_clamp 1
		.amdhsa_ieee_mode 1
		.amdhsa_fp16_overflow 0
		.amdhsa_workgroup_processor_mode 1
		.amdhsa_memory_ordered 1
		.amdhsa_forward_progress 0
		.amdhsa_shared_vgpr_count 0
		.amdhsa_exception_fp_ieee_invalid_op 0
		.amdhsa_exception_fp_denorm_src 0
		.amdhsa_exception_fp_ieee_div_zero 0
		.amdhsa_exception_fp_ieee_overflow 0
		.amdhsa_exception_fp_ieee_underflow 0
		.amdhsa_exception_fp_ieee_inexact 0
		.amdhsa_exception_int_div_zero 0
	.end_amdhsa_kernel
	.section	.text._Z19sort_keys_segmentedILj256ELj16ELj1ExN10test_utils4lessEEvPKT2_PS2_PKjT3_,"axG",@progbits,_Z19sort_keys_segmentedILj256ELj16ELj1ExN10test_utils4lessEEvPKT2_PS2_PKjT3_,comdat
.Lfunc_end158:
	.size	_Z19sort_keys_segmentedILj256ELj16ELj1ExN10test_utils4lessEEvPKT2_PS2_PKjT3_, .Lfunc_end158-_Z19sort_keys_segmentedILj256ELj16ELj1ExN10test_utils4lessEEvPKT2_PS2_PKjT3_
                                        ; -- End function
	.section	.AMDGPU.csdata,"",@progbits
; Kernel info:
; codeLenInByte = 1832
; NumSgprs: 18
; NumVgprs: 22
; ScratchSize: 0
; MemoryBound: 0
; FloatMode: 240
; IeeeMode: 1
; LDSByteSize: 2176 bytes/workgroup (compile time only)
; SGPRBlocks: 2
; VGPRBlocks: 2
; NumSGPRsForWavesPerEU: 18
; NumVGPRsForWavesPerEU: 22
; Occupancy: 16
; WaveLimiterHint : 0
; COMPUTE_PGM_RSRC2:SCRATCH_EN: 0
; COMPUTE_PGM_RSRC2:USER_SGPR: 15
; COMPUTE_PGM_RSRC2:TRAP_HANDLER: 0
; COMPUTE_PGM_RSRC2:TGID_X_EN: 1
; COMPUTE_PGM_RSRC2:TGID_Y_EN: 0
; COMPUTE_PGM_RSRC2:TGID_Z_EN: 0
; COMPUTE_PGM_RSRC2:TIDIG_COMP_CNT: 0
	.section	.text._Z20sort_pairs_segmentedILj256ELj16ELj1ExN10test_utils4lessEEvPKT2_PS2_PKjT3_,"axG",@progbits,_Z20sort_pairs_segmentedILj256ELj16ELj1ExN10test_utils4lessEEvPKT2_PS2_PKjT3_,comdat
	.protected	_Z20sort_pairs_segmentedILj256ELj16ELj1ExN10test_utils4lessEEvPKT2_PS2_PKjT3_ ; -- Begin function _Z20sort_pairs_segmentedILj256ELj16ELj1ExN10test_utils4lessEEvPKT2_PS2_PKjT3_
	.globl	_Z20sort_pairs_segmentedILj256ELj16ELj1ExN10test_utils4lessEEvPKT2_PS2_PKjT3_
	.p2align	8
	.type	_Z20sort_pairs_segmentedILj256ELj16ELj1ExN10test_utils4lessEEvPKT2_PS2_PKjT3_,@function
_Z20sort_pairs_segmentedILj256ELj16ELj1ExN10test_utils4lessEEvPKT2_PS2_PKjT3_: ; @_Z20sort_pairs_segmentedILj256ELj16ELj1ExN10test_utils4lessEEvPKT2_PS2_PKjT3_
; %bb.0:
	s_clause 0x1
	s_load_b64 s[2:3], s[0:1], 0x10
	s_load_b128 s[4:7], s[0:1], 0x0
	v_lshrrev_b32_e32 v8, 4, v0
	v_mbcnt_lo_u32_b32 v7, -1, 0
	v_mov_b32_e32 v3, 0
	s_delay_alu instid0(VALU_DEP_3) | instskip(NEXT) | instid1(VALU_DEP_1)
	v_lshl_or_b32 v2, s15, 4, v8
	v_lshlrev_b64 v[0:1], 2, v[2:3]
	v_lshlrev_b32_e32 v2, 4, v2
	s_waitcnt lgkmcnt(0)
	s_delay_alu instid0(VALU_DEP_2) | instskip(NEXT) | instid1(VALU_DEP_3)
	v_add_co_u32 v0, vcc_lo, s2, v0
	v_add_co_ci_u32_e32 v1, vcc_lo, s3, v1, vcc_lo
	global_load_b32 v6, v[0:1], off
	v_and_b32_e32 v0, 15, v7
	s_waitcnt vmcnt(0)
	s_delay_alu instid0(VALU_DEP_1) | instskip(SKIP_1) | instid1(VALU_DEP_1)
	v_cmp_lt_u32_e32 vcc_lo, v0, v6
	v_cmp_ge_u32_e64 s0, v0, v6
	s_and_saveexec_b32 s1, s0
	s_delay_alu instid0(SALU_CYCLE_1)
	s_xor_b32 s0, exec_lo, s1
; %bb.1:
	v_mov_b32_e32 v1, v3
; %bb.2:
	s_or_saveexec_b32 s1, s0
	v_lshlrev_b64 v[2:3], 3, v[2:3]
                                        ; implicit-def: $vgpr4_vgpr5
	s_xor_b32 exec_lo, exec_lo, s1
	s_cbranch_execz .LBB159_4
; %bb.3:
	v_lshlrev_b32_e32 v1, 3, v0
	s_delay_alu instid0(VALU_DEP_2) | instskip(NEXT) | instid1(VALU_DEP_1)
	v_add_co_u32 v4, s0, s4, v2
	v_add_co_ci_u32_e64 v5, s0, s5, v3, s0
	s_delay_alu instid0(VALU_DEP_2) | instskip(NEXT) | instid1(VALU_DEP_1)
	v_add_co_u32 v4, s0, v4, v1
	v_add_co_ci_u32_e64 v5, s0, 0, v5, s0
	v_mov_b32_e32 v1, 0
	global_load_b64 v[4:5], v[4:5], off
.LBB159_4:
	s_or_b32 exec_lo, exec_lo, s1
	v_and_b32_e32 v9, 14, v7
	v_and_b32_e32 v11, 1, v7
	v_lshlrev_b32_e32 v17, 3, v0
	s_mov_b32 s2, 0
	s_mov_b32 s1, exec_lo
	v_min_i32_e32 v9, v6, v9
	v_min_i32_e32 v15, v6, v11
	; wave barrier
	s_delay_alu instid0(VALU_DEP_2) | instskip(SKIP_1) | instid1(VALU_DEP_2)
	v_add_nc_u32_e32 v10, 1, v9
	v_lshlrev_b32_e32 v18, 3, v9
	v_min_i32_e32 v12, v6, v10
	s_delay_alu instid0(VALU_DEP_1) | instskip(SKIP_1) | instid1(VALU_DEP_2)
	v_add_nc_u32_e32 v10, 1, v12
	v_sub_nc_u32_e32 v16, v12, v9
	v_min_i32_e32 v13, v6, v10
	v_mul_u32_u24_e32 v10, 0x88, v8
	s_delay_alu instid0(VALU_DEP_3) | instskip(NEXT) | instid1(VALU_DEP_3)
	v_min_i32_e32 v16, v15, v16
	v_sub_nc_u32_e32 v11, v13, v12
	s_delay_alu instid0(VALU_DEP_1) | instskip(SKIP_3) | instid1(VALU_DEP_3)
	v_sub_nc_u32_e32 v14, v15, v11
	v_cmp_ge_i32_e64 s0, v15, v11
	v_mad_u32_u24 v11, 0x88, v8, v17
	v_mad_u32_u24 v8, 0x88, v8, v18
	v_cndmask_b32_e64 v14, 0, v14, s0
	s_waitcnt vmcnt(0)
	ds_store_b64 v11, v[4:5]
	; wave barrier
	v_cmpx_lt_i32_e64 v14, v16
	s_cbranch_execz .LBB159_8
; %bb.5:
	v_lshlrev_b32_e32 v17, 3, v12
	v_lshlrev_b32_e32 v18, 3, v15
	s_delay_alu instid0(VALU_DEP_1)
	v_add3_u32 v17, v10, v17, v18
	.p2align	6
.LBB159_6:                              ; =>This Inner Loop Header: Depth=1
	v_sub_nc_u32_e32 v18, v16, v14
	s_delay_alu instid0(VALU_DEP_1) | instskip(NEXT) | instid1(VALU_DEP_1)
	v_lshrrev_b32_e32 v19, 31, v18
	v_add_nc_u32_e32 v18, v18, v19
	s_delay_alu instid0(VALU_DEP_1) | instskip(NEXT) | instid1(VALU_DEP_1)
	v_ashrrev_i32_e32 v18, 1, v18
	v_add_nc_u32_e32 v22, v18, v14
	s_delay_alu instid0(VALU_DEP_1) | instskip(SKIP_1) | instid1(VALU_DEP_2)
	v_not_b32_e32 v18, v22
	v_lshl_add_u32 v19, v22, 3, v8
	v_lshl_add_u32 v20, v18, 3, v17
	ds_load_b64 v[18:19], v19
	ds_load_b64 v[20:21], v20
	s_waitcnt lgkmcnt(0)
	v_cmp_lt_i64_e64 s0, v[20:21], v[18:19]
	v_add_nc_u32_e32 v18, 1, v22
	s_delay_alu instid0(VALU_DEP_2) | instskip(NEXT) | instid1(VALU_DEP_2)
	v_cndmask_b32_e64 v16, v16, v22, s0
	v_cndmask_b32_e64 v14, v18, v14, s0
	s_delay_alu instid0(VALU_DEP_1) | instskip(NEXT) | instid1(VALU_DEP_1)
	v_cmp_ge_i32_e64 s0, v14, v16
	s_or_b32 s2, s0, s2
	s_delay_alu instid0(SALU_CYCLE_1)
	s_and_not1_b32 exec_lo, exec_lo, s2
	s_cbranch_execnz .LBB159_6
; %bb.7:
	s_or_b32 exec_lo, exec_lo, s2
.LBB159_8:
	s_delay_alu instid0(SALU_CYCLE_1) | instskip(SKIP_3) | instid1(VALU_DEP_1)
	s_or_b32 exec_lo, exec_lo, s1
	v_add_nc_u32_e32 v15, v12, v15
	v_lshl_add_u32 v8, v14, 3, v8
	v_add_co_u32 v4, s3, v4, 1
	v_add_co_ci_u32_e64 v5, s3, 0, v5, s3
	s_delay_alu instid0(VALU_DEP_4) | instskip(SKIP_1) | instid1(VALU_DEP_2)
	v_sub_nc_u32_e32 v19, v15, v14
	v_add_nc_u32_e32 v14, v14, v9
	v_lshl_add_u32 v17, v19, 3, v10
	s_delay_alu instid0(VALU_DEP_2)
	v_cmp_le_i32_e64 s0, v12, v14
	v_cmp_gt_i32_e64 s1, v13, v19
	ds_load_b64 v[15:16], v8
	ds_load_b64 v[17:18], v17
	v_and_b32_e32 v8, 12, v7
	; wave barrier
	ds_store_b64 v11, v[4:5]
	v_and_b32_e32 v4, 3, v7
	v_min_i32_e32 v8, v6, v8
	; wave barrier
	s_delay_alu instid0(VALU_DEP_1) | instskip(NEXT) | instid1(VALU_DEP_1)
	v_add_nc_u32_e32 v9, 2, v8
	v_min_i32_e32 v9, v6, v9
	s_waitcnt lgkmcnt(1)
	v_cmp_lt_i64_e64 s2, v[17:18], v[15:16]
	s_delay_alu instid0(VALU_DEP_2) | instskip(NEXT) | instid1(VALU_DEP_1)
	v_add_nc_u32_e32 v12, 2, v9
	v_min_i32_e32 v13, v6, v12
	s_delay_alu instid0(VALU_DEP_3)
	s_or_b32 s0, s0, s2
	v_min_i32_e32 v12, v6, v4
	s_and_b32 s0, s1, s0
	s_mov_b32 s2, 0
	v_cndmask_b32_e64 v14, v14, v19, s0
	v_cndmask_b32_e64 v18, v16, v18, s0
	v_sub_nc_u32_e32 v19, v9, v8
	v_cndmask_b32_e64 v17, v15, v17, s0
	v_lshl_add_u32 v15, v8, 3, v10
	v_lshl_add_u32 v5, v14, 3, v10
	v_sub_nc_u32_e32 v14, v13, v9
	ds_load_b64 v[4:5], v5
	v_sub_nc_u32_e32 v16, v12, v14
	v_cmp_ge_i32_e64 s1, v12, v14
	; wave barrier
	ds_store_b64 v11, v[17:18]
	v_cndmask_b32_e64 v14, 0, v16, s1
	v_min_i32_e32 v16, v12, v19
	s_mov_b32 s1, exec_lo
	; wave barrier
	s_delay_alu instid0(VALU_DEP_1)
	v_cmpx_lt_i32_e64 v14, v16
	s_cbranch_execz .LBB159_12
; %bb.9:
	v_lshlrev_b32_e32 v17, 3, v9
	v_lshlrev_b32_e32 v18, 3, v12
	s_delay_alu instid0(VALU_DEP_1)
	v_add3_u32 v17, v10, v17, v18
	.p2align	6
.LBB159_10:                             ; =>This Inner Loop Header: Depth=1
	v_sub_nc_u32_e32 v18, v16, v14
	s_delay_alu instid0(VALU_DEP_1) | instskip(NEXT) | instid1(VALU_DEP_1)
	v_lshrrev_b32_e32 v19, 31, v18
	v_add_nc_u32_e32 v18, v18, v19
	s_delay_alu instid0(VALU_DEP_1) | instskip(NEXT) | instid1(VALU_DEP_1)
	v_ashrrev_i32_e32 v18, 1, v18
	v_add_nc_u32_e32 v22, v18, v14
	s_delay_alu instid0(VALU_DEP_1) | instskip(SKIP_1) | instid1(VALU_DEP_2)
	v_not_b32_e32 v18, v22
	v_lshl_add_u32 v19, v22, 3, v15
	v_lshl_add_u32 v20, v18, 3, v17
	ds_load_b64 v[18:19], v19
	ds_load_b64 v[20:21], v20
	s_waitcnt lgkmcnt(0)
	v_cmp_lt_i64_e64 s0, v[20:21], v[18:19]
	v_add_nc_u32_e32 v18, 1, v22
	s_delay_alu instid0(VALU_DEP_2) | instskip(NEXT) | instid1(VALU_DEP_2)
	v_cndmask_b32_e64 v16, v16, v22, s0
	v_cndmask_b32_e64 v14, v18, v14, s0
	s_delay_alu instid0(VALU_DEP_1) | instskip(NEXT) | instid1(VALU_DEP_1)
	v_cmp_ge_i32_e64 s0, v14, v16
	s_or_b32 s2, s0, s2
	s_delay_alu instid0(SALU_CYCLE_1)
	s_and_not1_b32 exec_lo, exec_lo, s2
	s_cbranch_execnz .LBB159_10
; %bb.11:
	s_or_b32 exec_lo, exec_lo, s2
.LBB159_12:
	s_delay_alu instid0(SALU_CYCLE_1) | instskip(SKIP_1) | instid1(VALU_DEP_1)
	s_or_b32 exec_lo, exec_lo, s1
	v_add_nc_u32_e32 v12, v9, v12
	v_sub_nc_u32_e32 v20, v12, v14
	v_lshl_add_u32 v12, v14, 3, v15
	v_add_nc_u32_e32 v14, v14, v8
	s_delay_alu instid0(VALU_DEP_3) | instskip(SKIP_1) | instid1(VALU_DEP_3)
	v_lshl_add_u32 v15, v20, 3, v10
	v_cmp_gt_i32_e64 s2, v13, v20
	v_cmp_le_i32_e64 s1, v9, v14
	ds_load_b64 v[16:17], v12
	ds_load_b64 v[18:19], v15
	v_and_b32_e32 v12, 8, v7
	; wave barrier
	s_waitcnt lgkmcnt(3)
	ds_store_b64 v11, v[4:5]
	v_and_b32_e32 v4, 7, v7
	v_min_i32_e32 v12, v6, v12
	; wave barrier
	s_delay_alu instid0(VALU_DEP_1) | instskip(NEXT) | instid1(VALU_DEP_1)
	v_add_nc_u32_e32 v8, 4, v12
	v_min_i32_e32 v8, v6, v8
	s_waitcnt lgkmcnt(1)
	v_cmp_lt_i64_e64 s0, v[18:19], v[16:17]
	s_delay_alu instid0(VALU_DEP_2) | instskip(SKIP_1) | instid1(VALU_DEP_2)
	v_add_nc_u32_e32 v9, 4, v8
	v_sub_nc_u32_e32 v15, v8, v12
	v_min_i32_e32 v7, v6, v9
	s_delay_alu instid0(VALU_DEP_4) | instskip(NEXT) | instid1(SALU_CYCLE_1)
	s_or_b32 s0, s1, s0
	s_and_b32 s0, s2, s0
	s_mov_b32 s2, 0
	v_cndmask_b32_e64 v13, v14, v20, s0
	v_sub_nc_u32_e32 v9, v7, v8
	v_cndmask_b32_e64 v17, v17, v19, s0
	v_cndmask_b32_e64 v16, v16, v18, s0
	s_delay_alu instid0(VALU_DEP_4)
	v_lshl_add_u32 v5, v13, 3, v10
	v_min_i32_e32 v13, v6, v4
	ds_load_b64 v[4:5], v5
	v_sub_nc_u32_e32 v14, v13, v9
	v_cmp_ge_i32_e64 s1, v13, v9
	v_min_i32_e32 v15, v13, v15
	; wave barrier
	ds_store_b64 v11, v[16:17]
	v_cndmask_b32_e64 v9, 0, v14, s1
	v_lshl_add_u32 v14, v12, 3, v10
	s_mov_b32 s1, exec_lo
	; wave barrier
	s_delay_alu instid0(VALU_DEP_2)
	v_cmpx_lt_i32_e64 v9, v15
	s_cbranch_execz .LBB159_16
; %bb.13:
	v_lshlrev_b32_e32 v16, 3, v8
	v_lshlrev_b32_e32 v17, 3, v13
	s_delay_alu instid0(VALU_DEP_1)
	v_add3_u32 v16, v10, v16, v17
	.p2align	6
.LBB159_14:                             ; =>This Inner Loop Header: Depth=1
	v_sub_nc_u32_e32 v17, v15, v9
	s_delay_alu instid0(VALU_DEP_1) | instskip(NEXT) | instid1(VALU_DEP_1)
	v_lshrrev_b32_e32 v18, 31, v17
	v_add_nc_u32_e32 v17, v17, v18
	s_delay_alu instid0(VALU_DEP_1) | instskip(NEXT) | instid1(VALU_DEP_1)
	v_ashrrev_i32_e32 v17, 1, v17
	v_add_nc_u32_e32 v21, v17, v9
	s_delay_alu instid0(VALU_DEP_1) | instskip(SKIP_1) | instid1(VALU_DEP_2)
	v_not_b32_e32 v17, v21
	v_lshl_add_u32 v18, v21, 3, v14
	v_lshl_add_u32 v19, v17, 3, v16
	ds_load_b64 v[17:18], v18
	ds_load_b64 v[19:20], v19
	s_waitcnt lgkmcnt(0)
	v_cmp_lt_i64_e64 s0, v[19:20], v[17:18]
	v_add_nc_u32_e32 v17, 1, v21
	s_delay_alu instid0(VALU_DEP_2) | instskip(NEXT) | instid1(VALU_DEP_2)
	v_cndmask_b32_e64 v15, v15, v21, s0
	v_cndmask_b32_e64 v9, v17, v9, s0
	s_delay_alu instid0(VALU_DEP_1) | instskip(NEXT) | instid1(VALU_DEP_1)
	v_cmp_ge_i32_e64 s0, v9, v15
	s_or_b32 s2, s0, s2
	s_delay_alu instid0(SALU_CYCLE_1)
	s_and_not1_b32 exec_lo, exec_lo, s2
	s_cbranch_execnz .LBB159_14
; %bb.15:
	s_or_b32 exec_lo, exec_lo, s2
.LBB159_16:
	s_delay_alu instid0(SALU_CYCLE_1) | instskip(SKIP_1) | instid1(VALU_DEP_1)
	s_or_b32 exec_lo, exec_lo, s1
	v_add_nc_u32_e32 v13, v8, v13
	v_sub_nc_u32_e32 v15, v13, v9
	v_lshl_add_u32 v13, v9, 3, v14
	v_add_nc_u32_e32 v9, v9, v12
	s_delay_alu instid0(VALU_DEP_3) | instskip(SKIP_1) | instid1(VALU_DEP_3)
	v_lshl_add_u32 v14, v15, 3, v10
	v_cmp_gt_i32_e64 s2, v7, v15
	v_cmp_le_i32_e64 s1, v8, v9
	ds_load_b64 v[16:17], v13
	ds_load_b64 v[18:19], v14
	v_min_i32_e32 v13, 0, v6
	; wave barrier
	s_waitcnt lgkmcnt(3)
	ds_store_b64 v11, v[4:5]
	v_add_nc_u32_e32 v12, 8, v13
	; wave barrier
	s_delay_alu instid0(VALU_DEP_1) | instskip(NEXT) | instid1(VALU_DEP_1)
	v_min_i32_e32 v12, v6, v12
	v_add_nc_u32_e32 v7, 8, v12
	s_waitcnt lgkmcnt(1)
	v_cmp_lt_i64_e64 s0, v[18:19], v[16:17]
	s_delay_alu instid0(VALU_DEP_2) | instskip(SKIP_1) | instid1(VALU_DEP_2)
	v_min_i32_e32 v14, v6, v7
	v_min_i32_e32 v6, v6, v0
	v_sub_nc_u32_e32 v7, v14, v12
	s_delay_alu instid0(VALU_DEP_4) | instskip(NEXT) | instid1(SALU_CYCLE_1)
	s_or_b32 s0, s1, s0
	s_and_b32 s0, s2, s0
	s_mov_b32 s2, 0
	v_cndmask_b32_e64 v8, v9, v15, s0
	v_sub_nc_u32_e32 v9, v12, v13
	v_cmp_ge_i32_e64 s1, v6, v7
	v_cndmask_b32_e64 v17, v17, v19, s0
	v_cndmask_b32_e64 v16, v16, v18, s0
	v_lshl_add_u32 v4, v8, 3, v10
	v_sub_nc_u32_e32 v8, v6, v7
	v_lshl_add_u32 v7, v13, 3, v10
	ds_load_b64 v[4:5], v4
	v_cndmask_b32_e64 v15, 0, v8, s1
	v_min_i32_e32 v8, v6, v9
	s_mov_b32 s1, exec_lo
	; wave barrier
	ds_store_b64 v11, v[16:17]
	; wave barrier
	v_cmpx_lt_i32_e64 v15, v8
	s_cbranch_execz .LBB159_20
; %bb.17:
	v_lshlrev_b32_e32 v9, 3, v12
	v_lshlrev_b32_e32 v16, 3, v6
	s_delay_alu instid0(VALU_DEP_1)
	v_add3_u32 v9, v10, v9, v16
	.p2align	6
.LBB159_18:                             ; =>This Inner Loop Header: Depth=1
	v_sub_nc_u32_e32 v16, v8, v15
	s_delay_alu instid0(VALU_DEP_1) | instskip(NEXT) | instid1(VALU_DEP_1)
	v_lshrrev_b32_e32 v17, 31, v16
	v_add_nc_u32_e32 v16, v16, v17
	s_delay_alu instid0(VALU_DEP_1) | instskip(NEXT) | instid1(VALU_DEP_1)
	v_ashrrev_i32_e32 v16, 1, v16
	v_add_nc_u32_e32 v20, v16, v15
	s_delay_alu instid0(VALU_DEP_1) | instskip(SKIP_1) | instid1(VALU_DEP_2)
	v_not_b32_e32 v16, v20
	v_lshl_add_u32 v17, v20, 3, v7
	v_lshl_add_u32 v18, v16, 3, v9
	ds_load_b64 v[16:17], v17
	ds_load_b64 v[18:19], v18
	s_waitcnt lgkmcnt(0)
	v_cmp_lt_i64_e64 s0, v[18:19], v[16:17]
	v_add_nc_u32_e32 v16, 1, v20
	s_delay_alu instid0(VALU_DEP_2) | instskip(NEXT) | instid1(VALU_DEP_2)
	v_cndmask_b32_e64 v8, v8, v20, s0
	v_cndmask_b32_e64 v15, v16, v15, s0
	s_delay_alu instid0(VALU_DEP_1) | instskip(NEXT) | instid1(VALU_DEP_1)
	v_cmp_ge_i32_e64 s0, v15, v8
	s_or_b32 s2, s0, s2
	s_delay_alu instid0(SALU_CYCLE_1)
	s_and_not1_b32 exec_lo, exec_lo, s2
	s_cbranch_execnz .LBB159_18
; %bb.19:
	s_or_b32 exec_lo, exec_lo, s2
.LBB159_20:
	s_delay_alu instid0(SALU_CYCLE_1) | instskip(SKIP_1) | instid1(VALU_DEP_1)
	s_or_b32 exec_lo, exec_lo, s1
	v_add_nc_u32_e32 v6, v12, v6
	v_sub_nc_u32_e32 v16, v6, v15
	v_lshl_add_u32 v6, v15, 3, v7
	s_delay_alu instid0(VALU_DEP_2)
	v_lshl_add_u32 v8, v16, 3, v10
	ds_load_b64 v[6:7], v6
	ds_load_b64 v[8:9], v8
	; wave barrier
	s_waitcnt lgkmcnt(3)
	ds_store_b64 v11, v[4:5]
	; wave barrier
	s_and_saveexec_b32 s0, vcc_lo
	s_cbranch_execz .LBB159_22
; %bb.21:
	v_add_nc_u32_e32 v4, v15, v13
	s_waitcnt lgkmcnt(1)
	v_cmp_lt_i64_e32 vcc_lo, v[8:9], v[6:7]
	v_cmp_gt_i32_e64 s1, v14, v16
	v_lshlrev_b64 v[0:1], 3, v[0:1]
	v_cmp_le_i32_e64 s0, v12, v4
	s_delay_alu instid0(VALU_DEP_1)
	s_or_b32 s0, s0, vcc_lo
	s_delay_alu instid0(VALU_DEP_3) | instid1(SALU_CYCLE_1)
	s_and_b32 vcc_lo, s1, s0
	v_add_co_u32 v2, s0, s6, v2
	v_dual_cndmask_b32 v7, v7, v9 :: v_dual_cndmask_b32 v4, v4, v16
	v_add_co_ci_u32_e64 v3, s0, s7, v3, s0
	v_cndmask_b32_e32 v6, v6, v8, vcc_lo
	s_delay_alu instid0(VALU_DEP_4) | instskip(NEXT) | instid1(VALU_DEP_4)
	v_add_co_u32 v0, vcc_lo, v2, v0
	v_lshl_add_u32 v4, v4, 3, v10
	s_delay_alu instid0(VALU_DEP_4)
	v_add_co_ci_u32_e32 v1, vcc_lo, v3, v1, vcc_lo
	ds_load_b64 v[4:5], v4
	s_waitcnt lgkmcnt(0)
	v_add_co_u32 v2, vcc_lo, v4, v6
	v_add_co_ci_u32_e32 v3, vcc_lo, v5, v7, vcc_lo
	global_store_b64 v[0:1], v[2:3], off
.LBB159_22:
	s_nop 0
	s_sendmsg sendmsg(MSG_DEALLOC_VGPRS)
	s_endpgm
	.section	.rodata,"a",@progbits
	.p2align	6, 0x0
	.amdhsa_kernel _Z20sort_pairs_segmentedILj256ELj16ELj1ExN10test_utils4lessEEvPKT2_PS2_PKjT3_
		.amdhsa_group_segment_fixed_size 2176
		.amdhsa_private_segment_fixed_size 0
		.amdhsa_kernarg_size 28
		.amdhsa_user_sgpr_count 15
		.amdhsa_user_sgpr_dispatch_ptr 0
		.amdhsa_user_sgpr_queue_ptr 0
		.amdhsa_user_sgpr_kernarg_segment_ptr 1
		.amdhsa_user_sgpr_dispatch_id 0
		.amdhsa_user_sgpr_private_segment_size 0
		.amdhsa_wavefront_size32 1
		.amdhsa_uses_dynamic_stack 0
		.amdhsa_enable_private_segment 0
		.amdhsa_system_sgpr_workgroup_id_x 1
		.amdhsa_system_sgpr_workgroup_id_y 0
		.amdhsa_system_sgpr_workgroup_id_z 0
		.amdhsa_system_sgpr_workgroup_info 0
		.amdhsa_system_vgpr_workitem_id 0
		.amdhsa_next_free_vgpr 23
		.amdhsa_next_free_sgpr 16
		.amdhsa_reserve_vcc 1
		.amdhsa_float_round_mode_32 0
		.amdhsa_float_round_mode_16_64 0
		.amdhsa_float_denorm_mode_32 3
		.amdhsa_float_denorm_mode_16_64 3
		.amdhsa_dx10_clamp 1
		.amdhsa_ieee_mode 1
		.amdhsa_fp16_overflow 0
		.amdhsa_workgroup_processor_mode 1
		.amdhsa_memory_ordered 1
		.amdhsa_forward_progress 0
		.amdhsa_shared_vgpr_count 0
		.amdhsa_exception_fp_ieee_invalid_op 0
		.amdhsa_exception_fp_denorm_src 0
		.amdhsa_exception_fp_ieee_div_zero 0
		.amdhsa_exception_fp_ieee_overflow 0
		.amdhsa_exception_fp_ieee_underflow 0
		.amdhsa_exception_fp_ieee_inexact 0
		.amdhsa_exception_int_div_zero 0
	.end_amdhsa_kernel
	.section	.text._Z20sort_pairs_segmentedILj256ELj16ELj1ExN10test_utils4lessEEvPKT2_PS2_PKjT3_,"axG",@progbits,_Z20sort_pairs_segmentedILj256ELj16ELj1ExN10test_utils4lessEEvPKT2_PS2_PKjT3_,comdat
.Lfunc_end159:
	.size	_Z20sort_pairs_segmentedILj256ELj16ELj1ExN10test_utils4lessEEvPKT2_PS2_PKjT3_, .Lfunc_end159-_Z20sort_pairs_segmentedILj256ELj16ELj1ExN10test_utils4lessEEvPKT2_PS2_PKjT3_
                                        ; -- End function
	.section	.AMDGPU.csdata,"",@progbits
; Kernel info:
; codeLenInByte = 1996
; NumSgprs: 18
; NumVgprs: 23
; ScratchSize: 0
; MemoryBound: 0
; FloatMode: 240
; IeeeMode: 1
; LDSByteSize: 2176 bytes/workgroup (compile time only)
; SGPRBlocks: 2
; VGPRBlocks: 2
; NumSGPRsForWavesPerEU: 18
; NumVGPRsForWavesPerEU: 23
; Occupancy: 16
; WaveLimiterHint : 0
; COMPUTE_PGM_RSRC2:SCRATCH_EN: 0
; COMPUTE_PGM_RSRC2:USER_SGPR: 15
; COMPUTE_PGM_RSRC2:TRAP_HANDLER: 0
; COMPUTE_PGM_RSRC2:TGID_X_EN: 1
; COMPUTE_PGM_RSRC2:TGID_Y_EN: 0
; COMPUTE_PGM_RSRC2:TGID_Z_EN: 0
; COMPUTE_PGM_RSRC2:TIDIG_COMP_CNT: 0
	.section	.text._Z9sort_keysILj256ELj16ELj4ExN10test_utils4lessEEvPKT2_PS2_T3_,"axG",@progbits,_Z9sort_keysILj256ELj16ELj4ExN10test_utils4lessEEvPKT2_PS2_T3_,comdat
	.protected	_Z9sort_keysILj256ELj16ELj4ExN10test_utils4lessEEvPKT2_PS2_T3_ ; -- Begin function _Z9sort_keysILj256ELj16ELj4ExN10test_utils4lessEEvPKT2_PS2_T3_
	.globl	_Z9sort_keysILj256ELj16ELj4ExN10test_utils4lessEEvPKT2_PS2_T3_
	.p2align	8
	.type	_Z9sort_keysILj256ELj16ELj4ExN10test_utils4lessEEvPKT2_PS2_T3_,@function
_Z9sort_keysILj256ELj16ELj4ExN10test_utils4lessEEvPKT2_PS2_T3_: ; @_Z9sort_keysILj256ELj16ELj4ExN10test_utils4lessEEvPKT2_PS2_T3_
; %bb.0:
	s_load_b128 s[4:7], s[0:1], 0x0
	s_mov_b32 s3, 0
	s_lshl_b32 s2, s15, 10
	v_lshlrev_b32_e32 v1, 5, v0
	s_lshl_b64 s[8:9], s[2:3], 3
	v_lshlrev_b32_e32 v16, 2, v0
	s_waitcnt lgkmcnt(0)
	s_add_u32 s0, s4, s8
	s_addc_u32 s1, s5, s9
	s_clause 0x1
	global_load_b128 v[10:13], v1, s[0:1]
	global_load_b128 v[23:26], v1, s[0:1] offset:16
	v_mbcnt_lo_u32_b32 v1, -1, 0
	; wave barrier
	s_delay_alu instid0(VALU_DEP_1) | instskip(SKIP_1) | instid1(VALU_DEP_2)
	v_lshlrev_b32_e32 v20, 2, v1
	v_lshrrev_b32_e32 v1, 4, v0
	v_and_b32_e32 v8, 56, v20
	v_and_b32_e32 v4, 4, v20
	s_delay_alu instid0(VALU_DEP_2) | instskip(SKIP_2) | instid1(VALU_DEP_3)
	v_or_b32_e32 v22, 4, v8
	v_add_nc_u32_e32 v21, 8, v8
	v_lshlrev_b32_e32 v5, 3, v8
	v_sub_nc_u32_e32 v6, v22, v8
	s_delay_alu instid0(VALU_DEP_3) | instskip(NEXT) | instid1(VALU_DEP_3)
	v_sub_nc_u32_e32 v3, v21, v22
	v_mad_u32_u24 v0, 0x208, v1, v5
	s_delay_alu instid0(VALU_DEP_2) | instskip(SKIP_1) | instid1(VALU_DEP_2)
	v_sub_nc_u32_e32 v7, v4, v3
	v_cmp_ge_i32_e32 vcc_lo, v4, v3
	v_cndmask_b32_e32 v9, 0, v7, vcc_lo
	s_waitcnt vmcnt(1)
	v_cmp_gt_i64_e32 vcc_lo, v[12:13], v[10:11]
	v_cmp_lt_i64_e64 s1, v[12:13], v[10:11]
	s_waitcnt vmcnt(0)
	v_cmp_lt_i64_e64 s0, v[25:26], v[23:24]
	v_cndmask_b32_e32 v5, v10, v12, vcc_lo
	s_delay_alu instid0(VALU_DEP_3)
	v_cndmask_b32_e64 v3, v12, v10, s1
	v_cndmask_b32_e64 v10, v10, v12, s1
	v_and_b32_e32 v18, 60, v20
	v_cndmask_b32_e64 v15, v24, v26, s0
	v_cndmask_b32_e64 v14, v23, v25, s0
	;; [unrolled: 1-line block ×4, first 2 shown]
	v_lshlrev_b32_e32 v2, 3, v18
	v_cndmask_b32_e64 v7, v25, v23, s0
	s_delay_alu instid0(VALU_DEP_2) | instskip(SKIP_4) | instid1(VALU_DEP_3)
	v_mad_u32_u24 v19, 0x208, v1, v2
	v_min_i32_e32 v2, v4, v6
	v_cndmask_b32_e32 v6, v11, v13, vcc_lo
	v_cmp_gt_i64_e32 vcc_lo, v[25:26], v[23:24]
	v_cndmask_b32_e64 v11, v11, v13, s1
	v_cmp_lt_i64_e64 s2, v[14:15], v[5:6]
	v_dual_cndmask_b32 v27, v24, v26 :: v_dual_cndmask_b32 v26, v23, v25
	s_delay_alu instid0(VALU_DEP_3) | instskip(NEXT) | instid1(VALU_DEP_3)
	v_cmp_lt_i64_e32 vcc_lo, v[14:15], v[10:11]
	v_cndmask_b32_e64 v23, v6, v15, s2
	v_cndmask_b32_e64 v13, v15, v6, s2
	v_cndmask_b32_e64 v3, v3, v14, s2
	s_delay_alu instid0(VALU_DEP_3)
	v_cndmask_b32_e32 v24, v23, v11, vcc_lo
	v_cmp_gt_i64_e64 s1, v[14:15], v[5:6]
	v_cmp_gt_i64_e64 s0, v[5:6], v[26:27]
	v_cndmask_b32_e64 v30, v5, v14, s2
	v_cndmask_b32_e64 v31, v14, v5, s2
	v_cndmask_b32_e32 v3, v3, v10, vcc_lo
	v_cndmask_b32_e64 v25, v5, v14, s1
	v_cndmask_b32_e64 v28, v6, v15, s1
	v_dual_cndmask_b32 v6, v11, v23 :: v_dual_cndmask_b32 v23, v30, v10
	v_cndmask_b32_e64 v15, v17, v15, s2
	v_cndmask_b32_e64 v13, v13, v27, s0
	s_delay_alu instid0(VALU_DEP_4)
	v_cndmask_b32_e64 v12, v12, v28, s0
	v_cndmask_b32_e64 v29, v28, v27, s0
	;; [unrolled: 1-line block ×3, first 2 shown]
	v_cndmask_b32_e32 v15, v15, v11, vcc_lo
	v_cndmask_b32_e32 v5, v10, v30, vcc_lo
	v_cndmask_b32_e64 v10, v31, v26, s0
	v_cndmask_b32_e64 v11, v7, v25, s0
	v_cmp_lt_i64_e64 s1, v[28:29], v[23:24]
	s_mov_b32 s0, exec_lo
	s_delay_alu instid0(VALU_DEP_1)
	v_cndmask_b32_e64 v14, v13, v24, s1
	v_cndmask_b32_e64 v25, v15, v29, s1
	;; [unrolled: 1-line block ×4, first 2 shown]
	ds_store_2addr_b64 v19, v[5:6], v[24:25] offset1:1
	ds_store_2addr_b64 v19, v[13:14], v[11:12] offset0:2 offset1:3
	; wave barrier
	v_cmpx_lt_i32_e64 v9, v2
	s_cbranch_execz .LBB160_4
; %bb.1:
	v_lshlrev_b32_e32 v3, 3, v4
	s_delay_alu instid0(VALU_DEP_1)
	v_add3_u32 v3, v0, v3, 32
	.p2align	6
.LBB160_2:                              ; =>This Inner Loop Header: Depth=1
	v_sub_nc_u32_e32 v5, v2, v9
	s_delay_alu instid0(VALU_DEP_1) | instskip(NEXT) | instid1(VALU_DEP_1)
	v_lshrrev_b32_e32 v6, 31, v5
	v_add_nc_u32_e32 v5, v5, v6
	s_delay_alu instid0(VALU_DEP_1) | instskip(NEXT) | instid1(VALU_DEP_1)
	v_ashrrev_i32_e32 v5, 1, v5
	v_add_nc_u32_e32 v7, v5, v9
	s_delay_alu instid0(VALU_DEP_1) | instskip(SKIP_1) | instid1(VALU_DEP_2)
	v_not_b32_e32 v5, v7
	v_lshl_add_u32 v6, v7, 3, v0
	v_lshl_add_u32 v10, v5, 3, v3
	ds_load_b64 v[5:6], v6
	ds_load_b64 v[10:11], v10
	s_waitcnt lgkmcnt(0)
	v_cmp_lt_i64_e32 vcc_lo, v[10:11], v[5:6]
	v_add_nc_u32_e32 v5, 1, v7
	s_delay_alu instid0(VALU_DEP_1) | instskip(NEXT) | instid1(VALU_DEP_1)
	v_dual_cndmask_b32 v2, v2, v7 :: v_dual_cndmask_b32 v9, v5, v9
	v_cmp_ge_i32_e32 vcc_lo, v9, v2
	s_or_b32 s3, vcc_lo, s3
	s_delay_alu instid0(SALU_CYCLE_1)
	s_and_not1_b32 exec_lo, exec_lo, s3
	s_cbranch_execnz .LBB160_2
; %bb.3:
	s_or_b32 exec_lo, exec_lo, s3
.LBB160_4:
	s_delay_alu instid0(SALU_CYCLE_1)
	s_or_b32 exec_lo, exec_lo, s0
	v_mul_u32_u24_e32 v17, 0x208, v1
	v_add_nc_u32_e32 v1, v8, v4
	v_lshl_add_u32 v6, v9, 3, v0
	v_add_nc_u32_e32 v4, v22, v4
	v_cmp_lt_i32_e64 s0, 3, v9
	s_delay_alu instid0(VALU_DEP_4) | instskip(NEXT) | instid1(VALU_DEP_3)
	v_sub_nc_u32_e32 v1, v1, v9
	v_sub_nc_u32_e32 v10, v4, v9
                                        ; implicit-def: $vgpr4_vgpr5
	s_delay_alu instid0(VALU_DEP_2)
	v_lshl_add_u32 v11, v1, 3, v17
	ds_load_b64 v[0:1], v6
	ds_load_b64 v[2:3], v11 offset:32
	v_cmp_gt_i32_e64 s1, v21, v10
	s_waitcnt lgkmcnt(0)
	v_cmp_lt_i64_e32 vcc_lo, v[2:3], v[0:1]
	s_or_b32 s0, s0, vcc_lo
	s_delay_alu instid0(VALU_DEP_2) | instid1(SALU_CYCLE_1)
	s_and_b32 vcc_lo, s1, s0
	s_delay_alu instid0(SALU_CYCLE_1) | instskip(NEXT) | instid1(SALU_CYCLE_1)
	s_xor_b32 s0, vcc_lo, -1
	s_and_saveexec_b32 s1, s0
	s_delay_alu instid0(SALU_CYCLE_1)
	s_xor_b32 s0, exec_lo, s1
	s_cbranch_execz .LBB160_6
; %bb.5:
	ds_load_b64 v[4:5], v6 offset:8
                                        ; implicit-def: $vgpr11
.LBB160_6:
	s_or_saveexec_b32 s0, s0
	v_dual_mov_b32 v7, v3 :: v_dual_mov_b32 v6, v2
	s_xor_b32 exec_lo, exec_lo, s0
	s_cbranch_execz .LBB160_8
; %bb.7:
	ds_load_b64 v[6:7], v11 offset:40
	s_waitcnt lgkmcnt(1)
	v_dual_mov_b32 v5, v1 :: v_dual_mov_b32 v4, v0
.LBB160_8:
	s_or_b32 exec_lo, exec_lo, s0
	v_add_nc_u32_e32 v8, v9, v8
	v_add_nc_u32_e32 v11, 1, v10
	s_waitcnt lgkmcnt(0)
	v_cmp_lt_i64_e64 s0, v[6:7], v[4:5]
	s_delay_alu instid0(VALU_DEP_2) | instskip(NEXT) | instid1(VALU_DEP_1)
	v_dual_cndmask_b32 v12, v10, v11 :: v_dual_add_nc_u32 v9, 1, v8
	v_cndmask_b32_e32 v13, v9, v8, vcc_lo
	s_delay_alu instid0(VALU_DEP_2) | instskip(NEXT) | instid1(VALU_DEP_2)
	v_cmp_lt_i32_e64 s2, v12, v21
                                        ; implicit-def: $vgpr8_vgpr9
	v_cmp_ge_i32_e64 s1, v13, v22
	s_delay_alu instid0(VALU_DEP_1)
	s_or_b32 s0, s1, s0
	s_delay_alu instid0(VALU_DEP_2) | instid1(SALU_CYCLE_1)
	s_and_b32 s0, s2, s0
	s_delay_alu instid0(SALU_CYCLE_1) | instskip(NEXT) | instid1(SALU_CYCLE_1)
	s_xor_b32 s1, s0, -1
	s_and_saveexec_b32 s2, s1
	s_delay_alu instid0(SALU_CYCLE_1)
	s_xor_b32 s1, exec_lo, s2
	s_cbranch_execz .LBB160_10
; %bb.9:
	v_lshl_add_u32 v8, v13, 3, v17
	ds_load_b64 v[8:9], v8 offset:8
.LBB160_10:
	s_or_saveexec_b32 s1, s1
	v_dual_mov_b32 v11, v7 :: v_dual_mov_b32 v10, v6
	s_xor_b32 exec_lo, exec_lo, s1
	s_cbranch_execz .LBB160_12
; %bb.11:
	s_waitcnt lgkmcnt(0)
	v_lshl_add_u32 v8, v12, 3, v17
	ds_load_b64 v[10:11], v8 offset:8
	v_dual_mov_b32 v9, v5 :: v_dual_mov_b32 v8, v4
.LBB160_12:
	s_or_b32 exec_lo, exec_lo, s1
	v_add_nc_u32_e32 v14, 1, v13
	v_add_nc_u32_e32 v15, 1, v12
	s_waitcnt lgkmcnt(0)
	v_cmp_lt_i64_e64 s1, v[10:11], v[8:9]
	s_delay_alu instid0(VALU_DEP_3) | instskip(NEXT) | instid1(VALU_DEP_3)
	v_cndmask_b32_e64 v23, v14, v13, s0
	v_cndmask_b32_e64 v24, v12, v15, s0
                                        ; implicit-def: $vgpr12_vgpr13
	s_delay_alu instid0(VALU_DEP_2) | instskip(NEXT) | instid1(VALU_DEP_2)
	v_cmp_ge_i32_e64 s2, v23, v22
	v_cmp_lt_i32_e64 s3, v24, v21
	s_delay_alu instid0(VALU_DEP_2)
	s_or_b32 s1, s2, s1
	s_delay_alu instid0(VALU_DEP_1) | instid1(SALU_CYCLE_1)
	s_and_b32 s1, s3, s1
	s_delay_alu instid0(SALU_CYCLE_1) | instskip(NEXT) | instid1(SALU_CYCLE_1)
	s_xor_b32 s2, s1, -1
	s_and_saveexec_b32 s3, s2
	s_delay_alu instid0(SALU_CYCLE_1)
	s_xor_b32 s2, exec_lo, s3
	s_cbranch_execz .LBB160_14
; %bb.13:
	v_lshl_add_u32 v12, v23, 3, v17
	ds_load_b64 v[12:13], v12 offset:8
.LBB160_14:
	s_or_saveexec_b32 s2, s2
	v_dual_mov_b32 v15, v11 :: v_dual_mov_b32 v14, v10
	s_xor_b32 exec_lo, exec_lo, s2
	s_cbranch_execz .LBB160_16
; %bb.15:
	s_waitcnt lgkmcnt(0)
	v_lshl_add_u32 v12, v24, 3, v17
	ds_load_b64 v[14:15], v12 offset:8
	v_dual_mov_b32 v13, v9 :: v_dual_mov_b32 v12, v8
.LBB160_16:
	s_or_b32 exec_lo, exec_lo, s2
	v_dual_cndmask_b32 v2, v0, v2 :: v_dual_add_nc_u32 v25, 1, v24
	v_add_nc_u32_e32 v26, 1, v23
	v_cndmask_b32_e64 v10, v8, v10, s1
	v_cndmask_b32_e64 v11, v9, v11, s1
	s_delay_alu instid0(VALU_DEP_4)
	v_cndmask_b32_e64 v8, v24, v25, s1
	v_cndmask_b32_e64 v7, v5, v7, s0
	;; [unrolled: 1-line block ×3, first 2 shown]
	s_waitcnt lgkmcnt(0)
	v_cmp_lt_i64_e64 s1, v[14:15], v[12:13]
	v_cndmask_b32_e64 v6, v4, v6, s0
	v_cmp_lt_i32_e64 s2, v8, v21
	v_dual_cndmask_b32 v3, v1, v3 :: v_dual_and_b32 v4, 12, v20
	v_cmp_ge_i32_e64 s0, v25, v22
	; wave barrier
	s_delay_alu instid0(VALU_DEP_1)
	s_or_b32 s0, s0, s1
	s_mov_b32 s1, 0
	s_and_b32 vcc_lo, s2, s0
	v_dual_cndmask_b32 v12, v12, v14 :: v_dual_and_b32 v9, 48, v20
	v_cndmask_b32_e32 v13, v13, v15, vcc_lo
	ds_store_2addr_b64 v19, v[2:3], v[6:7] offset1:1
	ds_store_2addr_b64 v19, v[10:11], v[12:13] offset0:2 offset1:3
	v_or_b32_e32 v24, 8, v9
	v_add_nc_u32_e32 v23, 16, v9
	; wave barrier
	s_delay_alu instid0(VALU_DEP_2) | instskip(NEXT) | instid1(VALU_DEP_2)
	v_sub_nc_u32_e32 v1, v24, v9
	v_sub_nc_u32_e32 v5, v23, v24
	s_delay_alu instid0(VALU_DEP_2) | instskip(NEXT) | instid1(VALU_DEP_2)
	v_min_i32_e32 v1, v4, v1
	v_sub_nc_u32_e32 v0, v4, v5
	v_cmp_ge_i32_e64 s0, v4, v5
	s_delay_alu instid0(VALU_DEP_1) | instskip(SKIP_2) | instid1(VALU_DEP_2)
	v_cndmask_b32_e64 v8, 0, v0, s0
	v_lshl_add_u32 v0, v9, 3, v17
	s_mov_b32 s0, exec_lo
	v_cmpx_lt_i32_e64 v8, v1
	s_cbranch_execz .LBB160_20
; %bb.17:
	v_lshlrev_b32_e32 v2, 3, v4
	s_delay_alu instid0(VALU_DEP_1)
	v_add3_u32 v2, v0, v2, 64
	.p2align	6
.LBB160_18:                             ; =>This Inner Loop Header: Depth=1
	v_sub_nc_u32_e32 v3, v1, v8
	s_delay_alu instid0(VALU_DEP_1) | instskip(NEXT) | instid1(VALU_DEP_1)
	v_lshrrev_b32_e32 v5, 31, v3
	v_add_nc_u32_e32 v3, v3, v5
	s_delay_alu instid0(VALU_DEP_1) | instskip(NEXT) | instid1(VALU_DEP_1)
	v_ashrrev_i32_e32 v3, 1, v3
	v_add_nc_u32_e32 v3, v3, v8
	s_delay_alu instid0(VALU_DEP_1) | instskip(SKIP_1) | instid1(VALU_DEP_2)
	v_not_b32_e32 v5, v3
	v_lshl_add_u32 v6, v3, 3, v0
	v_lshl_add_u32 v7, v5, 3, v2
	ds_load_b64 v[5:6], v6
	ds_load_b64 v[10:11], v7
	s_waitcnt lgkmcnt(0)
	v_cmp_lt_i64_e32 vcc_lo, v[10:11], v[5:6]
	v_add_nc_u32_e32 v5, 1, v3
	s_delay_alu instid0(VALU_DEP_1) | instskip(SKIP_1) | instid1(VALU_DEP_1)
	v_cndmask_b32_e32 v8, v5, v8, vcc_lo
	v_cndmask_b32_e32 v1, v1, v3, vcc_lo
	v_cmp_ge_i32_e32 vcc_lo, v8, v1
	s_or_b32 s1, vcc_lo, s1
	s_delay_alu instid0(SALU_CYCLE_1)
	s_and_not1_b32 exec_lo, exec_lo, s1
	s_cbranch_execnz .LBB160_18
; %bb.19:
	s_or_b32 exec_lo, exec_lo, s1
.LBB160_20:
	s_delay_alu instid0(SALU_CYCLE_1) | instskip(SKIP_4) | instid1(VALU_DEP_4)
	s_or_b32 exec_lo, exec_lo, s0
	v_add_nc_u32_e32 v1, v9, v4
	v_lshl_add_u32 v6, v8, 3, v0
	v_add_nc_u32_e32 v4, v24, v4
	v_cmp_lt_i32_e64 s0, 7, v8
	v_sub_nc_u32_e32 v1, v1, v8
	s_delay_alu instid0(VALU_DEP_3) | instskip(NEXT) | instid1(VALU_DEP_2)
	v_sub_nc_u32_e32 v10, v4, v8
                                        ; implicit-def: $vgpr4_vgpr5
	v_lshl_add_u32 v11, v1, 3, v17
	ds_load_b64 v[0:1], v6
	ds_load_b64 v[2:3], v11 offset:64
	v_cmp_gt_i32_e64 s1, v23, v10
	s_waitcnt lgkmcnt(0)
	v_cmp_lt_i64_e32 vcc_lo, v[2:3], v[0:1]
	s_or_b32 s0, s0, vcc_lo
	s_delay_alu instid0(VALU_DEP_2) | instid1(SALU_CYCLE_1)
	s_and_b32 vcc_lo, s1, s0
	s_delay_alu instid0(SALU_CYCLE_1) | instskip(NEXT) | instid1(SALU_CYCLE_1)
	s_xor_b32 s0, vcc_lo, -1
	s_and_saveexec_b32 s1, s0
	s_delay_alu instid0(SALU_CYCLE_1)
	s_xor_b32 s0, exec_lo, s1
	s_cbranch_execz .LBB160_22
; %bb.21:
	ds_load_b64 v[4:5], v6 offset:8
                                        ; implicit-def: $vgpr11
.LBB160_22:
	s_or_saveexec_b32 s0, s0
	v_dual_mov_b32 v7, v3 :: v_dual_mov_b32 v6, v2
	s_xor_b32 exec_lo, exec_lo, s0
	s_cbranch_execz .LBB160_24
; %bb.23:
	ds_load_b64 v[6:7], v11 offset:72
	s_waitcnt lgkmcnt(1)
	v_dual_mov_b32 v5, v1 :: v_dual_mov_b32 v4, v0
.LBB160_24:
	s_or_b32 exec_lo, exec_lo, s0
	v_add_nc_u32_e32 v8, v8, v9
	v_add_nc_u32_e32 v11, 1, v10
	s_waitcnt lgkmcnt(0)
	v_cmp_lt_i64_e64 s0, v[6:7], v[4:5]
	s_delay_alu instid0(VALU_DEP_2) | instskip(NEXT) | instid1(VALU_DEP_1)
	v_dual_cndmask_b32 v12, v10, v11 :: v_dual_add_nc_u32 v9, 1, v8
	v_cndmask_b32_e32 v13, v9, v8, vcc_lo
	s_delay_alu instid0(VALU_DEP_2) | instskip(NEXT) | instid1(VALU_DEP_2)
	v_cmp_lt_i32_e64 s2, v12, v23
                                        ; implicit-def: $vgpr8_vgpr9
	v_cmp_ge_i32_e64 s1, v13, v24
	s_delay_alu instid0(VALU_DEP_1)
	s_or_b32 s0, s1, s0
	s_delay_alu instid0(VALU_DEP_2) | instid1(SALU_CYCLE_1)
	s_and_b32 s0, s2, s0
	s_delay_alu instid0(SALU_CYCLE_1) | instskip(NEXT) | instid1(SALU_CYCLE_1)
	s_xor_b32 s1, s0, -1
	s_and_saveexec_b32 s2, s1
	s_delay_alu instid0(SALU_CYCLE_1)
	s_xor_b32 s1, exec_lo, s2
	s_cbranch_execz .LBB160_26
; %bb.25:
	v_lshl_add_u32 v8, v13, 3, v17
	ds_load_b64 v[8:9], v8 offset:8
.LBB160_26:
	s_or_saveexec_b32 s1, s1
	v_dual_mov_b32 v11, v7 :: v_dual_mov_b32 v10, v6
	s_xor_b32 exec_lo, exec_lo, s1
	s_cbranch_execz .LBB160_28
; %bb.27:
	s_waitcnt lgkmcnt(0)
	v_lshl_add_u32 v8, v12, 3, v17
	ds_load_b64 v[10:11], v8 offset:8
	v_dual_mov_b32 v9, v5 :: v_dual_mov_b32 v8, v4
.LBB160_28:
	s_or_b32 exec_lo, exec_lo, s1
	v_add_nc_u32_e32 v14, 1, v13
	v_add_nc_u32_e32 v15, 1, v12
	s_waitcnt lgkmcnt(0)
	v_cmp_lt_i64_e64 s1, v[10:11], v[8:9]
	s_delay_alu instid0(VALU_DEP_3) | instskip(NEXT) | instid1(VALU_DEP_3)
	v_cndmask_b32_e64 v21, v14, v13, s0
	v_cndmask_b32_e64 v22, v12, v15, s0
                                        ; implicit-def: $vgpr12_vgpr13
	s_delay_alu instid0(VALU_DEP_2) | instskip(NEXT) | instid1(VALU_DEP_2)
	v_cmp_ge_i32_e64 s2, v21, v24
	v_cmp_lt_i32_e64 s3, v22, v23
	s_delay_alu instid0(VALU_DEP_2)
	s_or_b32 s1, s2, s1
	s_delay_alu instid0(VALU_DEP_1) | instid1(SALU_CYCLE_1)
	s_and_b32 s1, s3, s1
	s_delay_alu instid0(SALU_CYCLE_1) | instskip(NEXT) | instid1(SALU_CYCLE_1)
	s_xor_b32 s2, s1, -1
	s_and_saveexec_b32 s3, s2
	s_delay_alu instid0(SALU_CYCLE_1)
	s_xor_b32 s2, exec_lo, s3
	s_cbranch_execz .LBB160_30
; %bb.29:
	v_lshl_add_u32 v12, v21, 3, v17
	ds_load_b64 v[12:13], v12 offset:8
.LBB160_30:
	s_or_saveexec_b32 s2, s2
	v_dual_mov_b32 v15, v11 :: v_dual_mov_b32 v14, v10
	s_xor_b32 exec_lo, exec_lo, s2
	s_cbranch_execz .LBB160_32
; %bb.31:
	s_waitcnt lgkmcnt(0)
	v_lshl_add_u32 v12, v22, 3, v17
	ds_load_b64 v[14:15], v12 offset:8
	v_dual_mov_b32 v13, v9 :: v_dual_mov_b32 v12, v8
.LBB160_32:
	s_or_b32 exec_lo, exec_lo, s2
	v_add_nc_u32_e32 v25, 1, v22
	v_dual_cndmask_b32 v3, v1, v3 :: v_dual_add_nc_u32 v26, 1, v21
	v_cndmask_b32_e64 v10, v8, v10, s1
	v_cndmask_b32_e64 v11, v9, v11, s1
	s_delay_alu instid0(VALU_DEP_4) | instskip(NEXT) | instid1(VALU_DEP_4)
	v_cndmask_b32_e64 v8, v22, v25, s1
	v_cndmask_b32_e64 v25, v26, v21, s1
	s_waitcnt lgkmcnt(0)
	v_cmp_lt_i64_e64 s1, v[14:15], v[12:13]
	v_cndmask_b32_e64 v7, v5, v7, s0
	v_cndmask_b32_e64 v6, v4, v6, s0
	v_dual_cndmask_b32 v2, v0, v2 :: v_dual_and_b32 v9, 32, v20
	v_cmp_ge_i32_e64 s0, v25, v24
	v_cmp_lt_i32_e64 s2, v8, v23
	s_delay_alu instid0(VALU_DEP_3) | instskip(NEXT) | instid1(VALU_DEP_3)
	v_or_b32_e32 v22, 16, v9
	; wave barrier
	s_or_b32 s0, s0, s1
	s_mov_b32 s1, 0
	s_delay_alu instid0(VALU_DEP_2) | instskip(SKIP_3) | instid1(VALU_DEP_3)
	s_and_b32 vcc_lo, s2, s0
	v_dual_cndmask_b32 v12, v12, v14 :: v_dual_add_nc_u32 v21, 32, v9
	v_dual_cndmask_b32 v13, v13, v15 :: v_dual_and_b32 v4, 28, v20
	v_sub_nc_u32_e32 v1, v22, v9
	v_sub_nc_u32_e32 v5, v21, v22
	ds_store_2addr_b64 v19, v[2:3], v[6:7] offset1:1
	ds_store_2addr_b64 v19, v[10:11], v[12:13] offset0:2 offset1:3
	v_min_i32_e32 v1, v4, v1
	v_sub_nc_u32_e32 v0, v4, v5
	v_cmp_ge_i32_e64 s0, v4, v5
	; wave barrier
	s_delay_alu instid0(VALU_DEP_1) | instskip(SKIP_2) | instid1(VALU_DEP_2)
	v_cndmask_b32_e64 v8, 0, v0, s0
	v_lshl_add_u32 v0, v9, 3, v17
	s_mov_b32 s0, exec_lo
	v_cmpx_lt_i32_e64 v8, v1
	s_cbranch_execz .LBB160_36
; %bb.33:
	v_lshlrev_b32_e32 v2, 3, v4
	s_delay_alu instid0(VALU_DEP_1)
	v_add3_u32 v2, v0, v2, 0x80
	.p2align	6
.LBB160_34:                             ; =>This Inner Loop Header: Depth=1
	v_sub_nc_u32_e32 v3, v1, v8
	s_delay_alu instid0(VALU_DEP_1) | instskip(NEXT) | instid1(VALU_DEP_1)
	v_lshrrev_b32_e32 v5, 31, v3
	v_add_nc_u32_e32 v3, v3, v5
	s_delay_alu instid0(VALU_DEP_1) | instskip(NEXT) | instid1(VALU_DEP_1)
	v_ashrrev_i32_e32 v3, 1, v3
	v_add_nc_u32_e32 v3, v3, v8
	s_delay_alu instid0(VALU_DEP_1) | instskip(SKIP_1) | instid1(VALU_DEP_2)
	v_not_b32_e32 v5, v3
	v_lshl_add_u32 v6, v3, 3, v0
	v_lshl_add_u32 v7, v5, 3, v2
	ds_load_b64 v[5:6], v6
	ds_load_b64 v[10:11], v7
	s_waitcnt lgkmcnt(0)
	v_cmp_lt_i64_e32 vcc_lo, v[10:11], v[5:6]
	v_add_nc_u32_e32 v5, 1, v3
	s_delay_alu instid0(VALU_DEP_1) | instskip(SKIP_1) | instid1(VALU_DEP_1)
	v_cndmask_b32_e32 v8, v5, v8, vcc_lo
	v_cndmask_b32_e32 v1, v1, v3, vcc_lo
	v_cmp_ge_i32_e32 vcc_lo, v8, v1
	s_or_b32 s1, vcc_lo, s1
	s_delay_alu instid0(SALU_CYCLE_1)
	s_and_not1_b32 exec_lo, exec_lo, s1
	s_cbranch_execnz .LBB160_34
; %bb.35:
	s_or_b32 exec_lo, exec_lo, s1
.LBB160_36:
	s_delay_alu instid0(SALU_CYCLE_1) | instskip(SKIP_4) | instid1(VALU_DEP_4)
	s_or_b32 exec_lo, exec_lo, s0
	v_add_nc_u32_e32 v1, v9, v4
	v_lshl_add_u32 v6, v8, 3, v0
	v_add_nc_u32_e32 v4, v22, v4
	v_cmp_lt_i32_e64 s0, 15, v8
	v_sub_nc_u32_e32 v1, v1, v8
	s_delay_alu instid0(VALU_DEP_3) | instskip(NEXT) | instid1(VALU_DEP_2)
	v_sub_nc_u32_e32 v10, v4, v8
                                        ; implicit-def: $vgpr4_vgpr5
	v_lshl_add_u32 v11, v1, 3, v17
	ds_load_b64 v[0:1], v6
	ds_load_b64 v[2:3], v11 offset:128
	v_cmp_gt_i32_e64 s1, v21, v10
	s_waitcnt lgkmcnt(0)
	v_cmp_lt_i64_e32 vcc_lo, v[2:3], v[0:1]
	s_or_b32 s0, s0, vcc_lo
	s_delay_alu instid0(VALU_DEP_2) | instid1(SALU_CYCLE_1)
	s_and_b32 vcc_lo, s1, s0
	s_delay_alu instid0(SALU_CYCLE_1) | instskip(NEXT) | instid1(SALU_CYCLE_1)
	s_xor_b32 s0, vcc_lo, -1
	s_and_saveexec_b32 s1, s0
	s_delay_alu instid0(SALU_CYCLE_1)
	s_xor_b32 s0, exec_lo, s1
	s_cbranch_execz .LBB160_38
; %bb.37:
	ds_load_b64 v[4:5], v6 offset:8
                                        ; implicit-def: $vgpr11
.LBB160_38:
	s_or_saveexec_b32 s0, s0
	v_dual_mov_b32 v7, v3 :: v_dual_mov_b32 v6, v2
	s_xor_b32 exec_lo, exec_lo, s0
	s_cbranch_execz .LBB160_40
; %bb.39:
	ds_load_b64 v[6:7], v11 offset:136
	s_waitcnt lgkmcnt(1)
	v_dual_mov_b32 v5, v1 :: v_dual_mov_b32 v4, v0
.LBB160_40:
	s_or_b32 exec_lo, exec_lo, s0
	v_add_nc_u32_e32 v8, v8, v9
	s_waitcnt lgkmcnt(0)
	s_delay_alu instid0(VALU_DEP_2) | instskip(NEXT) | instid1(VALU_DEP_2)
	v_cmp_lt_i64_e64 s0, v[6:7], v[4:5]
	v_add_nc_u32_e32 v9, 1, v8
	s_delay_alu instid0(VALU_DEP_1) | instskip(NEXT) | instid1(VALU_DEP_1)
	v_dual_cndmask_b32 v11, v9, v8 :: v_dual_add_nc_u32 v12, 1, v10
	v_cndmask_b32_e32 v10, v10, v12, vcc_lo
                                        ; implicit-def: $vgpr8_vgpr9
	s_delay_alu instid0(VALU_DEP_2) | instskip(NEXT) | instid1(VALU_DEP_2)
	v_cmp_ge_i32_e64 s1, v11, v22
	v_cmp_lt_i32_e64 s2, v10, v21
	s_delay_alu instid0(VALU_DEP_2)
	s_or_b32 s0, s1, s0
	s_delay_alu instid0(VALU_DEP_1) | instid1(SALU_CYCLE_1)
	s_and_b32 s0, s2, s0
	s_delay_alu instid0(SALU_CYCLE_1) | instskip(NEXT) | instid1(SALU_CYCLE_1)
	s_xor_b32 s1, s0, -1
	s_and_saveexec_b32 s2, s1
	s_delay_alu instid0(SALU_CYCLE_1)
	s_xor_b32 s1, exec_lo, s2
	s_cbranch_execz .LBB160_42
; %bb.41:
	v_lshl_add_u32 v8, v11, 3, v17
	ds_load_b64 v[8:9], v8 offset:8
.LBB160_42:
	s_or_saveexec_b32 s1, s1
	v_dual_mov_b32 v13, v7 :: v_dual_mov_b32 v12, v6
	s_xor_b32 exec_lo, exec_lo, s1
	s_cbranch_execz .LBB160_44
; %bb.43:
	s_waitcnt lgkmcnt(0)
	v_lshl_add_u32 v8, v10, 3, v17
	ds_load_b64 v[12:13], v8 offset:8
	v_dual_mov_b32 v9, v5 :: v_dual_mov_b32 v8, v4
.LBB160_44:
	s_or_b32 exec_lo, exec_lo, s1
	v_add_nc_u32_e32 v14, 1, v11
	v_add_nc_u32_e32 v15, 1, v10
	s_waitcnt lgkmcnt(0)
	v_cmp_lt_i64_e64 s1, v[12:13], v[8:9]
	s_delay_alu instid0(VALU_DEP_3) | instskip(NEXT) | instid1(VALU_DEP_3)
	v_cndmask_b32_e64 v23, v14, v11, s0
	v_cndmask_b32_e64 v20, v10, v15, s0
                                        ; implicit-def: $vgpr10_vgpr11
	s_delay_alu instid0(VALU_DEP_2) | instskip(NEXT) | instid1(VALU_DEP_2)
	v_cmp_ge_i32_e64 s2, v23, v22
	v_cmp_lt_i32_e64 s3, v20, v21
	s_delay_alu instid0(VALU_DEP_2)
	s_or_b32 s1, s2, s1
	s_delay_alu instid0(VALU_DEP_1) | instid1(SALU_CYCLE_1)
	s_and_b32 s1, s3, s1
	s_delay_alu instid0(SALU_CYCLE_1) | instskip(NEXT) | instid1(SALU_CYCLE_1)
	s_xor_b32 s2, s1, -1
	s_and_saveexec_b32 s3, s2
	s_delay_alu instid0(SALU_CYCLE_1)
	s_xor_b32 s2, exec_lo, s3
	s_cbranch_execz .LBB160_46
; %bb.45:
	v_lshl_add_u32 v10, v23, 3, v17
	ds_load_b64 v[10:11], v10 offset:8
.LBB160_46:
	s_or_saveexec_b32 s2, s2
	v_dual_mov_b32 v15, v13 :: v_dual_mov_b32 v14, v12
	s_xor_b32 exec_lo, exec_lo, s2
	s_cbranch_execz .LBB160_48
; %bb.47:
	s_waitcnt lgkmcnt(0)
	v_lshl_add_u32 v10, v20, 3, v17
	ds_load_b64 v[14:15], v10 offset:8
	v_dual_mov_b32 v11, v9 :: v_dual_mov_b32 v10, v8
.LBB160_48:
	s_or_b32 exec_lo, exec_lo, s2
	v_add_nc_u32_e32 v24, 1, v23
	v_dual_cndmask_b32 v2, v0, v2 :: v_dual_add_nc_u32 v25, 1, v20
	v_cndmask_b32_e64 v8, v8, v12, s1
	v_cndmask_b32_e64 v5, v5, v7, s0
	s_delay_alu instid0(VALU_DEP_4) | instskip(NEXT) | instid1(VALU_DEP_4)
	v_cndmask_b32_e64 v12, v24, v23, s1
	v_cndmask_b32_e64 v7, v20, v25, s1
	;; [unrolled: 1-line block ×3, first 2 shown]
	s_waitcnt lgkmcnt(0)
	v_cmp_lt_i64_e64 s0, v[14:15], v[10:11]
	v_cndmask_b32_e64 v9, v9, v13, s1
	v_cmp_ge_i32_e64 s1, v12, v22
	v_cmp_lt_i32_e64 s2, v7, v21
	v_cndmask_b32_e32 v3, v1, v3, vcc_lo
	v_sub_nc_u32_e64 v0, v18, 32 clamp
	v_min_i32_e32 v1, 32, v18
	s_or_b32 s0, s1, s0
	s_delay_alu instid0(SALU_CYCLE_1)
	s_and_b32 vcc_lo, s2, s0
	s_mov_b32 s0, exec_lo
	v_dual_cndmask_b32 v6, v10, v14 :: v_dual_cndmask_b32 v7, v11, v15
	; wave barrier
	ds_store_2addr_b64 v19, v[2:3], v[4:5] offset1:1
	ds_store_2addr_b64 v19, v[8:9], v[6:7] offset0:2 offset1:3
	; wave barrier
	v_cmpx_lt_u32_e64 v0, v1
	s_cbranch_execz .LBB160_52
; %bb.49:
	v_add_nc_u32_e32 v2, 0x100, v19
	s_mov_b32 s1, 0
	.p2align	6
.LBB160_50:                             ; =>This Inner Loop Header: Depth=1
	v_sub_nc_u32_e32 v3, v1, v0
	s_delay_alu instid0(VALU_DEP_1) | instskip(NEXT) | instid1(VALU_DEP_1)
	v_lshrrev_b32_e32 v4, 31, v3
	v_add_nc_u32_e32 v3, v3, v4
	s_delay_alu instid0(VALU_DEP_1) | instskip(NEXT) | instid1(VALU_DEP_1)
	v_ashrrev_i32_e32 v3, 1, v3
	v_add_nc_u32_e32 v7, v3, v0
	s_delay_alu instid0(VALU_DEP_1) | instskip(SKIP_1) | instid1(VALU_DEP_2)
	v_not_b32_e32 v3, v7
	v_lshl_add_u32 v4, v7, 3, v17
	v_lshl_add_u32 v5, v3, 3, v2
	ds_load_b64 v[3:4], v4
	ds_load_b64 v[5:6], v5
	s_waitcnt lgkmcnt(0)
	v_cmp_lt_i64_e32 vcc_lo, v[5:6], v[3:4]
	v_add_nc_u32_e32 v3, 1, v7
	s_delay_alu instid0(VALU_DEP_1) | instskip(NEXT) | instid1(VALU_DEP_1)
	v_dual_cndmask_b32 v1, v1, v7 :: v_dual_cndmask_b32 v0, v3, v0
	v_cmp_ge_i32_e32 vcc_lo, v0, v1
	s_or_b32 s1, vcc_lo, s1
	s_delay_alu instid0(SALU_CYCLE_1)
	s_and_not1_b32 exec_lo, exec_lo, s1
	s_cbranch_execnz .LBB160_50
; %bb.51:
	s_or_b32 exec_lo, exec_lo, s1
.LBB160_52:
	s_delay_alu instid0(SALU_CYCLE_1) | instskip(SKIP_3) | instid1(VALU_DEP_3)
	s_or_b32 exec_lo, exec_lo, s0
	v_sub_nc_u32_e32 v1, v18, v0
	v_lshl_add_u32 v8, v0, 3, v17
	v_cmp_lt_i32_e64 s0, 31, v0
                                        ; implicit-def: $vgpr6_vgpr7
	v_lshl_add_u32 v10, v1, 3, v17
	v_add_nc_u32_e32 v1, 32, v1
	ds_load_b64 v[2:3], v8
	ds_load_b64 v[4:5], v10 offset:256
	v_cmp_gt_i32_e64 s1, 64, v1
	s_waitcnt lgkmcnt(0)
	v_cmp_lt_i64_e32 vcc_lo, v[4:5], v[2:3]
	s_or_b32 s0, s0, vcc_lo
	s_delay_alu instid0(VALU_DEP_2) | instid1(SALU_CYCLE_1)
	s_and_b32 vcc_lo, s1, s0
	s_delay_alu instid0(SALU_CYCLE_1) | instskip(NEXT) | instid1(SALU_CYCLE_1)
	s_xor_b32 s0, vcc_lo, -1
	s_and_saveexec_b32 s1, s0
	s_delay_alu instid0(SALU_CYCLE_1)
	s_xor_b32 s0, exec_lo, s1
	s_cbranch_execz .LBB160_54
; %bb.53:
	ds_load_b64 v[6:7], v8 offset:8
                                        ; implicit-def: $vgpr10
.LBB160_54:
	s_or_saveexec_b32 s0, s0
	v_dual_mov_b32 v9, v5 :: v_dual_mov_b32 v8, v4
	s_xor_b32 exec_lo, exec_lo, s0
	s_cbranch_execz .LBB160_56
; %bb.55:
	ds_load_b64 v[8:9], v10 offset:264
	s_waitcnt lgkmcnt(1)
	v_dual_mov_b32 v7, v3 :: v_dual_mov_b32 v6, v2
.LBB160_56:
	s_or_b32 exec_lo, exec_lo, s0
	v_add_nc_u32_e32 v10, 1, v0
	v_add_nc_u32_e32 v11, 1, v1
	s_waitcnt lgkmcnt(0)
	v_cmp_lt_i64_e64 s0, v[8:9], v[6:7]
                                        ; implicit-def: $vgpr12_vgpr13
	s_delay_alu instid0(VALU_DEP_3) | instskip(NEXT) | instid1(VALU_DEP_3)
	v_cndmask_b32_e32 v14, v10, v0, vcc_lo
	v_cndmask_b32_e32 v0, v1, v11, vcc_lo
	s_delay_alu instid0(VALU_DEP_2) | instskip(NEXT) | instid1(VALU_DEP_2)
	v_cmp_lt_i32_e64 s1, 31, v14
	v_cmp_gt_i32_e64 s2, 64, v0
	s_delay_alu instid0(VALU_DEP_2)
	s_or_b32 s0, s1, s0
	s_delay_alu instid0(VALU_DEP_1) | instid1(SALU_CYCLE_1)
	s_and_b32 s0, s2, s0
	s_delay_alu instid0(SALU_CYCLE_1) | instskip(NEXT) | instid1(SALU_CYCLE_1)
	s_xor_b32 s1, s0, -1
	s_and_saveexec_b32 s2, s1
	s_delay_alu instid0(SALU_CYCLE_1)
	s_xor_b32 s1, exec_lo, s2
	s_cbranch_execz .LBB160_58
; %bb.57:
	v_lshl_add_u32 v1, v14, 3, v17
	ds_load_b64 v[12:13], v1 offset:8
.LBB160_58:
	s_or_saveexec_b32 s1, s1
	v_dual_mov_b32 v11, v9 :: v_dual_mov_b32 v10, v8
	s_xor_b32 exec_lo, exec_lo, s1
	s_cbranch_execz .LBB160_60
; %bb.59:
	v_lshl_add_u32 v1, v0, 3, v17
	s_waitcnt lgkmcnt(0)
	v_dual_mov_b32 v13, v7 :: v_dual_mov_b32 v12, v6
	ds_load_b64 v[10:11], v1 offset:8
.LBB160_60:
	s_or_b32 exec_lo, exec_lo, s1
	v_add_nc_u32_e32 v1, 1, v14
	v_add_nc_u32_e32 v15, 1, v0
	s_waitcnt lgkmcnt(0)
	v_cmp_ge_i64_e64 s1, v[10:11], v[12:13]
                                        ; implicit-def: $vgpr19
	s_delay_alu instid0(VALU_DEP_3) | instskip(NEXT) | instid1(VALU_DEP_3)
	v_cndmask_b32_e64 v20, v1, v14, s0
	v_cndmask_b32_e64 v18, v0, v15, s0
                                        ; implicit-def: $vgpr14_vgpr15
	s_delay_alu instid0(VALU_DEP_2) | instskip(NEXT) | instid1(VALU_DEP_2)
	v_cmp_gt_i32_e64 s2, 32, v20
	v_cmp_lt_i32_e64 s3, 63, v18
	s_delay_alu instid0(VALU_DEP_2)
	s_and_b32 s1, s2, s1
	s_delay_alu instid0(VALU_DEP_1) | instid1(SALU_CYCLE_1)
	s_or_b32 s1, s3, s1
	s_delay_alu instid0(SALU_CYCLE_1) | instskip(NEXT) | instid1(SALU_CYCLE_1)
	s_and_saveexec_b32 s2, s1
	s_xor_b32 s1, exec_lo, s2
	s_cbranch_execz .LBB160_62
; %bb.61:
	v_lshl_add_u32 v0, v20, 3, v17
	v_add_nc_u32_e32 v19, 1, v20
                                        ; implicit-def: $vgpr20
                                        ; implicit-def: $vgpr17
	ds_load_b64 v[14:15], v0 offset:8
.LBB160_62:
	s_or_saveexec_b32 s1, s1
	v_dual_mov_b32 v0, v12 :: v_dual_mov_b32 v1, v13
	s_xor_b32 exec_lo, exec_lo, s1
	s_cbranch_execz .LBB160_64
; %bb.63:
	v_lshl_add_u32 v0, v18, 3, v17
	s_waitcnt lgkmcnt(0)
	v_dual_mov_b32 v15, v13 :: v_dual_add_nc_u32 v18, 1, v18
	v_mov_b32_e32 v14, v12
	v_mov_b32_e32 v19, v20
	ds_load_b64 v[21:22], v0 offset:8
	v_dual_mov_b32 v0, v10 :: v_dual_mov_b32 v1, v11
	s_waitcnt lgkmcnt(0)
	v_dual_mov_b32 v10, v21 :: v_dual_mov_b32 v11, v22
.LBB160_64:
	s_or_b32 exec_lo, exec_lo, s1
	s_waitcnt lgkmcnt(0)
	s_delay_alu instid0(VALU_DEP_1)
	v_cmp_lt_i64_e64 s1, v[10:11], v[14:15]
	v_cmp_lt_i32_e64 s2, 31, v19
	v_cmp_gt_i32_e64 s3, 64, v18
	v_cndmask_b32_e64 v7, v7, v9, s0
	v_cndmask_b32_e64 v6, v6, v8, s0
	v_dual_cndmask_b32 v5, v3, v5 :: v_dual_cndmask_b32 v4, v2, v4
	s_or_b32 s0, s2, s1
	v_lshlrev_b32_e32 v8, 3, v16
	s_and_b32 vcc_lo, s3, s0
	s_add_u32 s0, s6, s8
	v_dual_cndmask_b32 v3, v15, v11 :: v_dual_cndmask_b32 v2, v14, v10
	s_addc_u32 s1, s7, s9
	s_clause 0x1
	global_store_b128 v8, v[4:7], s[0:1]
	global_store_b128 v8, v[0:3], s[0:1] offset:16
	s_nop 0
	s_sendmsg sendmsg(MSG_DEALLOC_VGPRS)
	s_endpgm
	.section	.rodata,"a",@progbits
	.p2align	6, 0x0
	.amdhsa_kernel _Z9sort_keysILj256ELj16ELj4ExN10test_utils4lessEEvPKT2_PS2_T3_
		.amdhsa_group_segment_fixed_size 8320
		.amdhsa_private_segment_fixed_size 0
		.amdhsa_kernarg_size 20
		.amdhsa_user_sgpr_count 15
		.amdhsa_user_sgpr_dispatch_ptr 0
		.amdhsa_user_sgpr_queue_ptr 0
		.amdhsa_user_sgpr_kernarg_segment_ptr 1
		.amdhsa_user_sgpr_dispatch_id 0
		.amdhsa_user_sgpr_private_segment_size 0
		.amdhsa_wavefront_size32 1
		.amdhsa_uses_dynamic_stack 0
		.amdhsa_enable_private_segment 0
		.amdhsa_system_sgpr_workgroup_id_x 1
		.amdhsa_system_sgpr_workgroup_id_y 0
		.amdhsa_system_sgpr_workgroup_id_z 0
		.amdhsa_system_sgpr_workgroup_info 0
		.amdhsa_system_vgpr_workitem_id 0
		.amdhsa_next_free_vgpr 32
		.amdhsa_next_free_sgpr 16
		.amdhsa_reserve_vcc 1
		.amdhsa_float_round_mode_32 0
		.amdhsa_float_round_mode_16_64 0
		.amdhsa_float_denorm_mode_32 3
		.amdhsa_float_denorm_mode_16_64 3
		.amdhsa_dx10_clamp 1
		.amdhsa_ieee_mode 1
		.amdhsa_fp16_overflow 0
		.amdhsa_workgroup_processor_mode 1
		.amdhsa_memory_ordered 1
		.amdhsa_forward_progress 0
		.amdhsa_shared_vgpr_count 0
		.amdhsa_exception_fp_ieee_invalid_op 0
		.amdhsa_exception_fp_denorm_src 0
		.amdhsa_exception_fp_ieee_div_zero 0
		.amdhsa_exception_fp_ieee_overflow 0
		.amdhsa_exception_fp_ieee_underflow 0
		.amdhsa_exception_fp_ieee_inexact 0
		.amdhsa_exception_int_div_zero 0
	.end_amdhsa_kernel
	.section	.text._Z9sort_keysILj256ELj16ELj4ExN10test_utils4lessEEvPKT2_PS2_T3_,"axG",@progbits,_Z9sort_keysILj256ELj16ELj4ExN10test_utils4lessEEvPKT2_PS2_T3_,comdat
.Lfunc_end160:
	.size	_Z9sort_keysILj256ELj16ELj4ExN10test_utils4lessEEvPKT2_PS2_T3_, .Lfunc_end160-_Z9sort_keysILj256ELj16ELj4ExN10test_utils4lessEEvPKT2_PS2_T3_
                                        ; -- End function
	.section	.AMDGPU.csdata,"",@progbits
; Kernel info:
; codeLenInByte = 3820
; NumSgprs: 18
; NumVgprs: 32
; ScratchSize: 0
; MemoryBound: 0
; FloatMode: 240
; IeeeMode: 1
; LDSByteSize: 8320 bytes/workgroup (compile time only)
; SGPRBlocks: 2
; VGPRBlocks: 3
; NumSGPRsForWavesPerEU: 18
; NumVGPRsForWavesPerEU: 32
; Occupancy: 16
; WaveLimiterHint : 0
; COMPUTE_PGM_RSRC2:SCRATCH_EN: 0
; COMPUTE_PGM_RSRC2:USER_SGPR: 15
; COMPUTE_PGM_RSRC2:TRAP_HANDLER: 0
; COMPUTE_PGM_RSRC2:TGID_X_EN: 1
; COMPUTE_PGM_RSRC2:TGID_Y_EN: 0
; COMPUTE_PGM_RSRC2:TGID_Z_EN: 0
; COMPUTE_PGM_RSRC2:TIDIG_COMP_CNT: 0
	.section	.text._Z10sort_pairsILj256ELj16ELj4ExN10test_utils4lessEEvPKT2_PS2_T3_,"axG",@progbits,_Z10sort_pairsILj256ELj16ELj4ExN10test_utils4lessEEvPKT2_PS2_T3_,comdat
	.protected	_Z10sort_pairsILj256ELj16ELj4ExN10test_utils4lessEEvPKT2_PS2_T3_ ; -- Begin function _Z10sort_pairsILj256ELj16ELj4ExN10test_utils4lessEEvPKT2_PS2_T3_
	.globl	_Z10sort_pairsILj256ELj16ELj4ExN10test_utils4lessEEvPKT2_PS2_T3_
	.p2align	8
	.type	_Z10sort_pairsILj256ELj16ELj4ExN10test_utils4lessEEvPKT2_PS2_T3_,@function
_Z10sort_pairsILj256ELj16ELj4ExN10test_utils4lessEEvPKT2_PS2_T3_: ; @_Z10sort_pairsILj256ELj16ELj4ExN10test_utils4lessEEvPKT2_PS2_T3_
; %bb.0:
	s_load_b128 s[4:7], s[0:1], 0x0
	s_mov_b32 s1, 0
	s_lshl_b32 s0, s15, 10
	v_lshlrev_b32_e32 v1, 5, v0
	s_lshl_b64 s[8:9], s[0:1], 3
	s_waitcnt lgkmcnt(0)
	s_add_u32 s0, s4, s8
	s_addc_u32 s1, s5, s9
	s_clause 0x1
	global_load_b128 v[17:20], v1, s[0:1] offset:16
	global_load_b128 v[1:4], v1, s[0:1]
	s_mov_b32 s1, exec_lo
	s_waitcnt vmcnt(1)
	v_add_co_u32 v5, vcc_lo, v19, 1
	v_add_co_ci_u32_e32 v6, vcc_lo, 0, v20, vcc_lo
	s_waitcnt vmcnt(0)
	v_cmp_lt_i64_e64 s0, v[3:4], v[1:2]
	v_add_co_u32 v23, vcc_lo, v17, 1
	s_delay_alu instid0(VALU_DEP_3)
	v_dual_mov_b32 v15, v19 :: v_dual_mov_b32 v22, v6
	v_mov_b32_e32 v13, v17
	v_add_co_ci_u32_e32 v24, vcc_lo, 0, v18, vcc_lo
	v_cndmask_b32_e64 v12, v4, v2, s0
	v_dual_mov_b32 v16, v20 :: v_dual_mov_b32 v21, v5
	v_mov_b32_e32 v14, v18
	v_cndmask_b32_e64 v11, v3, v1, s0
	v_cndmask_b32_e64 v10, v2, v4, s0
	;; [unrolled: 1-line block ×3, first 2 shown]
	v_cmpx_lt_i64_e64 v[19:20], v[17:18]
; %bb.1:
	v_dual_mov_b32 v7, v17 :: v_dual_mov_b32 v8, v18
	v_dual_mov_b32 v21, v23 :: v_dual_mov_b32 v22, v24
	;; [unrolled: 1-line block ×6, first 2 shown]
; %bb.2:
	s_or_b32 exec_lo, exec_lo, s1
	v_add_co_u32 v25, vcc_lo, v1, 1
	v_add_co_ci_u32_e32 v26, vcc_lo, 0, v2, vcc_lo
	v_add_co_u32 v27, vcc_lo, v3, 1
	v_add_co_ci_u32_e32 v28, vcc_lo, 0, v4, vcc_lo
	v_dual_mov_b32 v1, v9 :: v_dual_mov_b32 v2, v10
	s_delay_alu instid0(VALU_DEP_3) | instskip(NEXT) | instid1(VALU_DEP_3)
	v_cndmask_b32_e64 v19, v27, v25, s0
	v_cndmask_b32_e64 v20, v28, v26, s0
	v_dual_mov_b32 v3, v11 :: v_dual_mov_b32 v4, v12
	v_dual_mov_b32 v5, v13 :: v_dual_mov_b32 v6, v14
	;; [unrolled: 1-line block ×4, first 2 shown]
	s_mov_b32 s1, exec_lo
	v_cmpx_lt_i64_e64 v[17:18], v[11:12]
	s_xor_b32 s1, exec_lo, s1
; %bb.3:
	v_dual_mov_b32 v1, v9 :: v_dual_mov_b32 v2, v10
	v_dual_mov_b32 v3, v11 :: v_dual_mov_b32 v4, v12
	;; [unrolled: 1-line block ×10, first 2 shown]
; %bb.4:
	s_or_b32 exec_lo, exec_lo, s1
	s_delay_alu instid0(VALU_DEP_1)
	v_cmp_lt_i64_e32 vcc_lo, v[11:12], v[9:10]
	v_dual_mov_b32 v16, v6 :: v_dual_mov_b32 v15, v5
	s_mov_b32 s2, exec_lo
	v_dual_mov_b32 v9, v21 :: v_dual_mov_b32 v10, v22
	v_dual_cndmask_b32 v17, v3, v1 :: v_dual_cndmask_b32 v18, v4, v2
	v_dual_cndmask_b32 v12, v2, v12 :: v_dual_cndmask_b32 v11, v1, v11
	v_cmpx_lt_i64_e64 v[7:8], v[5:6]
; %bb.5:
	v_dual_mov_b32 v1, v5 :: v_dual_mov_b32 v2, v6
	v_dual_mov_b32 v9, v13 :: v_dual_mov_b32 v10, v14
	;; [unrolled: 1-line block ×6, first 2 shown]
; %bb.6:
	s_or_b32 exec_lo, exec_lo, s2
	v_cndmask_b32_e64 v31, v26, v28, s0
	v_cndmask_b32_e64 v30, v25, v27, s0
	v_dual_mov_b32 v22, v18 :: v_dual_mov_b32 v21, v17
	v_dual_mov_b32 v3, v13 :: v_dual_mov_b32 v4, v14
	s_delay_alu instid0(VALU_DEP_3)
	v_dual_cndmask_b32 v2, v20, v31 :: v_dual_cndmask_b32 v1, v19, v30
	s_mov_b32 s1, exec_lo
	v_cmpx_lt_i64_e64 v[5:6], v[17:18]
; %bb.7:
	v_dual_mov_b32 v22, v6 :: v_dual_mov_b32 v21, v5
	s_delay_alu instid0(VALU_DEP_3)
	v_dual_mov_b32 v4, v2 :: v_dual_mov_b32 v3, v1
	v_dual_mov_b32 v1, v13 :: v_dual_mov_b32 v2, v14
	;; [unrolled: 1-line block ×3, first 2 shown]
; %bb.8:
	s_or_b32 exec_lo, exec_lo, s1
	v_mbcnt_lo_u32_b32 v5, -1, 0
	v_lshlrev_b32_e32 v25, 2, v0
	v_lshrrev_b32_e32 v0, 4, v0
	s_mov_b32 s1, 0
	s_mov_b32 s2, exec_lo
	v_dual_mov_b32 v24, v8 :: v_dual_lshlrev_b32 v29, 2, v5
	; wave barrier
	v_mov_b32_e32 v23, v7
	s_delay_alu instid0(VALU_DEP_2) | instskip(SKIP_2) | instid1(VALU_DEP_3)
	v_and_b32_e32 v5, 56, v29
	v_and_b32_e32 v28, 60, v29
	;; [unrolled: 1-line block ×3, first 2 shown]
	v_or_b32_e32 v33, 4, v5
	v_add_nc_u32_e32 v32, 8, v5
	s_delay_alu instid0(VALU_DEP_4) | instskip(SKIP_1) | instid1(VALU_DEP_4)
	v_lshlrev_b32_e32 v13, 3, v28
	v_lshlrev_b32_e32 v27, 3, v5
	v_sub_nc_u32_e32 v18, v33, v5
	s_delay_alu instid0(VALU_DEP_4) | instskip(NEXT) | instid1(VALU_DEP_4)
	v_sub_nc_u32_e32 v6, v32, v33
	v_mad_u32_u24 v26, 0x208, v0, v13
	s_delay_alu instid0(VALU_DEP_4)
	v_mad_u32_u24 v7, 0x208, v0, v27
	ds_store_2addr_b64 v26, v[11:12], v[21:22] offset1:1
	ds_store_2addr_b64 v26, v[15:16], v[23:24] offset0:2 offset1:3
	v_sub_nc_u32_e32 v14, v17, v6
	v_cmp_ge_i32_e64 s0, v17, v6
	v_min_i32_e32 v13, v17, v18
	; wave barrier
	s_delay_alu instid0(VALU_DEP_2) | instskip(NEXT) | instid1(VALU_DEP_1)
	v_cndmask_b32_e64 v6, 0, v14, s0
	v_cmpx_lt_i32_e64 v6, v13
	s_cbranch_execz .LBB161_12
; %bb.9:
	v_lshlrev_b32_e32 v8, 3, v17
	s_delay_alu instid0(VALU_DEP_1)
	v_add3_u32 v8, v7, v8, 32
	.p2align	6
.LBB161_10:                             ; =>This Inner Loop Header: Depth=1
	v_sub_nc_u32_e32 v11, v13, v6
	s_delay_alu instid0(VALU_DEP_1) | instskip(NEXT) | instid1(VALU_DEP_1)
	v_lshrrev_b32_e32 v12, 31, v11
	v_add_nc_u32_e32 v11, v11, v12
	s_delay_alu instid0(VALU_DEP_1) | instskip(NEXT) | instid1(VALU_DEP_1)
	v_ashrrev_i32_e32 v11, 1, v11
	v_add_nc_u32_e32 v16, v11, v6
	s_delay_alu instid0(VALU_DEP_1) | instskip(SKIP_1) | instid1(VALU_DEP_2)
	v_not_b32_e32 v11, v16
	v_lshl_add_u32 v12, v16, 3, v7
	v_lshl_add_u32 v14, v11, 3, v8
	ds_load_b64 v[11:12], v12
	ds_load_b64 v[14:15], v14
	s_waitcnt lgkmcnt(0)
	v_cmp_lt_i64_e64 s0, v[14:15], v[11:12]
	v_add_nc_u32_e32 v11, 1, v16
	s_delay_alu instid0(VALU_DEP_2) | instskip(NEXT) | instid1(VALU_DEP_2)
	v_cndmask_b32_e64 v13, v13, v16, s0
	v_cndmask_b32_e64 v6, v11, v6, s0
	s_delay_alu instid0(VALU_DEP_1) | instskip(NEXT) | instid1(VALU_DEP_1)
	v_cmp_ge_i32_e64 s0, v6, v13
	s_or_b32 s1, s0, s1
	s_delay_alu instid0(SALU_CYCLE_1)
	s_and_not1_b32 exec_lo, exec_lo, s1
	s_cbranch_execnz .LBB161_10
; %bb.11:
	s_or_b32 exec_lo, exec_lo, s1
.LBB161_12:
	s_delay_alu instid0(SALU_CYCLE_1) | instskip(SKIP_4) | instid1(VALU_DEP_3)
	s_or_b32 exec_lo, exec_lo, s2
	v_mul_u32_u24_e32 v27, 0x208, v0
	v_add_nc_u32_e32 v0, v5, v17
	v_lshl_add_u32 v8, v6, 3, v7
	v_cmp_lt_i32_e64 s1, 3, v6
                                        ; implicit-def: $vgpr15_vgpr16
	v_sub_nc_u32_e32 v0, v0, v6
	s_delay_alu instid0(VALU_DEP_1) | instskip(SKIP_4) | instid1(VALU_DEP_1)
	v_lshl_add_u32 v7, v0, 3, v27
	v_add_nc_u32_e32 v0, v33, v17
	ds_load_b64 v[11:12], v8
	ds_load_b64 v[13:14], v7 offset:32
	v_sub_nc_u32_e32 v0, v0, v6
	v_cmp_gt_i32_e64 s2, v32, v0
	s_waitcnt lgkmcnt(0)
	v_cmp_lt_i64_e64 s0, v[13:14], v[11:12]
	s_delay_alu instid0(VALU_DEP_1)
	s_or_b32 s0, s1, s0
	s_delay_alu instid0(VALU_DEP_2) | instid1(SALU_CYCLE_1)
	s_and_b32 s0, s2, s0
	s_delay_alu instid0(SALU_CYCLE_1) | instskip(NEXT) | instid1(SALU_CYCLE_1)
	s_xor_b32 s1, s0, -1
	s_and_saveexec_b32 s2, s1
	s_delay_alu instid0(SALU_CYCLE_1)
	s_xor_b32 s1, exec_lo, s2
	s_cbranch_execz .LBB161_14
; %bb.13:
	ds_load_b64 v[15:16], v8 offset:8
                                        ; implicit-def: $vgpr7
.LBB161_14:
	s_or_saveexec_b32 s1, s1
	v_dual_mov_b32 v18, v14 :: v_dual_mov_b32 v17, v13
	s_xor_b32 exec_lo, exec_lo, s1
	s_cbranch_execz .LBB161_16
; %bb.15:
	ds_load_b64 v[17:18], v7 offset:40
	s_waitcnt lgkmcnt(1)
	v_dual_mov_b32 v16, v12 :: v_dual_mov_b32 v15, v11
.LBB161_16:
	s_or_b32 exec_lo, exec_lo, s1
	v_add_nc_u32_e32 v34, v6, v5
	v_add_nc_u32_e32 v6, 1, v0
	s_waitcnt lgkmcnt(0)
	v_cmp_lt_i64_e64 s1, v[17:18], v[15:16]
	s_delay_alu instid0(VALU_DEP_3) | instskip(NEXT) | instid1(VALU_DEP_3)
	v_add_nc_u32_e32 v5, 1, v34
	v_cndmask_b32_e64 v36, v0, v6, s0
	s_delay_alu instid0(VALU_DEP_2) | instskip(NEXT) | instid1(VALU_DEP_2)
	v_cndmask_b32_e64 v35, v5, v34, s0
	v_cmp_lt_i32_e64 s3, v36, v32
                                        ; implicit-def: $vgpr5_vgpr6
	s_delay_alu instid0(VALU_DEP_2) | instskip(NEXT) | instid1(VALU_DEP_1)
	v_cmp_ge_i32_e64 s2, v35, v33
	s_or_b32 s1, s2, s1
	s_delay_alu instid0(VALU_DEP_2) | instid1(SALU_CYCLE_1)
	s_and_b32 s1, s3, s1
	s_delay_alu instid0(SALU_CYCLE_1) | instskip(NEXT) | instid1(SALU_CYCLE_1)
	s_xor_b32 s2, s1, -1
	s_and_saveexec_b32 s3, s2
	s_delay_alu instid0(SALU_CYCLE_1)
	s_xor_b32 s2, exec_lo, s3
	s_cbranch_execz .LBB161_18
; %bb.17:
	v_lshl_add_u32 v5, v35, 3, v27
	ds_load_b64 v[5:6], v5 offset:8
.LBB161_18:
	s_or_saveexec_b32 s2, s2
	v_dual_mov_b32 v7, v17 :: v_dual_mov_b32 v8, v18
	s_xor_b32 exec_lo, exec_lo, s2
	s_cbranch_execz .LBB161_20
; %bb.19:
	s_waitcnt lgkmcnt(0)
	v_lshl_add_u32 v5, v36, 3, v27
	ds_load_b64 v[7:8], v5 offset:8
	v_dual_mov_b32 v5, v15 :: v_dual_mov_b32 v6, v16
.LBB161_20:
	s_or_b32 exec_lo, exec_lo, s2
	v_add_nc_u32_e32 v21, 1, v35
	v_add_nc_u32_e32 v22, 1, v36
	s_waitcnt lgkmcnt(0)
	v_cmp_lt_i64_e64 s2, v[7:8], v[5:6]
	s_delay_alu instid0(VALU_DEP_3) | instskip(NEXT) | instid1(VALU_DEP_3)
	v_cndmask_b32_e64 v38, v21, v35, s1
	v_cndmask_b32_e64 v37, v36, v22, s1
                                        ; implicit-def: $vgpr21_vgpr22
	s_delay_alu instid0(VALU_DEP_2) | instskip(NEXT) | instid1(VALU_DEP_2)
	v_cmp_ge_i32_e64 s3, v38, v33
	v_cmp_lt_i32_e64 s4, v37, v32
	s_delay_alu instid0(VALU_DEP_2)
	s_or_b32 s2, s3, s2
	s_delay_alu instid0(VALU_DEP_1) | instid1(SALU_CYCLE_1)
	s_and_b32 s2, s4, s2
	s_delay_alu instid0(SALU_CYCLE_1) | instskip(NEXT) | instid1(SALU_CYCLE_1)
	s_xor_b32 s3, s2, -1
	s_and_saveexec_b32 s4, s3
	s_delay_alu instid0(SALU_CYCLE_1)
	s_xor_b32 s3, exec_lo, s4
	s_cbranch_execz .LBB161_22
; %bb.21:
	v_lshl_add_u32 v21, v38, 3, v27
	ds_load_b64 v[21:22], v21 offset:8
.LBB161_22:
	s_or_saveexec_b32 s3, s3
	v_dual_mov_b32 v24, v8 :: v_dual_mov_b32 v23, v7
	s_xor_b32 exec_lo, exec_lo, s3
	s_cbranch_execz .LBB161_24
; %bb.23:
	s_waitcnt lgkmcnt(0)
	v_lshl_add_u32 v21, v37, 3, v27
	ds_load_b64 v[23:24], v21 offset:8
	v_dual_mov_b32 v22, v6 :: v_dual_mov_b32 v21, v5
.LBB161_24:
	s_or_b32 exec_lo, exec_lo, s3
	v_add_nc_u32_e32 v41, 1, v38
	v_cndmask_b32_e64 v40, v6, v8, s2
	v_add_nc_u32_e32 v6, 1, v37
	v_cndmask_b32_e64 v39, v5, v7, s2
	v_cndmask_b32_e32 v5, v30, v19, vcc_lo
	v_cndmask_b32_e64 v35, v35, v36, s1
	v_cndmask_b32_e64 v7, v38, v37, s2
	;; [unrolled: 1-line block ×3, first 2 shown]
	v_cndmask_b32_e32 v6, v31, v20, vcc_lo
	v_cndmask_b32_e64 v8, v41, v38, s2
	s_waitcnt lgkmcnt(0)
	v_cmp_lt_i64_e64 s2, v[23:24], v[21:22]
	v_cndmask_b32_e64 v0, v34, v0, s0
	v_cmp_lt_i32_e64 s4, v36, v32
	v_cmp_ge_i32_e64 s3, v8, v33
	; wave barrier
	s_delay_alu instid0(VALU_DEP_3)
	v_lshl_add_u32 v0, v0, 3, v27
	ds_store_2addr_b64 v26, v[5:6], v[1:2] offset1:1
	ds_store_2addr_b64 v26, v[3:4], v[9:10] offset0:2 offset1:3
	v_lshl_add_u32 v2, v35, 3, v27
	s_or_b32 s2, s3, s2
	v_and_b32_e32 v19, 48, v29
	s_and_b32 vcc_lo, s4, s2
	v_lshl_add_u32 v3, v7, 3, v27
	v_dual_cndmask_b32 v8, v8, v36 :: v_dual_cndmask_b32 v21, v21, v23
	v_cndmask_b32_e32 v22, v22, v24, vcc_lo
	; wave barrier
	s_delay_alu instid0(VALU_DEP_2)
	v_lshl_add_u32 v6, v8, 3, v27
	ds_load_b64 v[0:1], v0
	ds_load_b64 v[4:5], v2
	;; [unrolled: 1-line block ×4, first 2 shown]
	v_or_b32_e32 v30, 8, v19
	v_add_nc_u32_e32 v24, 16, v19
	v_and_b32_e32 v20, 12, v29
	v_cndmask_b32_e64 v12, v12, v14, s0
	v_cndmask_b32_e64 v11, v11, v13, s0
	v_sub_nc_u32_e32 v10, v30, v19
	v_sub_nc_u32_e32 v8, v24, v30
	v_cndmask_b32_e64 v18, v16, v18, s1
	v_cndmask_b32_e64 v17, v15, v17, s1
	s_mov_b32 s1, 0
	s_delay_alu instid0(VALU_DEP_3)
	v_sub_nc_u32_e32 v9, v20, v8
	v_cmp_ge_i32_e64 s0, v20, v8
	v_lshl_add_u32 v8, v19, 3, v27
	; wave barrier
	ds_store_2addr_b64 v26, v[11:12], v[17:18] offset1:1
	ds_store_2addr_b64 v26, v[39:40], v[21:22] offset0:2 offset1:3
	v_cndmask_b32_e64 v16, 0, v9, s0
	v_min_i32_e32 v9, v20, v10
	s_mov_b32 s0, exec_lo
	; wave barrier
	s_delay_alu instid0(VALU_DEP_1)
	v_cmpx_lt_i32_e64 v16, v9
	s_cbranch_execz .LBB161_28
; %bb.25:
	v_lshlrev_b32_e32 v10, 3, v20
	s_delay_alu instid0(VALU_DEP_1)
	v_add3_u32 v10, v8, v10, 64
	.p2align	6
.LBB161_26:                             ; =>This Inner Loop Header: Depth=1
	v_sub_nc_u32_e32 v11, v9, v16
	s_delay_alu instid0(VALU_DEP_1) | instskip(NEXT) | instid1(VALU_DEP_1)
	v_lshrrev_b32_e32 v12, 31, v11
	v_add_nc_u32_e32 v11, v11, v12
	s_delay_alu instid0(VALU_DEP_1) | instskip(NEXT) | instid1(VALU_DEP_1)
	v_ashrrev_i32_e32 v11, 1, v11
	v_add_nc_u32_e32 v15, v11, v16
	s_delay_alu instid0(VALU_DEP_1) | instskip(SKIP_1) | instid1(VALU_DEP_2)
	v_not_b32_e32 v11, v15
	v_lshl_add_u32 v12, v15, 3, v8
	v_lshl_add_u32 v13, v11, 3, v10
	ds_load_b64 v[11:12], v12
	ds_load_b64 v[13:14], v13
	s_waitcnt lgkmcnt(0)
	v_cmp_lt_i64_e32 vcc_lo, v[13:14], v[11:12]
	v_add_nc_u32_e32 v11, 1, v15
	s_delay_alu instid0(VALU_DEP_1) | instskip(NEXT) | instid1(VALU_DEP_1)
	v_dual_cndmask_b32 v9, v9, v15 :: v_dual_cndmask_b32 v16, v11, v16
	v_cmp_ge_i32_e32 vcc_lo, v16, v9
	s_or_b32 s1, vcc_lo, s1
	s_delay_alu instid0(SALU_CYCLE_1)
	s_and_not1_b32 exec_lo, exec_lo, s1
	s_cbranch_execnz .LBB161_26
; %bb.27:
	s_or_b32 exec_lo, exec_lo, s1
.LBB161_28:
	s_delay_alu instid0(SALU_CYCLE_1) | instskip(SKIP_4) | instid1(VALU_DEP_4)
	s_or_b32 exec_lo, exec_lo, s0
	v_add_nc_u32_e32 v9, v19, v20
	v_lshl_add_u32 v14, v16, 3, v8
	v_add_nc_u32_e32 v12, v30, v20
	v_cmp_lt_i32_e64 s0, 7, v16
	v_sub_nc_u32_e32 v9, v9, v16
	s_delay_alu instid0(VALU_DEP_3) | instskip(NEXT) | instid1(VALU_DEP_2)
	v_sub_nc_u32_e32 v31, v12, v16
                                        ; implicit-def: $vgpr12_vgpr13
	v_lshl_add_u32 v17, v9, 3, v27
	ds_load_b64 v[8:9], v14
	ds_load_b64 v[10:11], v17 offset:64
	v_cmp_gt_i32_e64 s1, v24, v31
	s_waitcnt lgkmcnt(0)
	v_cmp_lt_i64_e32 vcc_lo, v[10:11], v[8:9]
	s_or_b32 s0, s0, vcc_lo
	s_delay_alu instid0(VALU_DEP_2) | instid1(SALU_CYCLE_1)
	s_and_b32 vcc_lo, s1, s0
	s_delay_alu instid0(SALU_CYCLE_1) | instskip(NEXT) | instid1(SALU_CYCLE_1)
	s_xor_b32 s0, vcc_lo, -1
	s_and_saveexec_b32 s1, s0
	s_delay_alu instid0(SALU_CYCLE_1)
	s_xor_b32 s0, exec_lo, s1
	s_cbranch_execz .LBB161_30
; %bb.29:
	ds_load_b64 v[12:13], v14 offset:8
                                        ; implicit-def: $vgpr17
.LBB161_30:
	s_or_saveexec_b32 s0, s0
	v_dual_mov_b32 v15, v11 :: v_dual_mov_b32 v14, v10
	s_xor_b32 exec_lo, exec_lo, s0
	s_cbranch_execz .LBB161_32
; %bb.31:
	ds_load_b64 v[14:15], v17 offset:72
	s_waitcnt lgkmcnt(1)
	v_dual_mov_b32 v13, v9 :: v_dual_mov_b32 v12, v8
.LBB161_32:
	s_or_b32 exec_lo, exec_lo, s0
	v_add_nc_u32_e32 v32, v16, v19
	v_add_nc_u32_e32 v17, 1, v31
	s_waitcnt lgkmcnt(0)
	v_cmp_lt_i64_e64 s0, v[14:15], v[12:13]
                                        ; implicit-def: $vgpr20_vgpr21
	s_delay_alu instid0(VALU_DEP_3) | instskip(NEXT) | instid1(VALU_DEP_1)
	v_add_nc_u32_e32 v16, 1, v32
	v_dual_cndmask_b32 v34, v31, v17 :: v_dual_cndmask_b32 v33, v16, v32
	s_delay_alu instid0(VALU_DEP_1) | instskip(NEXT) | instid1(VALU_DEP_2)
	v_cmp_lt_i32_e64 s2, v34, v24
	v_cmp_ge_i32_e64 s1, v33, v30
	s_delay_alu instid0(VALU_DEP_1)
	s_or_b32 s0, s1, s0
	s_delay_alu instid0(VALU_DEP_2) | instid1(SALU_CYCLE_1)
	s_and_b32 s0, s2, s0
	s_delay_alu instid0(SALU_CYCLE_1) | instskip(NEXT) | instid1(SALU_CYCLE_1)
	s_xor_b32 s1, s0, -1
	s_and_saveexec_b32 s2, s1
	s_delay_alu instid0(SALU_CYCLE_1)
	s_xor_b32 s1, exec_lo, s2
	s_cbranch_execz .LBB161_34
; %bb.33:
	v_lshl_add_u32 v16, v33, 3, v27
	ds_load_b64 v[20:21], v16 offset:8
.LBB161_34:
	s_or_saveexec_b32 s1, s1
	v_dual_mov_b32 v23, v15 :: v_dual_mov_b32 v22, v14
	s_xor_b32 exec_lo, exec_lo, s1
	s_cbranch_execz .LBB161_36
; %bb.35:
	v_lshl_add_u32 v16, v34, 3, v27
	s_waitcnt lgkmcnt(0)
	v_dual_mov_b32 v21, v13 :: v_dual_mov_b32 v20, v12
	ds_load_b64 v[22:23], v16 offset:8
.LBB161_36:
	s_or_b32 exec_lo, exec_lo, s1
	v_add_nc_u32_e32 v16, 1, v33
	v_add_nc_u32_e32 v17, 1, v34
	s_waitcnt lgkmcnt(0)
	v_cmp_lt_i64_e64 s1, v[22:23], v[20:21]
	s_delay_alu instid0(VALU_DEP_3) | instskip(NEXT) | instid1(VALU_DEP_3)
	v_cndmask_b32_e64 v36, v16, v33, s0
	v_cndmask_b32_e64 v35, v34, v17, s0
                                        ; implicit-def: $vgpr16_vgpr17
	s_delay_alu instid0(VALU_DEP_2) | instskip(NEXT) | instid1(VALU_DEP_2)
	v_cmp_ge_i32_e64 s2, v36, v30
	v_cmp_lt_i32_e64 s3, v35, v24
	s_delay_alu instid0(VALU_DEP_2)
	s_or_b32 s1, s2, s1
	s_delay_alu instid0(VALU_DEP_1) | instid1(SALU_CYCLE_1)
	s_and_b32 s1, s3, s1
	s_delay_alu instid0(SALU_CYCLE_1) | instskip(NEXT) | instid1(SALU_CYCLE_1)
	s_xor_b32 s2, s1, -1
	s_and_saveexec_b32 s3, s2
	s_delay_alu instid0(SALU_CYCLE_1)
	s_xor_b32 s2, exec_lo, s3
	s_cbranch_execz .LBB161_38
; %bb.37:
	v_lshl_add_u32 v16, v36, 3, v27
	ds_load_b64 v[16:17], v16 offset:8
.LBB161_38:
	s_or_saveexec_b32 s2, s2
	v_dual_mov_b32 v18, v22 :: v_dual_mov_b32 v19, v23
	s_xor_b32 exec_lo, exec_lo, s2
	s_cbranch_execz .LBB161_40
; %bb.39:
	s_waitcnt lgkmcnt(0)
	v_lshl_add_u32 v16, v35, 3, v27
	ds_load_b64 v[18:19], v16 offset:8
	v_dual_mov_b32 v16, v20 :: v_dual_mov_b32 v17, v21
.LBB161_40:
	s_or_b32 exec_lo, exec_lo, s2
	v_add_nc_u32_e32 v37, 1, v36
	v_add_nc_u32_e32 v38, 1, v35
	v_cndmask_b32_e64 v23, v21, v23, s1
	v_cndmask_b32_e64 v22, v20, v22, s1
	;; [unrolled: 1-line block ×6, first 2 shown]
	s_waitcnt lgkmcnt(0)
	v_cmp_lt_i64_e64 s1, v[18:19], v[16:17]
	v_cmp_ge_i32_e64 s2, v21, v30
	v_cndmask_b32_e32 v30, v32, v31, vcc_lo
	v_cmp_lt_i32_e64 s3, v35, v24
	; wave barrier
	ds_store_2addr_b64 v26, v[0:1], v[4:5] offset1:1
	ds_store_2addr_b64 v26, v[2:3], v[6:7] offset0:2 offset1:3
	s_or_b32 s1, s2, s1
	v_lshl_add_u32 v0, v30, 3, v27
	s_and_b32 s1, s3, s1
	v_lshl_add_u32 v1, v33, 3, v27
	v_cndmask_b32_e64 v32, v17, v19, s1
	v_cndmask_b32_e64 v17, v21, v35, s1
	v_dual_cndmask_b32 v11, v9, v11 :: v_dual_and_b32 v20, 32, v29
	v_lshl_add_u32 v2, v36, 3, v27
	s_delay_alu instid0(VALU_DEP_3)
	v_lshl_add_u32 v3, v17, 3, v27
	; wave barrier
	ds_load_b64 v[4:5], v0
	ds_load_b64 v[6:7], v1
	;; [unrolled: 1-line block ×4, first 2 shown]
	v_or_b32_e32 v30, 16, v20
	v_add_nc_u32_e32 v24, 32, v20
	v_dual_cndmask_b32 v10, v8, v10 :: v_dual_and_b32 v19, 28, v29
	v_cndmask_b32_e64 v13, v13, v15, s0
	v_cndmask_b32_e64 v12, v12, v14, s0
	s_delay_alu instid0(VALU_DEP_4)
	v_sub_nc_u32_e32 v17, v24, v30
	v_sub_nc_u32_e32 v15, v30, v20
	v_lshl_add_u32 v8, v20, 3, v27
	v_cndmask_b32_e64 v31, v16, v18, s1
	s_mov_b32 s1, 0
	v_sub_nc_u32_e32 v14, v19, v17
	v_cmp_ge_i32_e32 vcc_lo, v19, v17
	v_min_i32_e32 v9, v19, v15
	s_mov_b32 s0, exec_lo
	; wave barrier
	s_delay_alu instid0(VALU_DEP_3)
	v_cndmask_b32_e32 v17, 0, v14, vcc_lo
	ds_store_2addr_b64 v26, v[10:11], v[12:13] offset1:1
	ds_store_2addr_b64 v26, v[22:23], v[31:32] offset0:2 offset1:3
	; wave barrier
	v_cmpx_lt_i32_e64 v17, v9
	s_cbranch_execz .LBB161_44
; %bb.41:
	v_lshlrev_b32_e32 v10, 3, v19
	s_delay_alu instid0(VALU_DEP_1)
	v_add3_u32 v10, v8, v10, 0x80
	.p2align	6
.LBB161_42:                             ; =>This Inner Loop Header: Depth=1
	v_sub_nc_u32_e32 v11, v9, v17
	s_delay_alu instid0(VALU_DEP_1) | instskip(NEXT) | instid1(VALU_DEP_1)
	v_lshrrev_b32_e32 v12, 31, v11
	v_add_nc_u32_e32 v11, v11, v12
	s_delay_alu instid0(VALU_DEP_1) | instskip(NEXT) | instid1(VALU_DEP_1)
	v_ashrrev_i32_e32 v11, 1, v11
	v_add_nc_u32_e32 v15, v11, v17
	s_delay_alu instid0(VALU_DEP_1) | instskip(SKIP_1) | instid1(VALU_DEP_2)
	v_not_b32_e32 v11, v15
	v_lshl_add_u32 v12, v15, 3, v8
	v_lshl_add_u32 v13, v11, 3, v10
	ds_load_b64 v[11:12], v12
	ds_load_b64 v[13:14], v13
	s_waitcnt lgkmcnt(0)
	v_cmp_lt_i64_e32 vcc_lo, v[13:14], v[11:12]
	v_add_nc_u32_e32 v11, 1, v15
	v_cndmask_b32_e32 v9, v9, v15, vcc_lo
	s_delay_alu instid0(VALU_DEP_2) | instskip(NEXT) | instid1(VALU_DEP_1)
	v_cndmask_b32_e32 v17, v11, v17, vcc_lo
	v_cmp_ge_i32_e32 vcc_lo, v17, v9
	s_or_b32 s1, vcc_lo, s1
	s_delay_alu instid0(SALU_CYCLE_1)
	s_and_not1_b32 exec_lo, exec_lo, s1
	s_cbranch_execnz .LBB161_42
; %bb.43:
	s_or_b32 exec_lo, exec_lo, s1
.LBB161_44:
	s_delay_alu instid0(SALU_CYCLE_1) | instskip(SKIP_4) | instid1(VALU_DEP_4)
	s_or_b32 exec_lo, exec_lo, s0
	v_add_nc_u32_e32 v9, v20, v19
	v_lshl_add_u32 v14, v17, 3, v8
	v_add_nc_u32_e32 v12, v30, v19
	v_cmp_lt_i32_e64 s0, 15, v17
	v_sub_nc_u32_e32 v9, v9, v17
	s_delay_alu instid0(VALU_DEP_3) | instskip(NEXT) | instid1(VALU_DEP_2)
	v_sub_nc_u32_e32 v29, v12, v17
                                        ; implicit-def: $vgpr12_vgpr13
	v_lshl_add_u32 v16, v9, 3, v27
	ds_load_b64 v[8:9], v14
	ds_load_b64 v[10:11], v16 offset:128
	v_cmp_gt_i32_e64 s1, v24, v29
	s_waitcnt lgkmcnt(0)
	v_cmp_lt_i64_e32 vcc_lo, v[10:11], v[8:9]
	s_or_b32 s0, s0, vcc_lo
	s_delay_alu instid0(VALU_DEP_2) | instid1(SALU_CYCLE_1)
	s_and_b32 vcc_lo, s1, s0
	s_delay_alu instid0(SALU_CYCLE_1) | instskip(NEXT) | instid1(SALU_CYCLE_1)
	s_xor_b32 s0, vcc_lo, -1
	s_and_saveexec_b32 s1, s0
	s_delay_alu instid0(SALU_CYCLE_1)
	s_xor_b32 s0, exec_lo, s1
	s_cbranch_execz .LBB161_46
; %bb.45:
	ds_load_b64 v[12:13], v14 offset:8
                                        ; implicit-def: $vgpr16
.LBB161_46:
	s_or_saveexec_b32 s0, s0
	v_dual_mov_b32 v15, v11 :: v_dual_mov_b32 v14, v10
	s_xor_b32 exec_lo, exec_lo, s0
	s_cbranch_execz .LBB161_48
; %bb.47:
	ds_load_b64 v[14:15], v16 offset:136
	s_waitcnt lgkmcnt(1)
	v_dual_mov_b32 v13, v9 :: v_dual_mov_b32 v12, v8
.LBB161_48:
	s_or_b32 exec_lo, exec_lo, s0
	v_add_nc_u32_e32 v31, v17, v20
	v_add_nc_u32_e32 v17, 1, v29
	s_waitcnt lgkmcnt(0)
	v_cmp_lt_i64_e64 s0, v[14:15], v[12:13]
	s_delay_alu instid0(VALU_DEP_2) | instskip(NEXT) | instid1(VALU_DEP_1)
	v_dual_cndmask_b32 v33, v29, v17 :: v_dual_add_nc_u32 v16, 1, v31
	v_cndmask_b32_e32 v32, v16, v31, vcc_lo
	s_delay_alu instid0(VALU_DEP_2) | instskip(NEXT) | instid1(VALU_DEP_2)
	v_cmp_lt_i32_e64 s2, v33, v24
                                        ; implicit-def: $vgpr16_vgpr17
	v_cmp_ge_i32_e64 s1, v32, v30
	s_delay_alu instid0(VALU_DEP_1)
	s_or_b32 s0, s1, s0
	s_delay_alu instid0(VALU_DEP_2) | instid1(SALU_CYCLE_1)
	s_and_b32 s0, s2, s0
	s_delay_alu instid0(SALU_CYCLE_1) | instskip(NEXT) | instid1(SALU_CYCLE_1)
	s_xor_b32 s1, s0, -1
	s_and_saveexec_b32 s2, s1
	s_delay_alu instid0(SALU_CYCLE_1)
	s_xor_b32 s1, exec_lo, s2
	s_cbranch_execz .LBB161_50
; %bb.49:
	v_lshl_add_u32 v16, v32, 3, v27
	ds_load_b64 v[16:17], v16 offset:8
.LBB161_50:
	s_or_saveexec_b32 s1, s1
	v_dual_mov_b32 v19, v15 :: v_dual_mov_b32 v18, v14
	s_xor_b32 exec_lo, exec_lo, s1
	s_cbranch_execz .LBB161_52
; %bb.51:
	s_waitcnt lgkmcnt(0)
	v_lshl_add_u32 v16, v33, 3, v27
	ds_load_b64 v[18:19], v16 offset:8
	v_dual_mov_b32 v17, v13 :: v_dual_mov_b32 v16, v12
.LBB161_52:
	s_or_b32 exec_lo, exec_lo, s1
	v_add_nc_u32_e32 v20, 1, v32
	v_add_nc_u32_e32 v21, 1, v33
	s_waitcnt lgkmcnt(0)
	v_cmp_lt_i64_e64 s1, v[18:19], v[16:17]
	s_delay_alu instid0(VALU_DEP_3) | instskip(NEXT) | instid1(VALU_DEP_3)
	v_cndmask_b32_e64 v34, v20, v32, s0
	v_cndmask_b32_e64 v35, v33, v21, s0
                                        ; implicit-def: $vgpr20_vgpr21
	s_delay_alu instid0(VALU_DEP_2) | instskip(NEXT) | instid1(VALU_DEP_2)
	v_cmp_ge_i32_e64 s2, v34, v30
	v_cmp_lt_i32_e64 s3, v35, v24
	s_delay_alu instid0(VALU_DEP_2)
	s_or_b32 s1, s2, s1
	s_delay_alu instid0(VALU_DEP_1) | instid1(SALU_CYCLE_1)
	s_and_b32 s1, s3, s1
	s_delay_alu instid0(SALU_CYCLE_1) | instskip(NEXT) | instid1(SALU_CYCLE_1)
	s_xor_b32 s2, s1, -1
	s_and_saveexec_b32 s3, s2
	s_delay_alu instid0(SALU_CYCLE_1)
	s_xor_b32 s2, exec_lo, s3
	s_cbranch_execz .LBB161_54
; %bb.53:
	v_lshl_add_u32 v20, v34, 3, v27
	ds_load_b64 v[20:21], v20 offset:8
.LBB161_54:
	s_or_saveexec_b32 s2, s2
	v_dual_mov_b32 v23, v19 :: v_dual_mov_b32 v22, v18
	s_xor_b32 exec_lo, exec_lo, s2
	s_cbranch_execz .LBB161_56
; %bb.55:
	s_waitcnt lgkmcnt(0)
	v_lshl_add_u32 v20, v35, 3, v27
	ds_load_b64 v[22:23], v20 offset:8
	v_dual_mov_b32 v21, v17 :: v_dual_mov_b32 v20, v16
.LBB161_56:
	s_or_b32 exec_lo, exec_lo, s2
	v_dual_cndmask_b32 v11, v9, v11 :: v_dual_add_nc_u32 v36, 1, v34
	v_add_nc_u32_e32 v37, 1, v35
	s_waitcnt lgkmcnt(0)
	v_cmp_lt_i64_e64 s2, v[22:23], v[20:21]
	s_delay_alu instid0(VALU_DEP_3)
	v_cndmask_b32_e64 v36, v36, v34, s1
	v_cndmask_b32_e64 v34, v34, v35, s1
	;; [unrolled: 1-line block ×3, first 2 shown]
	; wave barrier
	ds_store_2addr_b64 v26, v[4:5], v[6:7] offset1:1
	ds_store_2addr_b64 v26, v[0:1], v[2:3] offset0:2 offset1:3
	v_cmp_ge_i32_e64 s3, v36, v30
	v_cndmask_b32_e64 v30, v32, v33, s0
	v_cmp_lt_i32_e64 s4, v37, v24
	v_cndmask_b32_e32 v24, v31, v29, vcc_lo
	v_lshl_add_u32 v3, v34, 3, v27
	s_or_b32 s2, s3, s2
	v_lshl_add_u32 v2, v30, 3, v27
	s_and_b32 s2, s4, s2
	v_lshl_add_u32 v0, v24, 3, v27
	v_cndmask_b32_e64 v21, v21, v23, s2
	v_cndmask_b32_e64 v23, v36, v37, s2
	; wave barrier
	v_cndmask_b32_e64 v13, v13, v15, s0
	v_cndmask_b32_e64 v12, v12, v14, s0
	s_delay_alu instid0(VALU_DEP_3)
	v_lshl_add_u32 v6, v23, 3, v27
	ds_load_b64 v[0:1], v0
	ds_load_b64 v[4:5], v2
	;; [unrolled: 1-line block ×4, first 2 shown]
	v_sub_nc_u32_e64 v24, v28, 32 clamp
	v_min_i32_e32 v9, 32, v28
	v_cndmask_b32_e32 v10, v8, v10, vcc_lo
	v_cndmask_b32_e64 v17, v17, v19, s1
	v_cndmask_b32_e64 v16, v16, v18, s1
	;; [unrolled: 1-line block ×3, first 2 shown]
	s_mov_b32 s0, exec_lo
	; wave barrier
	ds_store_2addr_b64 v26, v[10:11], v[12:13] offset1:1
	ds_store_2addr_b64 v26, v[16:17], v[20:21] offset0:2 offset1:3
	; wave barrier
	v_cmpx_lt_u32_e64 v24, v9
	s_cbranch_execz .LBB161_60
; %bb.57:
	v_add_nc_u32_e32 v8, 0x100, v26
	s_mov_b32 s1, 0
	.p2align	6
.LBB161_58:                             ; =>This Inner Loop Header: Depth=1
	v_sub_nc_u32_e32 v10, v9, v24
	s_delay_alu instid0(VALU_DEP_1) | instskip(NEXT) | instid1(VALU_DEP_1)
	v_lshrrev_b32_e32 v11, 31, v10
	v_add_nc_u32_e32 v10, v10, v11
	s_delay_alu instid0(VALU_DEP_1) | instskip(NEXT) | instid1(VALU_DEP_1)
	v_ashrrev_i32_e32 v10, 1, v10
	v_add_nc_u32_e32 v14, v10, v24
	s_delay_alu instid0(VALU_DEP_1) | instskip(SKIP_1) | instid1(VALU_DEP_2)
	v_not_b32_e32 v10, v14
	v_lshl_add_u32 v11, v14, 3, v27
	v_lshl_add_u32 v12, v10, 3, v8
	ds_load_b64 v[10:11], v11
	ds_load_b64 v[12:13], v12
	s_waitcnt lgkmcnt(0)
	v_cmp_lt_i64_e32 vcc_lo, v[12:13], v[10:11]
	v_add_nc_u32_e32 v10, 1, v14
	s_delay_alu instid0(VALU_DEP_1) | instskip(NEXT) | instid1(VALU_DEP_1)
	v_dual_cndmask_b32 v9, v9, v14 :: v_dual_cndmask_b32 v24, v10, v24
	v_cmp_ge_i32_e32 vcc_lo, v24, v9
	s_or_b32 s1, vcc_lo, s1
	s_delay_alu instid0(SALU_CYCLE_1)
	s_and_not1_b32 exec_lo, exec_lo, s1
	s_cbranch_execnz .LBB161_58
; %bb.59:
	s_or_b32 exec_lo, exec_lo, s1
.LBB161_60:
	s_delay_alu instid0(SALU_CYCLE_1) | instskip(SKIP_3) | instid1(VALU_DEP_3)
	s_or_b32 exec_lo, exec_lo, s0
	v_sub_nc_u32_e32 v12, v28, v24
	v_lshl_add_u32 v14, v24, 3, v27
	v_cmp_lt_i32_e64 s0, 31, v24
	v_lshl_add_u32 v16, v12, 3, v27
	v_add_nc_u32_e32 v28, 32, v12
                                        ; implicit-def: $vgpr12_vgpr13
	ds_load_b64 v[8:9], v14
	ds_load_b64 v[10:11], v16 offset:256
	v_cmp_gt_i32_e64 s1, 64, v28
	s_waitcnt lgkmcnt(0)
	v_cmp_lt_i64_e32 vcc_lo, v[10:11], v[8:9]
	s_or_b32 s0, s0, vcc_lo
	s_delay_alu instid0(VALU_DEP_2) | instid1(SALU_CYCLE_1)
	s_and_b32 vcc_lo, s1, s0
	s_delay_alu instid0(SALU_CYCLE_1) | instskip(NEXT) | instid1(SALU_CYCLE_1)
	s_xor_b32 s0, vcc_lo, -1
	s_and_saveexec_b32 s1, s0
	s_delay_alu instid0(SALU_CYCLE_1)
	s_xor_b32 s0, exec_lo, s1
	s_cbranch_execz .LBB161_62
; %bb.61:
	ds_load_b64 v[12:13], v14 offset:8
                                        ; implicit-def: $vgpr16
.LBB161_62:
	s_or_saveexec_b32 s0, s0
	v_dual_mov_b32 v15, v11 :: v_dual_mov_b32 v14, v10
	s_xor_b32 exec_lo, exec_lo, s0
	s_cbranch_execz .LBB161_64
; %bb.63:
	ds_load_b64 v[14:15], v16 offset:264
	s_waitcnt lgkmcnt(1)
	v_dual_mov_b32 v13, v9 :: v_dual_mov_b32 v12, v8
.LBB161_64:
	s_or_b32 exec_lo, exec_lo, s0
	v_add_nc_u32_e32 v16, 1, v24
	v_add_nc_u32_e32 v17, 1, v28
	s_waitcnt lgkmcnt(0)
	v_cmp_lt_i64_e64 s0, v[14:15], v[12:13]
                                        ; implicit-def: $vgpr22_vgpr23
	s_delay_alu instid0(VALU_DEP_3) | instskip(NEXT) | instid1(VALU_DEP_3)
	v_cndmask_b32_e32 v29, v16, v24, vcc_lo
	v_cndmask_b32_e32 v30, v28, v17, vcc_lo
	s_delay_alu instid0(VALU_DEP_2) | instskip(NEXT) | instid1(VALU_DEP_2)
	v_cmp_lt_i32_e64 s1, 31, v29
	v_cmp_gt_i32_e64 s2, 64, v30
	s_delay_alu instid0(VALU_DEP_2)
	s_or_b32 s0, s1, s0
	s_delay_alu instid0(VALU_DEP_1) | instid1(SALU_CYCLE_1)
	s_and_b32 s0, s2, s0
	s_delay_alu instid0(SALU_CYCLE_1) | instskip(NEXT) | instid1(SALU_CYCLE_1)
	s_xor_b32 s1, s0, -1
	s_and_saveexec_b32 s2, s1
	s_delay_alu instid0(SALU_CYCLE_1)
	s_xor_b32 s1, exec_lo, s2
	s_cbranch_execz .LBB161_66
; %bb.65:
	v_lshl_add_u32 v16, v29, 3, v27
	ds_load_b64 v[22:23], v16 offset:8
.LBB161_66:
	s_or_saveexec_b32 s1, s1
	v_dual_mov_b32 v17, v15 :: v_dual_mov_b32 v16, v14
	s_xor_b32 exec_lo, exec_lo, s1
	s_cbranch_execz .LBB161_68
; %bb.67:
	v_lshl_add_u32 v16, v30, 3, v27
	s_waitcnt lgkmcnt(0)
	v_dual_mov_b32 v23, v13 :: v_dual_mov_b32 v22, v12
	ds_load_b64 v[16:17], v16 offset:8
.LBB161_68:
	s_or_b32 exec_lo, exec_lo, s1
	v_add_nc_u32_e32 v18, 1, v29
	v_add_nc_u32_e32 v19, 1, v30
	s_waitcnt lgkmcnt(0)
	v_cmp_ge_i64_e64 s1, v[16:17], v[22:23]
                                        ; implicit-def: $vgpr32
	s_delay_alu instid0(VALU_DEP_3) | instskip(NEXT) | instid1(VALU_DEP_3)
	v_cndmask_b32_e64 v34, v18, v29, s0
	v_cndmask_b32_e64 v31, v30, v19, s0
                                        ; implicit-def: $vgpr18_vgpr19
	s_delay_alu instid0(VALU_DEP_2) | instskip(NEXT) | instid1(VALU_DEP_2)
	v_cmp_gt_i32_e64 s2, 32, v34
	v_cmp_lt_i32_e64 s3, 63, v31
	s_delay_alu instid0(VALU_DEP_2)
	s_and_b32 s1, s2, s1
	s_delay_alu instid0(VALU_DEP_1) | instid1(SALU_CYCLE_1)
	s_or_b32 s1, s3, s1
	s_delay_alu instid0(SALU_CYCLE_1) | instskip(NEXT) | instid1(SALU_CYCLE_1)
	s_and_saveexec_b32 s2, s1
	s_xor_b32 s1, exec_lo, s2
	s_cbranch_execz .LBB161_70
; %bb.69:
	v_lshl_add_u32 v18, v34, 3, v27
	v_add_nc_u32_e32 v32, 1, v34
	ds_load_b64 v[18:19], v18 offset:8
.LBB161_70:
	s_or_saveexec_b32 s1, s1
	v_dual_mov_b32 v20, v22 :: v_dual_mov_b32 v21, v23
	v_mov_b32_e32 v33, v34
	s_xor_b32 exec_lo, exec_lo, s1
	s_cbranch_execz .LBB161_72
; %bb.71:
	s_waitcnt lgkmcnt(0)
	v_lshl_add_u32 v18, v31, 3, v27
	v_dual_mov_b32 v32, v34 :: v_dual_mov_b32 v21, v17
	v_dual_mov_b32 v20, v16 :: v_dual_mov_b32 v33, v31
	ds_load_b64 v[35:36], v18 offset:8
	v_add_nc_u32_e32 v18, 1, v31
	s_delay_alu instid0(VALU_DEP_1)
	v_mov_b32_e32 v31, v18
	v_dual_mov_b32 v18, v22 :: v_dual_mov_b32 v19, v23
	s_waitcnt lgkmcnt(0)
	v_dual_mov_b32 v16, v35 :: v_dual_mov_b32 v17, v36
.LBB161_72:
	s_or_b32 exec_lo, exec_lo, s1
	s_waitcnt lgkmcnt(0)
	s_delay_alu instid0(VALU_DEP_1) | instskip(SKIP_4) | instid1(VALU_DEP_4)
	v_cmp_lt_i64_e64 s1, v[16:17], v[18:19]
	v_cmp_lt_i32_e64 s2, 31, v32
	v_cndmask_b32_e32 v23, v24, v28, vcc_lo
	v_cmp_gt_i32_e64 s3, 64, v31
	v_cndmask_b32_e64 v22, v29, v30, s0
	s_or_b32 s1, s2, s1
	s_delay_alu instid0(VALU_DEP_3) | instskip(NEXT) | instid1(VALU_DEP_3)
	v_lshl_add_u32 v23, v23, 3, v27
	s_and_b32 s1, s3, s1
	; wave barrier
	ds_store_2addr_b64 v26, v[0:1], v[4:5] offset1:1
	ds_store_2addr_b64 v26, v[2:3], v[6:7] offset0:2 offset1:3
	v_lshl_add_u32 v2, v22, 3, v27
	v_cndmask_b32_e64 v4, v32, v31, s1
	; wave barrier
	ds_load_b64 v[0:1], v23
	ds_load_b64 v[2:3], v2
	v_lshl_add_u32 v5, v33, 3, v27
	v_lshl_add_u32 v6, v4, 3, v27
	ds_load_b64 v[4:5], v5
	ds_load_b64 v[6:7], v6
	v_dual_cndmask_b32 v8, v8, v10 :: v_dual_cndmask_b32 v9, v9, v11
	v_cndmask_b32_e64 v10, v12, v14, s0
	v_cndmask_b32_e64 v13, v13, v15, s0
	;; [unrolled: 1-line block ×4, first 2 shown]
	s_add_u32 s0, s6, s8
	s_addc_u32 s1, s7, s9
	s_waitcnt lgkmcnt(3)
	v_add_co_u32 v0, vcc_lo, v0, v8
	v_add_co_ci_u32_e32 v1, vcc_lo, v1, v9, vcc_lo
	s_waitcnt lgkmcnt(2)
	v_add_co_u32 v2, vcc_lo, v2, v10
	v_add_co_ci_u32_e32 v3, vcc_lo, v3, v13, vcc_lo
	;; [unrolled: 3-line block ×3, first 2 shown]
	s_waitcnt lgkmcnt(0)
	v_add_co_u32 v6, vcc_lo, v6, v11
	v_lshlrev_b32_e32 v8, 3, v25
	v_add_co_ci_u32_e32 v7, vcc_lo, v7, v17, vcc_lo
	s_clause 0x1
	global_store_b128 v8, v[0:3], s[0:1]
	global_store_b128 v8, v[4:7], s[0:1] offset:16
	s_nop 0
	s_sendmsg sendmsg(MSG_DEALLOC_VGPRS)
	s_endpgm
	.section	.rodata,"a",@progbits
	.p2align	6, 0x0
	.amdhsa_kernel _Z10sort_pairsILj256ELj16ELj4ExN10test_utils4lessEEvPKT2_PS2_T3_
		.amdhsa_group_segment_fixed_size 8320
		.amdhsa_private_segment_fixed_size 0
		.amdhsa_kernarg_size 20
		.amdhsa_user_sgpr_count 15
		.amdhsa_user_sgpr_dispatch_ptr 0
		.amdhsa_user_sgpr_queue_ptr 0
		.amdhsa_user_sgpr_kernarg_segment_ptr 1
		.amdhsa_user_sgpr_dispatch_id 0
		.amdhsa_user_sgpr_private_segment_size 0
		.amdhsa_wavefront_size32 1
		.amdhsa_uses_dynamic_stack 0
		.amdhsa_enable_private_segment 0
		.amdhsa_system_sgpr_workgroup_id_x 1
		.amdhsa_system_sgpr_workgroup_id_y 0
		.amdhsa_system_sgpr_workgroup_id_z 0
		.amdhsa_system_sgpr_workgroup_info 0
		.amdhsa_system_vgpr_workitem_id 0
		.amdhsa_next_free_vgpr 42
		.amdhsa_next_free_sgpr 16
		.amdhsa_reserve_vcc 1
		.amdhsa_float_round_mode_32 0
		.amdhsa_float_round_mode_16_64 0
		.amdhsa_float_denorm_mode_32 3
		.amdhsa_float_denorm_mode_16_64 3
		.amdhsa_dx10_clamp 1
		.amdhsa_ieee_mode 1
		.amdhsa_fp16_overflow 0
		.amdhsa_workgroup_processor_mode 1
		.amdhsa_memory_ordered 1
		.amdhsa_forward_progress 0
		.amdhsa_shared_vgpr_count 0
		.amdhsa_exception_fp_ieee_invalid_op 0
		.amdhsa_exception_fp_denorm_src 0
		.amdhsa_exception_fp_ieee_div_zero 0
		.amdhsa_exception_fp_ieee_overflow 0
		.amdhsa_exception_fp_ieee_underflow 0
		.amdhsa_exception_fp_ieee_inexact 0
		.amdhsa_exception_int_div_zero 0
	.end_amdhsa_kernel
	.section	.text._Z10sort_pairsILj256ELj16ELj4ExN10test_utils4lessEEvPKT2_PS2_T3_,"axG",@progbits,_Z10sort_pairsILj256ELj16ELj4ExN10test_utils4lessEEvPKT2_PS2_T3_,comdat
.Lfunc_end161:
	.size	_Z10sort_pairsILj256ELj16ELj4ExN10test_utils4lessEEvPKT2_PS2_T3_, .Lfunc_end161-_Z10sort_pairsILj256ELj16ELj4ExN10test_utils4lessEEvPKT2_PS2_T3_
                                        ; -- End function
	.section	.AMDGPU.csdata,"",@progbits
; Kernel info:
; codeLenInByte = 4612
; NumSgprs: 18
; NumVgprs: 42
; ScratchSize: 0
; MemoryBound: 0
; FloatMode: 240
; IeeeMode: 1
; LDSByteSize: 8320 bytes/workgroup (compile time only)
; SGPRBlocks: 2
; VGPRBlocks: 5
; NumSGPRsForWavesPerEU: 18
; NumVGPRsForWavesPerEU: 42
; Occupancy: 16
; WaveLimiterHint : 0
; COMPUTE_PGM_RSRC2:SCRATCH_EN: 0
; COMPUTE_PGM_RSRC2:USER_SGPR: 15
; COMPUTE_PGM_RSRC2:TRAP_HANDLER: 0
; COMPUTE_PGM_RSRC2:TGID_X_EN: 1
; COMPUTE_PGM_RSRC2:TGID_Y_EN: 0
; COMPUTE_PGM_RSRC2:TGID_Z_EN: 0
; COMPUTE_PGM_RSRC2:TIDIG_COMP_CNT: 0
	.section	.text._Z19sort_keys_segmentedILj256ELj16ELj4ExN10test_utils4lessEEvPKT2_PS2_PKjT3_,"axG",@progbits,_Z19sort_keys_segmentedILj256ELj16ELj4ExN10test_utils4lessEEvPKT2_PS2_PKjT3_,comdat
	.protected	_Z19sort_keys_segmentedILj256ELj16ELj4ExN10test_utils4lessEEvPKT2_PS2_PKjT3_ ; -- Begin function _Z19sort_keys_segmentedILj256ELj16ELj4ExN10test_utils4lessEEvPKT2_PS2_PKjT3_
	.globl	_Z19sort_keys_segmentedILj256ELj16ELj4ExN10test_utils4lessEEvPKT2_PS2_PKjT3_
	.p2align	8
	.type	_Z19sort_keys_segmentedILj256ELj16ELj4ExN10test_utils4lessEEvPKT2_PS2_PKjT3_,@function
_Z19sort_keys_segmentedILj256ELj16ELj4ExN10test_utils4lessEEvPKT2_PS2_PKjT3_: ; @_Z19sort_keys_segmentedILj256ELj16ELj4ExN10test_utils4lessEEvPKT2_PS2_PKjT3_
; %bb.0:
	s_clause 0x1
	s_load_b64 s[2:3], s[0:1], 0x10
	s_load_b128 s[8:11], s[0:1], 0x0
	v_lshrrev_b32_e32 v12, 4, v0
	s_delay_alu instid0(VALU_DEP_1) | instskip(SKIP_1) | instid1(VALU_DEP_1)
	v_lshl_or_b32 v0, s15, 4, v12
	v_mov_b32_e32 v1, 0
	v_lshlrev_b64 v[2:3], 2, v[0:1]
	v_lshlrev_b32_e32 v0, 6, v0
	s_delay_alu instid0(VALU_DEP_1) | instskip(SKIP_1) | instid1(VALU_DEP_3)
	v_lshlrev_b64 v[8:9], 3, v[0:1]
	s_waitcnt lgkmcnt(0)
	v_add_co_u32 v2, vcc_lo, s2, v2
	s_delay_alu instid0(VALU_DEP_4) | instskip(NEXT) | instid1(VALU_DEP_3)
	v_add_co_ci_u32_e32 v3, vcc_lo, s3, v3, vcc_lo
	v_add_co_u32 v0, vcc_lo, s8, v8
	global_load_b32 v19, v[2:3], off
	v_mbcnt_lo_u32_b32 v2, -1, 0
	v_add_co_ci_u32_e32 v1, vcc_lo, s9, v9, vcc_lo
	s_delay_alu instid0(VALU_DEP_2) | instskip(NEXT) | instid1(VALU_DEP_1)
	v_lshlrev_b32_e32 v23, 2, v2
	v_and_b32_e32 v20, 60, v23
	s_delay_alu instid0(VALU_DEP_1) | instskip(NEXT) | instid1(VALU_DEP_1)
	v_lshlrev_b32_e32 v18, 3, v20
	v_add_co_u32 v10, vcc_lo, v0, v18
	v_add_co_ci_u32_e32 v11, vcc_lo, 0, v1, vcc_lo
                                        ; implicit-def: $vgpr0_vgpr1_vgpr2_vgpr3_vgpr4_vgpr5_vgpr6_vgpr7
	s_waitcnt vmcnt(0)
	v_cmp_lt_u32_e32 vcc_lo, v20, v19
	s_and_saveexec_b32 s0, vcc_lo
	s_cbranch_execz .LBB162_2
; %bb.1:
	global_load_b64 v[0:1], v[10:11], off
.LBB162_2:
	s_or_b32 exec_lo, exec_lo, s0
	v_or_b32_e32 v13, 1, v20
	s_delay_alu instid0(VALU_DEP_1) | instskip(NEXT) | instid1(VALU_DEP_1)
	v_cmp_lt_u32_e64 s0, v13, v19
	s_and_saveexec_b32 s1, s0
	s_cbranch_execz .LBB162_4
; %bb.3:
	global_load_b64 v[2:3], v[10:11], off offset:8
.LBB162_4:
	s_or_b32 exec_lo, exec_lo, s1
	v_or_b32_e32 v14, 2, v20
	s_delay_alu instid0(VALU_DEP_1) | instskip(NEXT) | instid1(VALU_DEP_1)
	v_cmp_lt_u32_e64 s1, v14, v19
	s_and_saveexec_b32 s2, s1
	s_cbranch_execz .LBB162_6
; %bb.5:
	global_load_b64 v[4:5], v[10:11], off offset:16
.LBB162_6:
	;; [unrolled: 9-line block ×3, first 2 shown]
	s_or_b32 exec_lo, exec_lo, s3
	v_cmp_lt_i32_e64 s3, v14, v19
	v_cmp_lt_i32_e64 s4, v15, v19
	;; [unrolled: 1-line block ×3, first 2 shown]
	s_mov_b32 s6, exec_lo
	s_delay_alu instid0(VALU_DEP_2)
	s_or_b32 s3, s4, s3
	s_waitcnt vmcnt(0)
	v_cndmask_b32_e64 v7, 0x7fffffff, v7, s4
	v_cndmask_b32_e64 v5, 0x7fffffff, v5, s3
	v_cndmask_b32_e64 v4, -1, v4, s3
	s_or_b32 s3, s3, s5
	v_cndmask_b32_e64 v6, -1, v6, s4
	v_cndmask_b32_e64 v3, 0x7fffffff, v3, s3
	v_cndmask_b32_e64 v2, -1, v2, s3
	v_cmpx_lt_i32_e64 v20, v19
	s_cbranch_execz .LBB162_10
; %bb.9:
	s_delay_alu instid0(VALU_DEP_2) | instskip(SKIP_2) | instid1(VALU_DEP_3)
	v_cmp_gt_i64_e64 s4, v[2:3], v[0:1]
	v_cmp_lt_i64_e64 s5, v[6:7], v[4:5]
	v_cmp_lt_i64_e64 s3, v[2:3], v[0:1]
	v_cndmask_b32_e64 v11, v1, v3, s4
	v_cndmask_b32_e64 v10, v0, v2, s4
	s_delay_alu instid0(VALU_DEP_4)
	v_cndmask_b32_e64 v14, v5, v7, s5
	v_cndmask_b32_e64 v13, v4, v6, s5
	v_cmp_gt_i64_e64 s4, v[6:7], v[4:5]
	v_cndmask_b32_e64 v17, v2, v0, s3
	v_cndmask_b32_e64 v22, v6, v4, s5
	;; [unrolled: 1-line block ×4, first 2 shown]
	v_cmp_gt_i64_e64 s5, v[13:14], v[10:11]
	v_cndmask_b32_e64 v21, v3, v1, s3
	v_cndmask_b32_e64 v3, v1, v3, s3
	v_cmp_lt_i64_e64 s3, v[13:14], v[10:11]
	v_cndmask_b32_e64 v5, v5, v7, s4
	v_cndmask_b32_e64 v4, v4, v6, s4
	v_cndmask_b32_e64 v24, v10, v13, s5
	v_cmp_lt_i64_e64 s4, v[13:14], v[2:3]
	v_cndmask_b32_e64 v15, v11, v14, s5
	v_cndmask_b32_e64 v7, v11, v14, s3
	v_cmp_gt_i64_e64 s5, v[10:11], v[4:5]
	v_cndmask_b32_e64 v25, v10, v13, s3
	v_cndmask_b32_e64 v6, v14, v11, s3
	;; [unrolled: 1-line block ×13, first 2 shown]
	v_cmp_lt_i64_e64 s3, v[15:16], v[10:11]
	v_cndmask_b32_e64 v4, v26, v4, s5
	v_cndmask_b32_e64 v3, v14, v3, s4
	;; [unrolled: 1-line block ×8, first 2 shown]
.LBB162_10:
	s_or_b32 exec_lo, exec_lo, s6
	v_and_b32_e32 v10, 56, v23
	v_and_b32_e32 v13, 4, v23
	v_mul_u32_u24_e32 v21, 0x208, v12
	v_mad_u32_u24 v22, 0x208, v12, v18
	s_mov_b32 s5, 0
	v_min_i32_e32 v10, v19, v10
	s_mov_b32 s4, exec_lo
	; wave barrier
	ds_store_2addr_b64 v22, v[0:1], v[2:3] offset1:1
	ds_store_2addr_b64 v22, v[4:5], v[6:7] offset0:2 offset1:3
	v_add_nc_u32_e32 v11, 4, v10
	v_lshlrev_b32_e32 v16, 3, v10
	; wave barrier
	s_delay_alu instid0(VALU_DEP_2) | instskip(NEXT) | instid1(VALU_DEP_2)
	v_min_i32_e32 v27, v19, v11
	v_mad_u32_u24 v12, 0x208, v12, v16
	s_delay_alu instid0(VALU_DEP_2) | instskip(SKIP_1) | instid1(VALU_DEP_2)
	v_add_nc_u32_e32 v11, 4, v27
	v_sub_nc_u32_e32 v14, v27, v10
	v_min_i32_e32 v25, v19, v11
	v_min_i32_e32 v11, v19, v13
	s_delay_alu instid0(VALU_DEP_2) | instskip(NEXT) | instid1(VALU_DEP_2)
	v_sub_nc_u32_e32 v13, v25, v27
	v_min_i32_e32 v14, v11, v14
	s_delay_alu instid0(VALU_DEP_2) | instskip(SKIP_1) | instid1(VALU_DEP_1)
	v_sub_nc_u32_e32 v15, v11, v13
	v_cmp_ge_i32_e64 s3, v11, v13
	v_cndmask_b32_e64 v13, 0, v15, s3
	s_delay_alu instid0(VALU_DEP_1)
	v_cmpx_lt_i32_e64 v13, v14
	s_cbranch_execz .LBB162_14
; %bb.11:
	v_lshlrev_b32_e32 v0, 3, v27
	v_lshlrev_b32_e32 v1, 3, v11
	s_delay_alu instid0(VALU_DEP_1)
	v_add3_u32 v0, v21, v0, v1
	.p2align	6
.LBB162_12:                             ; =>This Inner Loop Header: Depth=1
	v_sub_nc_u32_e32 v1, v14, v13
	s_delay_alu instid0(VALU_DEP_1) | instskip(NEXT) | instid1(VALU_DEP_1)
	v_lshrrev_b32_e32 v2, 31, v1
	v_add_nc_u32_e32 v1, v1, v2
	s_delay_alu instid0(VALU_DEP_1) | instskip(NEXT) | instid1(VALU_DEP_1)
	v_ashrrev_i32_e32 v1, 1, v1
	v_add_nc_u32_e32 v5, v1, v13
	s_delay_alu instid0(VALU_DEP_1) | instskip(SKIP_1) | instid1(VALU_DEP_2)
	v_not_b32_e32 v1, v5
	v_lshl_add_u32 v2, v5, 3, v12
	v_lshl_add_u32 v3, v1, 3, v0
	ds_load_b64 v[1:2], v2
	ds_load_b64 v[3:4], v3
	s_waitcnt lgkmcnt(0)
	v_cmp_lt_i64_e64 s3, v[3:4], v[1:2]
	v_add_nc_u32_e32 v1, 1, v5
	s_delay_alu instid0(VALU_DEP_2) | instskip(NEXT) | instid1(VALU_DEP_2)
	v_cndmask_b32_e64 v14, v14, v5, s3
	v_cndmask_b32_e64 v13, v1, v13, s3
	s_delay_alu instid0(VALU_DEP_1) | instskip(NEXT) | instid1(VALU_DEP_1)
	v_cmp_ge_i32_e64 s3, v13, v14
	s_or_b32 s5, s3, s5
	s_delay_alu instid0(SALU_CYCLE_1)
	s_and_not1_b32 exec_lo, exec_lo, s5
	s_cbranch_execnz .LBB162_12
; %bb.13:
	s_or_b32 exec_lo, exec_lo, s5
.LBB162_14:
	s_delay_alu instid0(SALU_CYCLE_1) | instskip(SKIP_3) | instid1(VALU_DEP_3)
	s_or_b32 exec_lo, exec_lo, s4
	v_add_nc_u32_e32 v0, v27, v11
	v_lshl_add_u32 v6, v13, 3, v12
	v_add_nc_u32_e32 v10, v13, v10
                                        ; implicit-def: $vgpr4_vgpr5
	v_sub_nc_u32_e32 v11, v0, v13
	s_delay_alu instid0(VALU_DEP_2) | instskip(NEXT) | instid1(VALU_DEP_2)
	v_cmp_le_i32_e64 s4, v27, v10
	v_lshl_add_u32 v12, v11, 3, v21
	v_cmp_gt_i32_e64 s5, v25, v11
	ds_load_b64 v[0:1], v6
	ds_load_b64 v[2:3], v12
	s_waitcnt lgkmcnt(0)
	v_cmp_lt_i64_e64 s3, v[2:3], v[0:1]
	s_delay_alu instid0(VALU_DEP_1) | instskip(NEXT) | instid1(SALU_CYCLE_1)
	s_or_b32 s3, s4, s3
	s_and_b32 s3, s5, s3
	s_delay_alu instid0(SALU_CYCLE_1) | instskip(NEXT) | instid1(SALU_CYCLE_1)
	s_xor_b32 s4, s3, -1
	s_and_saveexec_b32 s5, s4
	s_delay_alu instid0(SALU_CYCLE_1)
	s_xor_b32 s4, exec_lo, s5
	s_cbranch_execz .LBB162_16
; %bb.15:
	ds_load_b64 v[4:5], v6 offset:8
                                        ; implicit-def: $vgpr12
.LBB162_16:
	s_or_saveexec_b32 s4, s4
	v_dual_mov_b32 v7, v3 :: v_dual_mov_b32 v6, v2
	s_xor_b32 exec_lo, exec_lo, s4
	s_cbranch_execz .LBB162_18
; %bb.17:
	ds_load_b64 v[6:7], v12 offset:8
	s_waitcnt lgkmcnt(1)
	v_dual_mov_b32 v5, v1 :: v_dual_mov_b32 v4, v0
.LBB162_18:
	s_or_b32 exec_lo, exec_lo, s4
	v_add_nc_u32_e32 v12, 1, v10
	v_add_nc_u32_e32 v13, 1, v11
	s_waitcnt lgkmcnt(0)
	v_cmp_lt_i64_e64 s4, v[6:7], v[4:5]
	s_delay_alu instid0(VALU_DEP_3) | instskip(NEXT) | instid1(VALU_DEP_3)
	v_cndmask_b32_e64 v15, v12, v10, s3
	v_cndmask_b32_e64 v14, v11, v13, s3
                                        ; implicit-def: $vgpr10_vgpr11
	s_delay_alu instid0(VALU_DEP_2) | instskip(NEXT) | instid1(VALU_DEP_2)
	v_cmp_ge_i32_e64 s5, v15, v27
	v_cmp_lt_i32_e64 s6, v14, v25
	s_delay_alu instid0(VALU_DEP_2)
	s_or_b32 s4, s5, s4
	s_delay_alu instid0(VALU_DEP_1) | instid1(SALU_CYCLE_1)
	s_and_b32 s4, s6, s4
	s_delay_alu instid0(SALU_CYCLE_1) | instskip(NEXT) | instid1(SALU_CYCLE_1)
	s_xor_b32 s5, s4, -1
	s_and_saveexec_b32 s6, s5
	s_delay_alu instid0(SALU_CYCLE_1)
	s_xor_b32 s5, exec_lo, s6
	s_cbranch_execz .LBB162_20
; %bb.19:
	v_lshl_add_u32 v10, v15, 3, v21
	ds_load_b64 v[10:11], v10 offset:8
.LBB162_20:
	s_or_saveexec_b32 s5, s5
	v_dual_mov_b32 v13, v7 :: v_dual_mov_b32 v12, v6
	s_xor_b32 exec_lo, exec_lo, s5
	s_cbranch_execz .LBB162_22
; %bb.21:
	s_waitcnt lgkmcnt(0)
	v_lshl_add_u32 v10, v14, 3, v21
	ds_load_b64 v[12:13], v10 offset:8
	v_dual_mov_b32 v11, v5 :: v_dual_mov_b32 v10, v4
.LBB162_22:
	s_or_b32 exec_lo, exec_lo, s5
	v_add_nc_u32_e32 v16, 1, v15
	v_add_nc_u32_e32 v17, 1, v14
	s_waitcnt lgkmcnt(0)
	v_cmp_lt_i64_e64 s5, v[12:13], v[10:11]
	s_delay_alu instid0(VALU_DEP_3) | instskip(NEXT) | instid1(VALU_DEP_3)
	v_cndmask_b32_e64 v30, v16, v15, s4
	v_cndmask_b32_e64 v29, v14, v17, s4
                                        ; implicit-def: $vgpr14_vgpr15
	s_delay_alu instid0(VALU_DEP_2) | instskip(NEXT) | instid1(VALU_DEP_2)
	v_cmp_ge_i32_e64 s6, v30, v27
	v_cmp_lt_i32_e64 s7, v29, v25
	s_delay_alu instid0(VALU_DEP_2)
	s_or_b32 s5, s6, s5
	s_delay_alu instid0(VALU_DEP_1) | instid1(SALU_CYCLE_1)
	s_and_b32 s5, s7, s5
	s_delay_alu instid0(SALU_CYCLE_1) | instskip(NEXT) | instid1(SALU_CYCLE_1)
	s_xor_b32 s6, s5, -1
	s_and_saveexec_b32 s7, s6
	s_delay_alu instid0(SALU_CYCLE_1)
	s_xor_b32 s6, exec_lo, s7
	s_cbranch_execz .LBB162_24
; %bb.23:
	v_lshl_add_u32 v14, v30, 3, v21
	ds_load_b64 v[14:15], v14 offset:8
.LBB162_24:
	s_or_saveexec_b32 s6, s6
	v_dual_mov_b32 v17, v13 :: v_dual_mov_b32 v16, v12
	s_xor_b32 exec_lo, exec_lo, s6
	s_cbranch_execz .LBB162_26
; %bb.25:
	s_waitcnt lgkmcnt(0)
	v_lshl_add_u32 v14, v29, 3, v21
	ds_load_b64 v[16:17], v14 offset:8
	v_dual_mov_b32 v15, v11 :: v_dual_mov_b32 v14, v10
.LBB162_26:
	s_or_b32 exec_lo, exec_lo, s6
	v_and_b32_e32 v24, 48, v23
	v_cndmask_b32_e64 v10, v10, v12, s5
	v_add_nc_u32_e32 v32, 1, v30
	v_cndmask_b32_e64 v11, v11, v13, s5
	v_add_nc_u32_e32 v31, 1, v29
	v_min_i32_e32 v28, v19, v24
	v_cndmask_b32_e64 v13, v1, v3, s3
	v_and_b32_e32 v1, 12, v23
	v_cndmask_b32_e64 v7, v5, v7, s4
	v_cndmask_b32_e64 v6, v4, v6, s4
	v_add_nc_u32_e32 v24, 8, v28
	v_cndmask_b32_e64 v3, v29, v31, s5
	; wave barrier
	s_delay_alu instid0(VALU_DEP_2) | instskip(NEXT) | instid1(VALU_DEP_1)
	v_min_i32_e32 v24, v19, v24
	v_add_nc_u32_e32 v12, 8, v24
	s_delay_alu instid0(VALU_DEP_1)
	v_min_i32_e32 v26, v19, v12
	v_cndmask_b32_e64 v12, v0, v2, s3
	v_cndmask_b32_e64 v2, v32, v30, s5
	s_waitcnt lgkmcnt(0)
	v_cmp_lt_i64_e64 s3, v[16:17], v[14:15]
	v_min_i32_e32 v0, v19, v1
	v_sub_nc_u32_e32 v1, v26, v24
	v_cmp_lt_i32_e64 s5, v3, v25
	v_cmp_ge_i32_e64 s4, v2, v27
	v_sub_nc_u32_e32 v2, v24, v28
	s_delay_alu instid0(VALU_DEP_4) | instskip(NEXT) | instid1(VALU_DEP_3)
	v_sub_nc_u32_e32 v4, v0, v1
	s_or_b32 s4, s4, s3
	v_cmp_ge_i32_e64 s3, v0, v1
	s_delay_alu instid0(VALU_DEP_3) | instskip(SKIP_1) | instid1(VALU_DEP_3)
	v_min_i32_e32 v2, v0, v2
	v_lshl_add_u32 v1, v28, 3, v21
	v_cndmask_b32_e64 v4, 0, v4, s3
	s_and_b32 s3, s5, s4
	s_mov_b32 s5, 0
	v_cndmask_b32_e64 v15, v15, v17, s3
	v_cndmask_b32_e64 v14, v14, v16, s3
	s_mov_b32 s4, exec_lo
	ds_store_2addr_b64 v22, v[12:13], v[6:7] offset1:1
	ds_store_2addr_b64 v22, v[10:11], v[14:15] offset0:2 offset1:3
	; wave barrier
	v_cmpx_lt_i32_e64 v4, v2
	s_cbranch_execz .LBB162_30
; %bb.27:
	v_lshlrev_b32_e32 v3, 3, v24
	v_lshlrev_b32_e32 v5, 3, v0
	s_delay_alu instid0(VALU_DEP_1)
	v_add3_u32 v3, v21, v3, v5
	.p2align	6
.LBB162_28:                             ; =>This Inner Loop Header: Depth=1
	v_sub_nc_u32_e32 v5, v2, v4
	s_delay_alu instid0(VALU_DEP_1) | instskip(NEXT) | instid1(VALU_DEP_1)
	v_lshrrev_b32_e32 v6, 31, v5
	v_add_nc_u32_e32 v5, v5, v6
	s_delay_alu instid0(VALU_DEP_1) | instskip(NEXT) | instid1(VALU_DEP_1)
	v_ashrrev_i32_e32 v5, 1, v5
	v_add_nc_u32_e32 v7, v5, v4
	s_delay_alu instid0(VALU_DEP_1) | instskip(SKIP_1) | instid1(VALU_DEP_2)
	v_not_b32_e32 v5, v7
	v_lshl_add_u32 v6, v7, 3, v1
	v_lshl_add_u32 v10, v5, 3, v3
	ds_load_b64 v[5:6], v6
	ds_load_b64 v[10:11], v10
	s_waitcnt lgkmcnt(0)
	v_cmp_lt_i64_e64 s3, v[10:11], v[5:6]
	v_add_nc_u32_e32 v5, 1, v7
	s_delay_alu instid0(VALU_DEP_2) | instskip(NEXT) | instid1(VALU_DEP_2)
	v_cndmask_b32_e64 v2, v2, v7, s3
	v_cndmask_b32_e64 v4, v5, v4, s3
	s_delay_alu instid0(VALU_DEP_1) | instskip(NEXT) | instid1(VALU_DEP_1)
	v_cmp_ge_i32_e64 s3, v4, v2
	s_or_b32 s5, s3, s5
	s_delay_alu instid0(SALU_CYCLE_1)
	s_and_not1_b32 exec_lo, exec_lo, s5
	s_cbranch_execnz .LBB162_28
; %bb.29:
	s_or_b32 exec_lo, exec_lo, s5
.LBB162_30:
	s_delay_alu instid0(SALU_CYCLE_1) | instskip(SKIP_3) | instid1(VALU_DEP_3)
	s_or_b32 exec_lo, exec_lo, s4
	v_add_nc_u32_e32 v0, v24, v0
	v_lshl_add_u32 v6, v4, 3, v1
	v_add_nc_u32_e32 v11, v4, v28
	v_sub_nc_u32_e32 v10, v0, v4
                                        ; implicit-def: $vgpr4_vgpr5
	s_delay_alu instid0(VALU_DEP_2) | instskip(NEXT) | instid1(VALU_DEP_2)
	v_cmp_le_i32_e64 s4, v24, v11
	v_lshl_add_u32 v12, v10, 3, v21
	v_cmp_gt_i32_e64 s5, v26, v10
	ds_load_b64 v[0:1], v6
	ds_load_b64 v[2:3], v12
	s_waitcnt lgkmcnt(0)
	v_cmp_lt_i64_e64 s3, v[2:3], v[0:1]
	s_delay_alu instid0(VALU_DEP_1) | instskip(NEXT) | instid1(SALU_CYCLE_1)
	s_or_b32 s3, s4, s3
	s_and_b32 s3, s5, s3
	s_delay_alu instid0(SALU_CYCLE_1) | instskip(NEXT) | instid1(SALU_CYCLE_1)
	s_xor_b32 s4, s3, -1
	s_and_saveexec_b32 s5, s4
	s_delay_alu instid0(SALU_CYCLE_1)
	s_xor_b32 s4, exec_lo, s5
	s_cbranch_execz .LBB162_32
; %bb.31:
	ds_load_b64 v[4:5], v6 offset:8
                                        ; implicit-def: $vgpr12
.LBB162_32:
	s_or_saveexec_b32 s4, s4
	v_dual_mov_b32 v7, v3 :: v_dual_mov_b32 v6, v2
	s_xor_b32 exec_lo, exec_lo, s4
	s_cbranch_execz .LBB162_34
; %bb.33:
	ds_load_b64 v[6:7], v12 offset:8
	s_waitcnt lgkmcnt(1)
	v_dual_mov_b32 v5, v1 :: v_dual_mov_b32 v4, v0
.LBB162_34:
	s_or_b32 exec_lo, exec_lo, s4
	v_add_nc_u32_e32 v12, 1, v11
	v_add_nc_u32_e32 v13, 1, v10
	s_waitcnt lgkmcnt(0)
	v_cmp_lt_i64_e64 s4, v[6:7], v[4:5]
	s_delay_alu instid0(VALU_DEP_3) | instskip(NEXT) | instid1(VALU_DEP_3)
	v_cndmask_b32_e64 v15, v12, v11, s3
	v_cndmask_b32_e64 v14, v10, v13, s3
                                        ; implicit-def: $vgpr10_vgpr11
	s_delay_alu instid0(VALU_DEP_2) | instskip(NEXT) | instid1(VALU_DEP_2)
	v_cmp_ge_i32_e64 s5, v15, v24
	v_cmp_lt_i32_e64 s6, v14, v26
	s_delay_alu instid0(VALU_DEP_2)
	s_or_b32 s4, s5, s4
	s_delay_alu instid0(VALU_DEP_1) | instid1(SALU_CYCLE_1)
	s_and_b32 s4, s6, s4
	s_delay_alu instid0(SALU_CYCLE_1) | instskip(NEXT) | instid1(SALU_CYCLE_1)
	s_xor_b32 s5, s4, -1
	s_and_saveexec_b32 s6, s5
	s_delay_alu instid0(SALU_CYCLE_1)
	s_xor_b32 s5, exec_lo, s6
	s_cbranch_execz .LBB162_36
; %bb.35:
	v_lshl_add_u32 v10, v15, 3, v21
	ds_load_b64 v[10:11], v10 offset:8
.LBB162_36:
	s_or_saveexec_b32 s5, s5
	v_dual_mov_b32 v13, v7 :: v_dual_mov_b32 v12, v6
	s_xor_b32 exec_lo, exec_lo, s5
	s_cbranch_execz .LBB162_38
; %bb.37:
	s_waitcnt lgkmcnt(0)
	v_lshl_add_u32 v10, v14, 3, v21
	ds_load_b64 v[12:13], v10 offset:8
	v_dual_mov_b32 v11, v5 :: v_dual_mov_b32 v10, v4
.LBB162_38:
	s_or_b32 exec_lo, exec_lo, s5
	v_add_nc_u32_e32 v16, 1, v15
	v_add_nc_u32_e32 v17, 1, v14
	s_waitcnt lgkmcnt(0)
	v_cmp_lt_i64_e64 s5, v[12:13], v[10:11]
	s_delay_alu instid0(VALU_DEP_3) | instskip(NEXT) | instid1(VALU_DEP_3)
	v_cndmask_b32_e64 v30, v16, v15, s4
	v_cndmask_b32_e64 v29, v14, v17, s4
                                        ; implicit-def: $vgpr14_vgpr15
	s_delay_alu instid0(VALU_DEP_2) | instskip(NEXT) | instid1(VALU_DEP_2)
	v_cmp_ge_i32_e64 s6, v30, v24
	v_cmp_lt_i32_e64 s7, v29, v26
	s_delay_alu instid0(VALU_DEP_2)
	s_or_b32 s5, s6, s5
	s_delay_alu instid0(VALU_DEP_1) | instid1(SALU_CYCLE_1)
	s_and_b32 s5, s7, s5
	s_delay_alu instid0(SALU_CYCLE_1) | instskip(NEXT) | instid1(SALU_CYCLE_1)
	s_xor_b32 s6, s5, -1
	s_and_saveexec_b32 s7, s6
	s_delay_alu instid0(SALU_CYCLE_1)
	s_xor_b32 s6, exec_lo, s7
	s_cbranch_execz .LBB162_40
; %bb.39:
	v_lshl_add_u32 v14, v30, 3, v21
	ds_load_b64 v[14:15], v14 offset:8
.LBB162_40:
	s_or_saveexec_b32 s6, s6
	v_dual_mov_b32 v17, v13 :: v_dual_mov_b32 v16, v12
	s_xor_b32 exec_lo, exec_lo, s6
	s_cbranch_execz .LBB162_42
; %bb.41:
	s_waitcnt lgkmcnt(0)
	v_lshl_add_u32 v14, v29, 3, v21
	ds_load_b64 v[16:17], v14 offset:8
	v_dual_mov_b32 v15, v11 :: v_dual_mov_b32 v14, v10
.LBB162_42:
	s_or_b32 exec_lo, exec_lo, s6
	v_and_b32_e32 v25, 32, v23
	v_cndmask_b32_e64 v10, v10, v12, s5
	v_add_nc_u32_e32 v32, 1, v30
	v_cndmask_b32_e64 v11, v11, v13, s5
	v_add_nc_u32_e32 v31, 1, v29
	v_min_i32_e32 v28, v19, v25
	v_cndmask_b32_e64 v13, v1, v3, s3
	v_and_b32_e32 v1, 28, v23
	v_cndmask_b32_e64 v7, v5, v7, s4
	v_cndmask_b32_e64 v6, v4, v6, s4
	v_add_nc_u32_e32 v25, 16, v28
	v_cndmask_b32_e64 v3, v29, v31, s5
	; wave barrier
	s_delay_alu instid0(VALU_DEP_2) | instskip(NEXT) | instid1(VALU_DEP_1)
	v_min_i32_e32 v25, v19, v25
	v_add_nc_u32_e32 v12, 16, v25
	s_delay_alu instid0(VALU_DEP_1)
	v_min_i32_e32 v27, v19, v12
	v_cndmask_b32_e64 v12, v0, v2, s3
	v_cndmask_b32_e64 v2, v32, v30, s5
	s_waitcnt lgkmcnt(0)
	v_cmp_lt_i64_e64 s3, v[16:17], v[14:15]
	v_min_i32_e32 v0, v19, v1
	v_sub_nc_u32_e32 v1, v27, v25
	v_cmp_lt_i32_e64 s5, v3, v26
	v_cmp_ge_i32_e64 s4, v2, v24
	v_sub_nc_u32_e32 v2, v25, v28
	s_delay_alu instid0(VALU_DEP_4) | instskip(NEXT) | instid1(VALU_DEP_3)
	v_sub_nc_u32_e32 v4, v0, v1
	s_or_b32 s4, s4, s3
	v_cmp_ge_i32_e64 s3, v0, v1
	s_delay_alu instid0(VALU_DEP_3) | instskip(SKIP_1) | instid1(VALU_DEP_3)
	v_min_i32_e32 v2, v0, v2
	v_lshl_add_u32 v1, v28, 3, v21
	v_cndmask_b32_e64 v4, 0, v4, s3
	s_and_b32 s3, s5, s4
	s_mov_b32 s5, 0
	v_cndmask_b32_e64 v15, v15, v17, s3
	v_cndmask_b32_e64 v14, v14, v16, s3
	s_mov_b32 s4, exec_lo
	ds_store_2addr_b64 v22, v[12:13], v[6:7] offset1:1
	ds_store_2addr_b64 v22, v[10:11], v[14:15] offset0:2 offset1:3
	; wave barrier
	v_cmpx_lt_i32_e64 v4, v2
	s_cbranch_execz .LBB162_46
; %bb.43:
	v_lshlrev_b32_e32 v3, 3, v25
	v_lshlrev_b32_e32 v5, 3, v0
	s_delay_alu instid0(VALU_DEP_1)
	v_add3_u32 v3, v21, v3, v5
	.p2align	6
.LBB162_44:                             ; =>This Inner Loop Header: Depth=1
	v_sub_nc_u32_e32 v5, v2, v4
	s_delay_alu instid0(VALU_DEP_1) | instskip(NEXT) | instid1(VALU_DEP_1)
	v_lshrrev_b32_e32 v6, 31, v5
	v_add_nc_u32_e32 v5, v5, v6
	s_delay_alu instid0(VALU_DEP_1) | instskip(NEXT) | instid1(VALU_DEP_1)
	v_ashrrev_i32_e32 v5, 1, v5
	v_add_nc_u32_e32 v7, v5, v4
	s_delay_alu instid0(VALU_DEP_1) | instskip(SKIP_1) | instid1(VALU_DEP_2)
	v_not_b32_e32 v5, v7
	v_lshl_add_u32 v6, v7, 3, v1
	v_lshl_add_u32 v10, v5, 3, v3
	ds_load_b64 v[5:6], v6
	ds_load_b64 v[10:11], v10
	s_waitcnt lgkmcnt(0)
	v_cmp_lt_i64_e64 s3, v[10:11], v[5:6]
	v_add_nc_u32_e32 v5, 1, v7
	s_delay_alu instid0(VALU_DEP_2) | instskip(NEXT) | instid1(VALU_DEP_2)
	v_cndmask_b32_e64 v2, v2, v7, s3
	v_cndmask_b32_e64 v4, v5, v4, s3
	s_delay_alu instid0(VALU_DEP_1) | instskip(NEXT) | instid1(VALU_DEP_1)
	v_cmp_ge_i32_e64 s3, v4, v2
	s_or_b32 s5, s3, s5
	s_delay_alu instid0(SALU_CYCLE_1)
	s_and_not1_b32 exec_lo, exec_lo, s5
	s_cbranch_execnz .LBB162_44
; %bb.45:
	s_or_b32 exec_lo, exec_lo, s5
.LBB162_46:
	s_delay_alu instid0(SALU_CYCLE_1) | instskip(SKIP_3) | instid1(VALU_DEP_3)
	s_or_b32 exec_lo, exec_lo, s4
	v_add_nc_u32_e32 v0, v25, v0
	v_lshl_add_u32 v6, v4, 3, v1
	v_add_nc_u32_e32 v11, v4, v28
	v_sub_nc_u32_e32 v10, v0, v4
                                        ; implicit-def: $vgpr4_vgpr5
	s_delay_alu instid0(VALU_DEP_2) | instskip(NEXT) | instid1(VALU_DEP_2)
	v_cmp_le_i32_e64 s4, v25, v11
	v_lshl_add_u32 v12, v10, 3, v21
	v_cmp_gt_i32_e64 s5, v27, v10
	ds_load_b64 v[0:1], v6
	ds_load_b64 v[2:3], v12
	s_waitcnt lgkmcnt(0)
	v_cmp_lt_i64_e64 s3, v[2:3], v[0:1]
	s_delay_alu instid0(VALU_DEP_1) | instskip(NEXT) | instid1(SALU_CYCLE_1)
	s_or_b32 s3, s4, s3
	s_and_b32 s3, s5, s3
	s_delay_alu instid0(SALU_CYCLE_1) | instskip(NEXT) | instid1(SALU_CYCLE_1)
	s_xor_b32 s4, s3, -1
	s_and_saveexec_b32 s5, s4
	s_delay_alu instid0(SALU_CYCLE_1)
	s_xor_b32 s4, exec_lo, s5
	s_cbranch_execz .LBB162_48
; %bb.47:
	ds_load_b64 v[4:5], v6 offset:8
                                        ; implicit-def: $vgpr12
.LBB162_48:
	s_or_saveexec_b32 s4, s4
	v_dual_mov_b32 v7, v3 :: v_dual_mov_b32 v6, v2
	s_xor_b32 exec_lo, exec_lo, s4
	s_cbranch_execz .LBB162_50
; %bb.49:
	ds_load_b64 v[6:7], v12 offset:8
	s_waitcnt lgkmcnt(1)
	v_dual_mov_b32 v5, v1 :: v_dual_mov_b32 v4, v0
.LBB162_50:
	s_or_b32 exec_lo, exec_lo, s4
	v_add_nc_u32_e32 v12, 1, v11
	v_add_nc_u32_e32 v13, 1, v10
	s_waitcnt lgkmcnt(0)
	v_cmp_lt_i64_e64 s4, v[6:7], v[4:5]
	s_delay_alu instid0(VALU_DEP_3) | instskip(NEXT) | instid1(VALU_DEP_3)
	v_cndmask_b32_e64 v15, v12, v11, s3
	v_cndmask_b32_e64 v14, v10, v13, s3
                                        ; implicit-def: $vgpr10_vgpr11
	s_delay_alu instid0(VALU_DEP_2) | instskip(NEXT) | instid1(VALU_DEP_2)
	v_cmp_ge_i32_e64 s5, v15, v25
	v_cmp_lt_i32_e64 s6, v14, v27
	s_delay_alu instid0(VALU_DEP_2)
	s_or_b32 s4, s5, s4
	s_delay_alu instid0(VALU_DEP_1) | instid1(SALU_CYCLE_1)
	s_and_b32 s4, s6, s4
	s_delay_alu instid0(SALU_CYCLE_1) | instskip(NEXT) | instid1(SALU_CYCLE_1)
	s_xor_b32 s5, s4, -1
	s_and_saveexec_b32 s6, s5
	s_delay_alu instid0(SALU_CYCLE_1)
	s_xor_b32 s5, exec_lo, s6
	s_cbranch_execz .LBB162_52
; %bb.51:
	v_lshl_add_u32 v10, v15, 3, v21
	ds_load_b64 v[10:11], v10 offset:8
.LBB162_52:
	s_or_saveexec_b32 s5, s5
	v_dual_mov_b32 v13, v7 :: v_dual_mov_b32 v12, v6
	s_xor_b32 exec_lo, exec_lo, s5
	s_cbranch_execz .LBB162_54
; %bb.53:
	s_waitcnt lgkmcnt(0)
	v_lshl_add_u32 v10, v14, 3, v21
	ds_load_b64 v[12:13], v10 offset:8
	v_dual_mov_b32 v11, v5 :: v_dual_mov_b32 v10, v4
.LBB162_54:
	s_or_b32 exec_lo, exec_lo, s5
	v_add_nc_u32_e32 v16, 1, v15
	v_add_nc_u32_e32 v17, 1, v14
	s_waitcnt lgkmcnt(0)
	v_cmp_lt_i64_e64 s5, v[12:13], v[10:11]
	s_delay_alu instid0(VALU_DEP_3) | instskip(NEXT) | instid1(VALU_DEP_3)
	v_cndmask_b32_e64 v29, v16, v15, s4
	v_cndmask_b32_e64 v28, v14, v17, s4
                                        ; implicit-def: $vgpr14_vgpr15
	s_delay_alu instid0(VALU_DEP_2) | instskip(NEXT) | instid1(VALU_DEP_2)
	v_cmp_ge_i32_e64 s6, v29, v25
	v_cmp_lt_i32_e64 s7, v28, v27
	s_delay_alu instid0(VALU_DEP_2)
	s_or_b32 s5, s6, s5
	s_delay_alu instid0(VALU_DEP_1) | instid1(SALU_CYCLE_1)
	s_and_b32 s5, s7, s5
	s_delay_alu instid0(SALU_CYCLE_1) | instskip(NEXT) | instid1(SALU_CYCLE_1)
	s_xor_b32 s6, s5, -1
	s_and_saveexec_b32 s7, s6
	s_delay_alu instid0(SALU_CYCLE_1)
	s_xor_b32 s6, exec_lo, s7
	s_cbranch_execz .LBB162_56
; %bb.55:
	v_lshl_add_u32 v14, v29, 3, v21
	ds_load_b64 v[14:15], v14 offset:8
.LBB162_56:
	s_or_saveexec_b32 s6, s6
	v_dual_mov_b32 v17, v13 :: v_dual_mov_b32 v16, v12
	s_xor_b32 exec_lo, exec_lo, s6
	s_cbranch_execz .LBB162_58
; %bb.57:
	s_waitcnt lgkmcnt(0)
	v_lshl_add_u32 v14, v28, 3, v21
	ds_load_b64 v[16:17], v14 offset:8
	v_dual_mov_b32 v15, v11 :: v_dual_mov_b32 v14, v10
.LBB162_58:
	s_or_b32 exec_lo, exec_lo, s6
	v_min_i32_e32 v26, 0, v19
	v_cndmask_b32_e64 v10, v10, v12, s5
	v_add_nc_u32_e32 v31, 1, v29
	v_cndmask_b32_e64 v11, v11, v13, s5
	v_add_nc_u32_e32 v30, 1, v28
	v_add_nc_u32_e32 v23, 32, v26
	v_cndmask_b32_e64 v13, v1, v3, s3
	v_cndmask_b32_e64 v1, v31, v29, s5
	v_cndmask_b32_e64 v7, v5, v7, s4
	v_cndmask_b32_e64 v6, v4, v6, s4
	v_min_i32_e32 v23, v19, v23
	s_delay_alu instid0(VALU_DEP_4) | instskip(NEXT) | instid1(VALU_DEP_2)
	v_cmp_ge_i32_e64 s4, v1, v25
	; wave barrier
	v_add_nc_u32_e32 v12, 32, v23
	v_sub_nc_u32_e32 v1, v23, v26
	s_delay_alu instid0(VALU_DEP_2)
	v_min_i32_e32 v24, v19, v12
	v_cndmask_b32_e64 v12, v0, v2, s3
	s_waitcnt lgkmcnt(0)
	v_cmp_lt_i64_e64 s3, v[16:17], v[14:15]
	v_min_i32_e32 v0, v19, v20
	v_cndmask_b32_e64 v2, v28, v30, s5
	v_sub_nc_u32_e32 v3, v24, v23
	s_delay_alu instid0(VALU_DEP_4) | instskip(NEXT) | instid1(VALU_DEP_2)
	s_or_b32 s4, s4, s3
	v_cmp_lt_i32_e64 s5, v2, v27
	s_delay_alu instid0(VALU_DEP_2) | instskip(SKIP_3) | instid1(VALU_DEP_3)
	v_sub_nc_u32_e32 v4, v0, v3
	v_cmp_ge_i32_e64 s3, v0, v3
	v_min_i32_e32 v2, v0, v1
	v_lshl_add_u32 v1, v26, 3, v21
	v_cndmask_b32_e64 v4, 0, v4, s3
	s_and_b32 s3, s5, s4
	s_mov_b32 s5, 0
	v_cndmask_b32_e64 v15, v15, v17, s3
	v_cndmask_b32_e64 v14, v14, v16, s3
	s_mov_b32 s4, exec_lo
	ds_store_2addr_b64 v22, v[12:13], v[6:7] offset1:1
	ds_store_2addr_b64 v22, v[10:11], v[14:15] offset0:2 offset1:3
	; wave barrier
	v_cmpx_lt_i32_e64 v4, v2
	s_cbranch_execz .LBB162_62
; %bb.59:
	v_lshlrev_b32_e32 v3, 3, v23
	v_lshlrev_b32_e32 v5, 3, v0
	s_delay_alu instid0(VALU_DEP_1)
	v_add3_u32 v3, v21, v3, v5
	.p2align	6
.LBB162_60:                             ; =>This Inner Loop Header: Depth=1
	v_sub_nc_u32_e32 v5, v2, v4
	s_delay_alu instid0(VALU_DEP_1) | instskip(NEXT) | instid1(VALU_DEP_1)
	v_lshrrev_b32_e32 v6, 31, v5
	v_add_nc_u32_e32 v5, v5, v6
	s_delay_alu instid0(VALU_DEP_1) | instskip(NEXT) | instid1(VALU_DEP_1)
	v_ashrrev_i32_e32 v5, 1, v5
	v_add_nc_u32_e32 v7, v5, v4
	s_delay_alu instid0(VALU_DEP_1) | instskip(SKIP_1) | instid1(VALU_DEP_2)
	v_not_b32_e32 v5, v7
	v_lshl_add_u32 v6, v7, 3, v1
	v_lshl_add_u32 v10, v5, 3, v3
	ds_load_b64 v[5:6], v6
	ds_load_b64 v[10:11], v10
	s_waitcnt lgkmcnt(0)
	v_cmp_lt_i64_e64 s3, v[10:11], v[5:6]
	v_add_nc_u32_e32 v5, 1, v7
	s_delay_alu instid0(VALU_DEP_2) | instskip(NEXT) | instid1(VALU_DEP_2)
	v_cndmask_b32_e64 v2, v2, v7, s3
	v_cndmask_b32_e64 v4, v5, v4, s3
	s_delay_alu instid0(VALU_DEP_1) | instskip(NEXT) | instid1(VALU_DEP_1)
	v_cmp_ge_i32_e64 s3, v4, v2
	s_or_b32 s5, s3, s5
	s_delay_alu instid0(SALU_CYCLE_1)
	s_and_not1_b32 exec_lo, exec_lo, s5
	s_cbranch_execnz .LBB162_60
; %bb.61:
	s_or_b32 exec_lo, exec_lo, s5
.LBB162_62:
	s_delay_alu instid0(SALU_CYCLE_1) | instskip(SKIP_3) | instid1(VALU_DEP_3)
	s_or_b32 exec_lo, exec_lo, s4
	v_add_nc_u32_e32 v0, v23, v0
	v_lshl_add_u32 v6, v4, 3, v1
	v_add_nc_u32_e32 v11, v4, v26
	v_sub_nc_u32_e32 v10, v0, v4
                                        ; implicit-def: $vgpr4_vgpr5
	s_delay_alu instid0(VALU_DEP_2) | instskip(NEXT) | instid1(VALU_DEP_2)
	v_cmp_le_i32_e64 s4, v23, v11
	v_lshl_add_u32 v12, v10, 3, v21
	v_cmp_gt_i32_e64 s5, v24, v10
	ds_load_b64 v[0:1], v6
	ds_load_b64 v[2:3], v12
	s_waitcnt lgkmcnt(0)
	v_cmp_lt_i64_e64 s3, v[2:3], v[0:1]
	s_delay_alu instid0(VALU_DEP_1) | instskip(NEXT) | instid1(SALU_CYCLE_1)
	s_or_b32 s3, s4, s3
	s_and_b32 s3, s5, s3
	s_delay_alu instid0(SALU_CYCLE_1) | instskip(NEXT) | instid1(SALU_CYCLE_1)
	s_xor_b32 s4, s3, -1
	s_and_saveexec_b32 s5, s4
	s_delay_alu instid0(SALU_CYCLE_1)
	s_xor_b32 s4, exec_lo, s5
	s_cbranch_execz .LBB162_64
; %bb.63:
	ds_load_b64 v[4:5], v6 offset:8
                                        ; implicit-def: $vgpr12
.LBB162_64:
	s_or_saveexec_b32 s4, s4
	v_dual_mov_b32 v7, v3 :: v_dual_mov_b32 v6, v2
	s_xor_b32 exec_lo, exec_lo, s4
	s_cbranch_execz .LBB162_66
; %bb.65:
	ds_load_b64 v[6:7], v12 offset:8
	s_waitcnt lgkmcnt(1)
	v_dual_mov_b32 v5, v1 :: v_dual_mov_b32 v4, v0
.LBB162_66:
	s_or_b32 exec_lo, exec_lo, s4
	v_add_nc_u32_e32 v12, 1, v11
	v_add_nc_u32_e32 v13, 1, v10
	s_waitcnt lgkmcnt(0)
	v_cmp_lt_i64_e64 s4, v[6:7], v[4:5]
	s_delay_alu instid0(VALU_DEP_3) | instskip(NEXT) | instid1(VALU_DEP_3)
	v_cndmask_b32_e64 v15, v12, v11, s3
	v_cndmask_b32_e64 v14, v10, v13, s3
                                        ; implicit-def: $vgpr10_vgpr11
	s_delay_alu instid0(VALU_DEP_2) | instskip(NEXT) | instid1(VALU_DEP_2)
	v_cmp_ge_i32_e64 s5, v15, v23
	v_cmp_lt_i32_e64 s6, v14, v24
	s_delay_alu instid0(VALU_DEP_2)
	s_or_b32 s4, s5, s4
	s_delay_alu instid0(VALU_DEP_1) | instid1(SALU_CYCLE_1)
	s_and_b32 s4, s6, s4
	s_delay_alu instid0(SALU_CYCLE_1) | instskip(NEXT) | instid1(SALU_CYCLE_1)
	s_xor_b32 s5, s4, -1
	s_and_saveexec_b32 s6, s5
	s_delay_alu instid0(SALU_CYCLE_1)
	s_xor_b32 s5, exec_lo, s6
	s_cbranch_execz .LBB162_68
; %bb.67:
	v_lshl_add_u32 v10, v15, 3, v21
	ds_load_b64 v[10:11], v10 offset:8
.LBB162_68:
	s_or_saveexec_b32 s5, s5
	v_dual_mov_b32 v13, v7 :: v_dual_mov_b32 v12, v6
	s_xor_b32 exec_lo, exec_lo, s5
	s_cbranch_execz .LBB162_70
; %bb.69:
	s_waitcnt lgkmcnt(0)
	v_lshl_add_u32 v10, v14, 3, v21
	ds_load_b64 v[12:13], v10 offset:8
	v_dual_mov_b32 v11, v5 :: v_dual_mov_b32 v10, v4
.LBB162_70:
	s_or_b32 exec_lo, exec_lo, s5
	v_add_nc_u32_e32 v16, 1, v15
	v_add_nc_u32_e32 v17, 1, v14
	s_waitcnt lgkmcnt(0)
	v_cmp_lt_i64_e64 s5, v[12:13], v[10:11]
                                        ; implicit-def: $vgpr20
	s_delay_alu instid0(VALU_DEP_3) | instskip(NEXT) | instid1(VALU_DEP_3)
	v_cndmask_b32_e64 v22, v16, v15, s4
	v_cndmask_b32_e64 v19, v14, v17, s4
                                        ; implicit-def: $vgpr14_vgpr15
	s_delay_alu instid0(VALU_DEP_2) | instskip(NEXT) | instid1(VALU_DEP_2)
	v_cmp_ge_i32_e64 s6, v22, v23
	v_cmp_lt_i32_e64 s7, v19, v24
	s_delay_alu instid0(VALU_DEP_2)
	s_or_b32 s5, s6, s5
	s_delay_alu instid0(VALU_DEP_1) | instid1(SALU_CYCLE_1)
	s_and_b32 s5, s7, s5
	s_delay_alu instid0(SALU_CYCLE_1) | instskip(NEXT) | instid1(SALU_CYCLE_1)
	s_xor_b32 s6, s5, -1
	s_and_saveexec_b32 s7, s6
	s_delay_alu instid0(SALU_CYCLE_1)
	s_xor_b32 s6, exec_lo, s7
	s_cbranch_execz .LBB162_72
; %bb.71:
	v_lshl_add_u32 v14, v22, 3, v21
	v_add_nc_u32_e32 v20, 1, v22
                                        ; implicit-def: $vgpr22
                                        ; implicit-def: $vgpr21
	ds_load_b64 v[14:15], v14 offset:8
.LBB162_72:
	s_or_saveexec_b32 s6, s6
	v_dual_mov_b32 v17, v13 :: v_dual_mov_b32 v16, v12
	s_xor_b32 exec_lo, exec_lo, s6
	s_cbranch_execz .LBB162_74
; %bb.73:
	s_waitcnt lgkmcnt(0)
	v_lshl_add_u32 v14, v19, 3, v21
	v_dual_mov_b32 v20, v22 :: v_dual_add_nc_u32 v19, 1, v19
	ds_load_b64 v[16:17], v14 offset:8
	v_dual_mov_b32 v15, v11 :: v_dual_mov_b32 v14, v10
.LBB162_74:
	s_or_b32 exec_lo, exec_lo, s6
	v_add_co_u32 v8, s6, s10, v8
	s_delay_alu instid0(VALU_DEP_1) | instskip(NEXT) | instid1(VALU_DEP_2)
	v_add_co_ci_u32_e64 v9, s6, s11, v9, s6
	v_add_co_u32 v8, s6, v8, v18
	s_delay_alu instid0(VALU_DEP_1)
	v_add_co_ci_u32_e64 v9, s6, 0, v9, s6
	s_and_saveexec_b32 s6, vcc_lo
	s_cbranch_execnz .LBB162_79
; %bb.75:
	s_or_b32 exec_lo, exec_lo, s6
	s_and_saveexec_b32 s3, s0
	s_cbranch_execnz .LBB162_80
.LBB162_76:
	s_or_b32 exec_lo, exec_lo, s3
	s_and_saveexec_b32 s0, s1
	s_cbranch_execnz .LBB162_81
.LBB162_77:
	s_or_b32 exec_lo, exec_lo, s0
	s_and_saveexec_b32 s0, s2
	s_cbranch_execnz .LBB162_82
.LBB162_78:
	s_nop 0
	s_sendmsg sendmsg(MSG_DEALLOC_VGPRS)
	s_endpgm
.LBB162_79:
	v_cndmask_b32_e64 v1, v1, v3, s3
	v_cndmask_b32_e64 v0, v0, v2, s3
	global_store_b64 v[8:9], v[0:1], off
	s_or_b32 exec_lo, exec_lo, s6
	s_and_saveexec_b32 s3, s0
	s_cbranch_execz .LBB162_76
.LBB162_80:
	v_cndmask_b32_e64 v1, v5, v7, s4
	v_cndmask_b32_e64 v0, v4, v6, s4
	global_store_b64 v[8:9], v[0:1], off offset:8
	s_or_b32 exec_lo, exec_lo, s3
	s_and_saveexec_b32 s0, s1
	s_cbranch_execz .LBB162_77
.LBB162_81:
	v_cndmask_b32_e64 v1, v11, v13, s5
	v_cndmask_b32_e64 v0, v10, v12, s5
	global_store_b64 v[8:9], v[0:1], off offset:16
	s_or_b32 exec_lo, exec_lo, s0
	s_and_saveexec_b32 s0, s2
	s_cbranch_execz .LBB162_78
.LBB162_82:
	s_waitcnt lgkmcnt(0)
	v_cmp_lt_i64_e32 vcc_lo, v[16:17], v[14:15]
	v_cmp_ge_i32_e64 s0, v20, v23
	v_cmp_lt_i32_e64 s1, v19, v24
	s_delay_alu instid0(VALU_DEP_2)
	s_or_b32 s0, s0, vcc_lo
	s_delay_alu instid0(VALU_DEP_1) | instid1(SALU_CYCLE_1)
	s_and_b32 vcc_lo, s1, s0
	v_dual_cndmask_b32 v1, v15, v17 :: v_dual_cndmask_b32 v0, v14, v16
	global_store_b64 v[8:9], v[0:1], off offset:24
	s_nop 0
	s_sendmsg sendmsg(MSG_DEALLOC_VGPRS)
	s_endpgm
	.section	.rodata,"a",@progbits
	.p2align	6, 0x0
	.amdhsa_kernel _Z19sort_keys_segmentedILj256ELj16ELj4ExN10test_utils4lessEEvPKT2_PS2_PKjT3_
		.amdhsa_group_segment_fixed_size 8320
		.amdhsa_private_segment_fixed_size 0
		.amdhsa_kernarg_size 28
		.amdhsa_user_sgpr_count 15
		.amdhsa_user_sgpr_dispatch_ptr 0
		.amdhsa_user_sgpr_queue_ptr 0
		.amdhsa_user_sgpr_kernarg_segment_ptr 1
		.amdhsa_user_sgpr_dispatch_id 0
		.amdhsa_user_sgpr_private_segment_size 0
		.amdhsa_wavefront_size32 1
		.amdhsa_uses_dynamic_stack 0
		.amdhsa_enable_private_segment 0
		.amdhsa_system_sgpr_workgroup_id_x 1
		.amdhsa_system_sgpr_workgroup_id_y 0
		.amdhsa_system_sgpr_workgroup_id_z 0
		.amdhsa_system_sgpr_workgroup_info 0
		.amdhsa_system_vgpr_workitem_id 0
		.amdhsa_next_free_vgpr 33
		.amdhsa_next_free_sgpr 16
		.amdhsa_reserve_vcc 1
		.amdhsa_float_round_mode_32 0
		.amdhsa_float_round_mode_16_64 0
		.amdhsa_float_denorm_mode_32 3
		.amdhsa_float_denorm_mode_16_64 3
		.amdhsa_dx10_clamp 1
		.amdhsa_ieee_mode 1
		.amdhsa_fp16_overflow 0
		.amdhsa_workgroup_processor_mode 1
		.amdhsa_memory_ordered 1
		.amdhsa_forward_progress 0
		.amdhsa_shared_vgpr_count 0
		.amdhsa_exception_fp_ieee_invalid_op 0
		.amdhsa_exception_fp_denorm_src 0
		.amdhsa_exception_fp_ieee_div_zero 0
		.amdhsa_exception_fp_ieee_overflow 0
		.amdhsa_exception_fp_ieee_underflow 0
		.amdhsa_exception_fp_ieee_inexact 0
		.amdhsa_exception_int_div_zero 0
	.end_amdhsa_kernel
	.section	.text._Z19sort_keys_segmentedILj256ELj16ELj4ExN10test_utils4lessEEvPKT2_PS2_PKjT3_,"axG",@progbits,_Z19sort_keys_segmentedILj256ELj16ELj4ExN10test_utils4lessEEvPKT2_PS2_PKjT3_,comdat
.Lfunc_end162:
	.size	_Z19sort_keys_segmentedILj256ELj16ELj4ExN10test_utils4lessEEvPKT2_PS2_PKjT3_, .Lfunc_end162-_Z19sort_keys_segmentedILj256ELj16ELj4ExN10test_utils4lessEEvPKT2_PS2_PKjT3_
                                        ; -- End function
	.section	.AMDGPU.csdata,"",@progbits
; Kernel info:
; codeLenInByte = 4600
; NumSgprs: 18
; NumVgprs: 33
; ScratchSize: 0
; MemoryBound: 1
; FloatMode: 240
; IeeeMode: 1
; LDSByteSize: 8320 bytes/workgroup (compile time only)
; SGPRBlocks: 2
; VGPRBlocks: 4
; NumSGPRsForWavesPerEU: 18
; NumVGPRsForWavesPerEU: 33
; Occupancy: 16
; WaveLimiterHint : 0
; COMPUTE_PGM_RSRC2:SCRATCH_EN: 0
; COMPUTE_PGM_RSRC2:USER_SGPR: 15
; COMPUTE_PGM_RSRC2:TRAP_HANDLER: 0
; COMPUTE_PGM_RSRC2:TGID_X_EN: 1
; COMPUTE_PGM_RSRC2:TGID_Y_EN: 0
; COMPUTE_PGM_RSRC2:TGID_Z_EN: 0
; COMPUTE_PGM_RSRC2:TIDIG_COMP_CNT: 0
	.section	.text._Z20sort_pairs_segmentedILj256ELj16ELj4ExN10test_utils4lessEEvPKT2_PS2_PKjT3_,"axG",@progbits,_Z20sort_pairs_segmentedILj256ELj16ELj4ExN10test_utils4lessEEvPKT2_PS2_PKjT3_,comdat
	.protected	_Z20sort_pairs_segmentedILj256ELj16ELj4ExN10test_utils4lessEEvPKT2_PS2_PKjT3_ ; -- Begin function _Z20sort_pairs_segmentedILj256ELj16ELj4ExN10test_utils4lessEEvPKT2_PS2_PKjT3_
	.globl	_Z20sort_pairs_segmentedILj256ELj16ELj4ExN10test_utils4lessEEvPKT2_PS2_PKjT3_
	.p2align	8
	.type	_Z20sort_pairs_segmentedILj256ELj16ELj4ExN10test_utils4lessEEvPKT2_PS2_PKjT3_,@function
_Z20sort_pairs_segmentedILj256ELj16ELj4ExN10test_utils4lessEEvPKT2_PS2_PKjT3_: ; @_Z20sort_pairs_segmentedILj256ELj16ELj4ExN10test_utils4lessEEvPKT2_PS2_PKjT3_
; %bb.0:
	s_clause 0x1
	s_load_b64 s[2:3], s[0:1], 0x10
	s_load_b128 s[8:11], s[0:1], 0x0
	v_lshrrev_b32_e32 v36, 4, v0
	s_delay_alu instid0(VALU_DEP_1) | instskip(SKIP_1) | instid1(VALU_DEP_1)
	v_lshl_or_b32 v0, s15, 4, v36
	v_mov_b32_e32 v1, 0
	v_lshlrev_b64 v[2:3], 2, v[0:1]
	v_lshlrev_b32_e32 v0, 6, v0
	s_delay_alu instid0(VALU_DEP_1) | instskip(SKIP_1) | instid1(VALU_DEP_3)
	v_lshlrev_b64 v[18:19], 3, v[0:1]
	s_waitcnt lgkmcnt(0)
	v_add_co_u32 v2, vcc_lo, s2, v2
	s_delay_alu instid0(VALU_DEP_4) | instskip(NEXT) | instid1(VALU_DEP_3)
	v_add_co_ci_u32_e32 v3, vcc_lo, s3, v3, vcc_lo
	v_add_co_u32 v0, vcc_lo, s8, v18
	global_load_b32 v33, v[2:3], off
	v_mbcnt_lo_u32_b32 v2, -1, 0
	v_add_co_ci_u32_e32 v1, vcc_lo, s9, v19, vcc_lo
	s_delay_alu instid0(VALU_DEP_2) | instskip(NEXT) | instid1(VALU_DEP_1)
	v_lshlrev_b32_e32 v35, 2, v2
	v_and_b32_e32 v34, 60, v35
	s_delay_alu instid0(VALU_DEP_1) | instskip(NEXT) | instid1(VALU_DEP_1)
	v_lshlrev_b32_e32 v32, 3, v34
	v_add_co_u32 v8, vcc_lo, v0, v32
	v_add_co_ci_u32_e32 v9, vcc_lo, 0, v1, vcc_lo
                                        ; implicit-def: $vgpr0_vgpr1_vgpr2_vgpr3_vgpr4_vgpr5_vgpr6_vgpr7
	s_waitcnt vmcnt(0)
	v_cmp_lt_u32_e32 vcc_lo, v34, v33
	s_and_saveexec_b32 s0, vcc_lo
	s_cbranch_execz .LBB163_2
; %bb.1:
	global_load_b64 v[0:1], v[8:9], off
.LBB163_2:
	s_or_b32 exec_lo, exec_lo, s0
	v_or_b32_e32 v12, 1, v34
	s_delay_alu instid0(VALU_DEP_1) | instskip(NEXT) | instid1(VALU_DEP_1)
	v_cmp_lt_u32_e64 s0, v12, v33
	s_and_saveexec_b32 s1, s0
	s_cbranch_execz .LBB163_4
; %bb.3:
	global_load_b64 v[2:3], v[8:9], off offset:8
.LBB163_4:
	s_or_b32 exec_lo, exec_lo, s1
	v_or_b32_e32 v10, 2, v34
	s_delay_alu instid0(VALU_DEP_1) | instskip(NEXT) | instid1(VALU_DEP_1)
	v_cmp_lt_u32_e64 s1, v10, v33
	s_and_saveexec_b32 s2, s1
	s_cbranch_execz .LBB163_6
; %bb.5:
	global_load_b64 v[4:5], v[8:9], off offset:16
.LBB163_6:
	;; [unrolled: 9-line block ×3, first 2 shown]
	s_or_b32 exec_lo, exec_lo, s3
	s_waitcnt vmcnt(0)
	v_add_co_u32 v20, s3, v0, 1
	s_delay_alu instid0(VALU_DEP_1) | instskip(SKIP_1) | instid1(VALU_DEP_1)
	v_add_co_ci_u32_e64 v21, s3, 0, v1, s3
	v_add_co_u32 v22, s3, v2, 1
	v_add_co_ci_u32_e64 v23, s3, 0, v3, s3
	v_add_co_u32 v24, s3, v4, 1
	s_delay_alu instid0(VALU_DEP_1)
	v_add_co_ci_u32_e64 v25, s3, 0, v5, s3
	v_cmp_lt_i32_e64 s3, v10, v33
	v_add_co_u32 v10, s5, v6, 1
	v_cmp_lt_i32_e64 s4, v11, v33
	v_add_co_ci_u32_e64 v11, s5, 0, v7, s5
	v_cmp_lt_i32_e64 s5, v12, v33
	s_mov_b32 s6, exec_lo
	s_delay_alu instid0(VALU_DEP_3)
	s_or_b32 s3, s4, s3
	v_cndmask_b32_e64 v9, 0x7fffffff, v7, s4
	v_cndmask_b32_e64 v27, 0x7fffffff, v5, s3
	v_cndmask_b32_e64 v26, -1, v4, s3
	s_or_b32 s3, s3, s5
	v_cndmask_b32_e64 v8, -1, v6, s4
	v_cndmask_b32_e64 v3, 0x7fffffff, v3, s3
	v_cndmask_b32_e64 v2, -1, v2, s3
	v_cmpx_lt_i32_e64 v34, v33
	s_cbranch_execz .LBB163_18
; %bb.9:
	s_delay_alu instid0(VALU_DEP_2) | instskip(SKIP_3) | instid1(VALU_DEP_3)
	v_cmp_lt_i64_e64 s3, v[2:3], v[0:1]
	v_dual_mov_b32 v29, v11 :: v_dual_mov_b32 v28, v10
	v_dual_mov_b32 v6, v26 :: v_dual_mov_b32 v7, v27
	s_mov_b32 s5, exec_lo
	v_cndmask_b32_e64 v5, v3, v1, s3
	v_cndmask_b32_e64 v4, v2, v0, s3
	;; [unrolled: 1-line block ×4, first 2 shown]
	v_cmpx_lt_i64_e64 v[8:9], v[26:27]
; %bb.10:
	v_dual_mov_b32 v0, v26 :: v_dual_mov_b32 v1, v27
	v_dual_mov_b32 v29, v25 :: v_dual_mov_b32 v28, v24
	;; [unrolled: 1-line block ×6, first 2 shown]
; %bb.11:
	s_or_b32 exec_lo, exec_lo, s5
	s_delay_alu instid0(VALU_DEP_3) | instskip(NEXT) | instid1(VALU_DEP_2)
	v_cmp_lt_i64_e64 s4, v[26:27], v[4:5]
	v_dual_mov_b32 v17, v9 :: v_dual_mov_b32 v16, v8
	v_cndmask_b32_e64 v31, v23, v21, s3
	v_cndmask_b32_e64 v30, v22, v20, s3
	v_dual_mov_b32 v15, v7 :: v_dual_mov_b32 v14, v6
	v_dual_mov_b32 v13, v5 :: v_dual_mov_b32 v12, v4
	;; [unrolled: 1-line block ×4, first 2 shown]
	s_and_saveexec_b32 s5, s4
	s_delay_alu instid0(SALU_CYCLE_1)
	s_xor_b32 s4, exec_lo, s5
; %bb.12:
	v_dual_mov_b32 v17, v9 :: v_dual_mov_b32 v16, v8
	s_delay_alu instid0(VALU_DEP_2)
	v_dual_mov_b32 v15, v7 :: v_dual_mov_b32 v14, v6
	v_dual_mov_b32 v13, v5 :: v_dual_mov_b32 v12, v4
	;; [unrolled: 1-line block ×9, first 2 shown]
; %bb.13:
	s_or_b32 exec_lo, exec_lo, s4
	s_delay_alu instid0(VALU_DEP_1) | instskip(SKIP_3) | instid1(VALU_DEP_3)
	v_cmp_lt_i64_e64 s4, v[4:5], v[2:3]
	v_dual_mov_b32 v8, v16 :: v_dual_mov_b32 v9, v17
	v_dual_mov_b32 v27, v15 :: v_dual_mov_b32 v26, v14
	s_mov_b32 s7, exec_lo
	v_cndmask_b32_e64 v3, v13, v11, s4
	v_cndmask_b32_e64 v2, v12, v10, s4
	;; [unrolled: 1-line block ×4, first 2 shown]
	v_dual_mov_b32 v10, v28 :: v_dual_mov_b32 v11, v29
	v_cmpx_lt_i64_e64 v[16:17], v[14:15]
; %bb.14:
	v_dual_mov_b32 v4, v14 :: v_dual_mov_b32 v5, v15
	v_dual_mov_b32 v11, v7 :: v_dual_mov_b32 v10, v6
	;; [unrolled: 1-line block ×6, first 2 shown]
; %bb.15:
	s_or_b32 exec_lo, exec_lo, s7
	v_cndmask_b32_e64 v12, v21, v23, s3
	v_cndmask_b32_e64 v13, v20, v22, s3
	s_delay_alu instid0(VALU_DEP_2) | instskip(NEXT) | instid1(VALU_DEP_2)
	v_cndmask_b32_e64 v5, v31, v12, s4
	v_cndmask_b32_e64 v4, v30, v13, s4
	;; [unrolled: 1-line block ×4, first 2 shown]
	s_mov_b32 s4, exec_lo
	s_delay_alu instid0(VALU_DEP_3)
	v_dual_mov_b32 v23, v5 :: v_dual_mov_b32 v22, v4
	v_cmpx_lt_i64_e64 v[14:15], v[2:3]
; %bb.16:
	v_dual_mov_b32 v27, v3 :: v_dual_mov_b32 v26, v2
	v_dual_mov_b32 v2, v14 :: v_dual_mov_b32 v3, v15
	;; [unrolled: 1-line block ×4, first 2 shown]
; %bb.17:
	s_or_b32 exec_lo, exec_lo, s4
	s_delay_alu instid0(VALU_DEP_1)
	v_dual_mov_b32 v25, v7 :: v_dual_mov_b32 v24, v6
.LBB163_18:
	s_or_b32 exec_lo, exec_lo, s6
	v_dual_mov_b32 v15, v8 :: v_dual_and_b32 v4, 56, v35
	v_and_b32_e32 v6, 4, v35
	v_mul_u32_u24_e32 v30, 0x208, v36
	v_mad_u32_u24 v31, 0x208, v36, v32
	s_delay_alu instid0(VALU_DEP_4) | instskip(SKIP_3) | instid1(VALU_DEP_2)
	v_min_i32_e32 v7, v33, v4
	s_mov_b32 s5, 0
	v_min_i32_e32 v6, v33, v6
	s_mov_b32 s4, exec_lo
	v_add_nc_u32_e32 v4, 4, v7
	v_lshlrev_b32_e32 v17, 3, v7
	; wave barrier
	v_mov_b32_e32 v16, v9
	ds_store_2addr_b64 v31, v[0:1], v[2:3] offset1:1
	ds_store_2addr_b64 v31, v[26:27], v[15:16] offset0:2 offset1:3
	v_min_i32_e32 v4, v33, v4
	v_mad_u32_u24 v8, 0x208, v36, v17
	; wave barrier
	s_delay_alu instid0(VALU_DEP_2) | instskip(SKIP_1) | instid1(VALU_DEP_2)
	v_add_nc_u32_e32 v5, 4, v4
	v_sub_nc_u32_e32 v12, v4, v7
	v_min_i32_e32 v5, v33, v5
	s_delay_alu instid0(VALU_DEP_2) | instskip(NEXT) | instid1(VALU_DEP_2)
	v_min_i32_e32 v12, v6, v12
	v_sub_nc_u32_e32 v13, v5, v4
	s_delay_alu instid0(VALU_DEP_1) | instskip(SKIP_1) | instid1(VALU_DEP_1)
	v_sub_nc_u32_e32 v14, v6, v13
	v_cmp_ge_i32_e64 s3, v6, v13
	v_cndmask_b32_e64 v14, 0, v14, s3
	s_delay_alu instid0(VALU_DEP_1)
	v_cmpx_lt_i32_e64 v14, v12
	s_cbranch_execz .LBB163_22
; %bb.19:
	v_lshlrev_b32_e32 v0, 3, v4
	v_lshlrev_b32_e32 v1, 3, v6
	s_delay_alu instid0(VALU_DEP_1)
	v_add3_u32 v0, v30, v0, v1
	.p2align	6
.LBB163_20:                             ; =>This Inner Loop Header: Depth=1
	v_sub_nc_u32_e32 v1, v12, v14
	s_delay_alu instid0(VALU_DEP_1) | instskip(NEXT) | instid1(VALU_DEP_1)
	v_lshrrev_b32_e32 v2, 31, v1
	v_add_nc_u32_e32 v1, v1, v2
	s_delay_alu instid0(VALU_DEP_1) | instskip(NEXT) | instid1(VALU_DEP_1)
	v_ashrrev_i32_e32 v1, 1, v1
	v_add_nc_u32_e32 v3, v1, v14
	s_delay_alu instid0(VALU_DEP_1) | instskip(SKIP_1) | instid1(VALU_DEP_2)
	v_not_b32_e32 v1, v3
	v_lshl_add_u32 v2, v3, 3, v8
	v_lshl_add_u32 v9, v1, 3, v0
	ds_load_b64 v[1:2], v2
	ds_load_b64 v[15:16], v9
	s_waitcnt lgkmcnt(0)
	v_cmp_lt_i64_e64 s3, v[15:16], v[1:2]
	v_add_nc_u32_e32 v1, 1, v3
	s_delay_alu instid0(VALU_DEP_2) | instskip(NEXT) | instid1(VALU_DEP_2)
	v_cndmask_b32_e64 v12, v12, v3, s3
	v_cndmask_b32_e64 v14, v1, v14, s3
	s_delay_alu instid0(VALU_DEP_1) | instskip(NEXT) | instid1(VALU_DEP_1)
	v_cmp_ge_i32_e64 s3, v14, v12
	s_or_b32 s5, s3, s5
	s_delay_alu instid0(SALU_CYCLE_1)
	s_and_not1_b32 exec_lo, exec_lo, s5
	s_cbranch_execnz .LBB163_20
; %bb.21:
	s_or_b32 exec_lo, exec_lo, s5
.LBB163_22:
	s_delay_alu instid0(SALU_CYCLE_1) | instskip(SKIP_3) | instid1(VALU_DEP_3)
	s_or_b32 exec_lo, exec_lo, s4
	v_add_nc_u32_e32 v0, v4, v6
	v_lshl_add_u32 v1, v14, 3, v8
	v_add_nc_u32_e32 v7, v14, v7
	v_sub_nc_u32_e32 v6, v0, v14
                                        ; implicit-def: $vgpr14_vgpr15
	s_delay_alu instid0(VALU_DEP_2) | instskip(NEXT) | instid1(VALU_DEP_2)
	v_cmp_le_i32_e64 s4, v4, v7
	v_lshl_add_u32 v0, v6, 3, v30
	v_cmp_gt_i32_e64 s5, v5, v6
	ds_load_b64 v[8:9], v1
	ds_load_b64 v[12:13], v0
	s_waitcnt lgkmcnt(0)
	v_cmp_lt_i64_e64 s3, v[12:13], v[8:9]
	s_delay_alu instid0(VALU_DEP_1) | instskip(NEXT) | instid1(SALU_CYCLE_1)
	s_or_b32 s3, s4, s3
	s_and_b32 s3, s5, s3
	s_delay_alu instid0(SALU_CYCLE_1) | instskip(NEXT) | instid1(SALU_CYCLE_1)
	s_xor_b32 s4, s3, -1
	s_and_saveexec_b32 s5, s4
	s_delay_alu instid0(SALU_CYCLE_1)
	s_xor_b32 s4, exec_lo, s5
	s_cbranch_execz .LBB163_24
; %bb.23:
	ds_load_b64 v[14:15], v1 offset:8
                                        ; implicit-def: $vgpr0
.LBB163_24:
	s_or_saveexec_b32 s4, s4
	v_dual_mov_b32 v17, v13 :: v_dual_mov_b32 v16, v12
	s_xor_b32 exec_lo, exec_lo, s4
	s_cbranch_execz .LBB163_26
; %bb.25:
	ds_load_b64 v[16:17], v0 offset:8
	s_waitcnt lgkmcnt(1)
	v_dual_mov_b32 v15, v9 :: v_dual_mov_b32 v14, v8
.LBB163_26:
	s_or_b32 exec_lo, exec_lo, s4
	v_add_nc_u32_e32 v0, 1, v7
	v_add_nc_u32_e32 v1, 1, v6
	s_waitcnt lgkmcnt(0)
	v_cmp_lt_i64_e64 s4, v[16:17], v[14:15]
	s_delay_alu instid0(VALU_DEP_3) | instskip(NEXT) | instid1(VALU_DEP_3)
	v_cndmask_b32_e64 v36, v0, v7, s3
	v_cndmask_b32_e64 v37, v6, v1, s3
                                        ; implicit-def: $vgpr0_vgpr1
	s_delay_alu instid0(VALU_DEP_2) | instskip(NEXT) | instid1(VALU_DEP_2)
	v_cmp_ge_i32_e64 s5, v36, v4
	v_cmp_lt_i32_e64 s6, v37, v5
	s_delay_alu instid0(VALU_DEP_2)
	s_or_b32 s4, s5, s4
	s_delay_alu instid0(VALU_DEP_1) | instid1(SALU_CYCLE_1)
	s_and_b32 s4, s6, s4
	s_delay_alu instid0(SALU_CYCLE_1) | instskip(NEXT) | instid1(SALU_CYCLE_1)
	s_xor_b32 s5, s4, -1
	s_and_saveexec_b32 s6, s5
	s_delay_alu instid0(SALU_CYCLE_1)
	s_xor_b32 s5, exec_lo, s6
	s_cbranch_execz .LBB163_28
; %bb.27:
	v_lshl_add_u32 v0, v36, 3, v30
	ds_load_b64 v[0:1], v0 offset:8
.LBB163_28:
	s_or_saveexec_b32 s5, s5
	v_dual_mov_b32 v2, v16 :: v_dual_mov_b32 v3, v17
	s_xor_b32 exec_lo, exec_lo, s5
	s_cbranch_execz .LBB163_30
; %bb.29:
	s_waitcnt lgkmcnt(0)
	v_lshl_add_u32 v0, v37, 3, v30
	ds_load_b64 v[2:3], v0 offset:8
	v_dual_mov_b32 v0, v14 :: v_dual_mov_b32 v1, v15
.LBB163_30:
	s_or_b32 exec_lo, exec_lo, s5
	v_add_nc_u32_e32 v26, 1, v36
	v_add_nc_u32_e32 v27, 1, v37
	s_waitcnt lgkmcnt(0)
	v_cmp_lt_i64_e64 s5, v[2:3], v[0:1]
	s_delay_alu instid0(VALU_DEP_3) | instskip(NEXT) | instid1(VALU_DEP_3)
	v_cndmask_b32_e64 v38, v26, v36, s4
	v_cndmask_b32_e64 v39, v37, v27, s4
                                        ; implicit-def: $vgpr26_vgpr27
	s_delay_alu instid0(VALU_DEP_2) | instskip(NEXT) | instid1(VALU_DEP_2)
	v_cmp_ge_i32_e64 s6, v38, v4
	v_cmp_lt_i32_e64 s7, v39, v5
	s_delay_alu instid0(VALU_DEP_2)
	s_or_b32 s5, s6, s5
	s_delay_alu instid0(VALU_DEP_1) | instid1(SALU_CYCLE_1)
	s_and_b32 s5, s7, s5
	s_delay_alu instid0(SALU_CYCLE_1) | instskip(NEXT) | instid1(SALU_CYCLE_1)
	s_xor_b32 s6, s5, -1
	s_and_saveexec_b32 s7, s6
	s_delay_alu instid0(SALU_CYCLE_1)
	s_xor_b32 s6, exec_lo, s7
	s_cbranch_execz .LBB163_32
; %bb.31:
	v_lshl_add_u32 v26, v38, 3, v30
	ds_load_b64 v[26:27], v26 offset:8
.LBB163_32:
	s_or_saveexec_b32 s6, s6
	v_dual_mov_b32 v29, v3 :: v_dual_mov_b32 v28, v2
	s_xor_b32 exec_lo, exec_lo, s6
	s_cbranch_execz .LBB163_34
; %bb.33:
	s_waitcnt lgkmcnt(0)
	v_lshl_add_u32 v26, v39, 3, v30
	ds_load_b64 v[28:29], v26 offset:8
	v_dual_mov_b32 v27, v1 :: v_dual_mov_b32 v26, v0
.LBB163_34:
	s_or_b32 exec_lo, exec_lo, s6
	v_add_nc_u32_e32 v40, 1, v38
	v_and_b32_e32 v43, 48, v35
	v_add_nc_u32_e32 v44, 1, v39
	v_cndmask_b32_e64 v41, v0, v2, s5
	v_cndmask_b32_e64 v42, v1, v3, s5
	;; [unrolled: 1-line block ×3, first 2 shown]
	v_min_i32_e32 v40, v33, v43
	v_cndmask_b32_e64 v1, v39, v44, s5
	v_cndmask_b32_e64 v2, v38, v39, s5
	s_waitcnt lgkmcnt(0)
	v_cmp_lt_i64_e64 s5, v[28:29], v[26:27]
	v_cmp_ge_i32_e64 s6, v0, v4
	v_add_nc_u32_e32 v3, 8, v40
	v_cmp_lt_i32_e64 s7, v1, v5
	v_cndmask_b32_e64 v4, v36, v37, s4
	v_cndmask_b32_e64 v5, v7, v6, s3
	s_or_b32 s5, s6, s5
	v_min_i32_e32 v36, v33, v3
	s_and_b32 s5, s7, s5
	v_lshl_add_u32 v4, v4, 3, v30
	v_cndmask_b32_e64 v0, v0, v1, s5
	v_lshl_add_u32 v3, v5, 3, v30
	v_add_nc_u32_e32 v1, 8, v36
	v_and_b32_e32 v5, 12, v35
	v_lshl_add_u32 v2, v2, 3, v30
	v_lshl_add_u32 v6, v0, 3, v30
	v_cndmask_b32_e64 v29, v27, v29, s5
	; wave barrier
	ds_store_2addr_b64 v31, v[20:21], v[22:23] offset1:1
	ds_store_2addr_b64 v31, v[24:25], v[10:11] offset0:2 offset1:3
	; wave barrier
	v_min_i32_e32 v27, v33, v1
	v_min_i32_e32 v10, v33, v5
	ds_load_b64 v[0:1], v3
	ds_load_b64 v[4:5], v4
	;; [unrolled: 1-line block ×4, first 2 shown]
	v_cndmask_b32_e64 v15, v15, v17, s4
	v_cndmask_b32_e64 v14, v14, v16, s4
	v_sub_nc_u32_e32 v11, v27, v36
	v_sub_nc_u32_e32 v21, v36, v40
	v_cndmask_b32_e64 v17, v9, v13, s3
	v_cndmask_b32_e64 v16, v8, v12, s3
	v_lshl_add_u32 v8, v40, 3, v30
	v_sub_nc_u32_e32 v20, v10, v11
	v_cmp_ge_i32_e64 s3, v10, v11
	v_min_i32_e32 v9, v10, v21
	v_cndmask_b32_e64 v28, v26, v28, s5
	s_mov_b32 s5, 0
	s_mov_b32 s4, exec_lo
	v_cndmask_b32_e64 v12, 0, v20, s3
	; wave barrier
	ds_store_2addr_b64 v31, v[16:17], v[14:15] offset1:1
	ds_store_2addr_b64 v31, v[41:42], v[28:29] offset0:2 offset1:3
	; wave barrier
	v_cmpx_lt_i32_e64 v12, v9
	s_cbranch_execz .LBB163_38
; %bb.35:
	v_lshlrev_b32_e32 v11, 3, v36
	v_lshlrev_b32_e32 v13, 3, v10
	s_delay_alu instid0(VALU_DEP_1)
	v_add3_u32 v11, v30, v11, v13
	.p2align	6
.LBB163_36:                             ; =>This Inner Loop Header: Depth=1
	v_sub_nc_u32_e32 v13, v9, v12
	s_delay_alu instid0(VALU_DEP_1) | instskip(NEXT) | instid1(VALU_DEP_1)
	v_lshrrev_b32_e32 v14, 31, v13
	v_add_nc_u32_e32 v13, v13, v14
	s_delay_alu instid0(VALU_DEP_1) | instskip(NEXT) | instid1(VALU_DEP_1)
	v_ashrrev_i32_e32 v13, 1, v13
	v_add_nc_u32_e32 v17, v13, v12
	s_delay_alu instid0(VALU_DEP_1) | instskip(SKIP_1) | instid1(VALU_DEP_2)
	v_not_b32_e32 v13, v17
	v_lshl_add_u32 v14, v17, 3, v8
	v_lshl_add_u32 v15, v13, 3, v11
	ds_load_b64 v[13:14], v14
	ds_load_b64 v[15:16], v15
	s_waitcnt lgkmcnt(0)
	v_cmp_lt_i64_e64 s3, v[15:16], v[13:14]
	v_add_nc_u32_e32 v13, 1, v17
	s_delay_alu instid0(VALU_DEP_2) | instskip(NEXT) | instid1(VALU_DEP_2)
	v_cndmask_b32_e64 v9, v9, v17, s3
	v_cndmask_b32_e64 v12, v13, v12, s3
	s_delay_alu instid0(VALU_DEP_1) | instskip(NEXT) | instid1(VALU_DEP_1)
	v_cmp_ge_i32_e64 s3, v12, v9
	s_or_b32 s5, s3, s5
	s_delay_alu instid0(SALU_CYCLE_1)
	s_and_not1_b32 exec_lo, exec_lo, s5
	s_cbranch_execnz .LBB163_36
; %bb.37:
	s_or_b32 exec_lo, exec_lo, s5
.LBB163_38:
	s_delay_alu instid0(SALU_CYCLE_1) | instskip(SKIP_3) | instid1(VALU_DEP_3)
	s_or_b32 exec_lo, exec_lo, s4
	v_add_nc_u32_e32 v9, v36, v10
	v_lshl_add_u32 v14, v12, 3, v8
	v_add_nc_u32_e32 v28, v12, v40
	v_sub_nc_u32_e32 v26, v9, v12
                                        ; implicit-def: $vgpr12_vgpr13
	s_delay_alu instid0(VALU_DEP_2) | instskip(NEXT) | instid1(VALU_DEP_2)
	v_cmp_le_i32_e64 s4, v36, v28
	v_lshl_add_u32 v16, v26, 3, v30
	v_cmp_gt_i32_e64 s5, v27, v26
	ds_load_b64 v[8:9], v14
	ds_load_b64 v[10:11], v16
	s_waitcnt lgkmcnt(0)
	v_cmp_lt_i64_e64 s3, v[10:11], v[8:9]
	s_delay_alu instid0(VALU_DEP_1) | instskip(NEXT) | instid1(SALU_CYCLE_1)
	s_or_b32 s3, s4, s3
	s_and_b32 s3, s5, s3
	s_delay_alu instid0(SALU_CYCLE_1) | instskip(NEXT) | instid1(SALU_CYCLE_1)
	s_xor_b32 s4, s3, -1
	s_and_saveexec_b32 s5, s4
	s_delay_alu instid0(SALU_CYCLE_1)
	s_xor_b32 s4, exec_lo, s5
	s_cbranch_execz .LBB163_40
; %bb.39:
	ds_load_b64 v[12:13], v14 offset:8
                                        ; implicit-def: $vgpr16
.LBB163_40:
	s_or_saveexec_b32 s4, s4
	v_dual_mov_b32 v15, v11 :: v_dual_mov_b32 v14, v10
	s_xor_b32 exec_lo, exec_lo, s4
	s_cbranch_execz .LBB163_42
; %bb.41:
	ds_load_b64 v[14:15], v16 offset:8
	s_waitcnt lgkmcnt(1)
	v_dual_mov_b32 v13, v9 :: v_dual_mov_b32 v12, v8
.LBB163_42:
	s_or_b32 exec_lo, exec_lo, s4
	v_add_nc_u32_e32 v16, 1, v28
	v_add_nc_u32_e32 v17, 1, v26
	s_waitcnt lgkmcnt(0)
	v_cmp_lt_i64_e64 s4, v[14:15], v[12:13]
                                        ; implicit-def: $vgpr20_vgpr21
	s_delay_alu instid0(VALU_DEP_3) | instskip(NEXT) | instid1(VALU_DEP_3)
	v_cndmask_b32_e64 v29, v16, v28, s3
	v_cndmask_b32_e64 v37, v26, v17, s3
	s_delay_alu instid0(VALU_DEP_2) | instskip(NEXT) | instid1(VALU_DEP_2)
	v_cmp_ge_i32_e64 s5, v29, v36
	v_cmp_lt_i32_e64 s6, v37, v27
	s_delay_alu instid0(VALU_DEP_2)
	s_or_b32 s4, s5, s4
	s_delay_alu instid0(VALU_DEP_1) | instid1(SALU_CYCLE_1)
	s_and_b32 s4, s6, s4
	s_delay_alu instid0(SALU_CYCLE_1) | instskip(NEXT) | instid1(SALU_CYCLE_1)
	s_xor_b32 s5, s4, -1
	s_and_saveexec_b32 s6, s5
	s_delay_alu instid0(SALU_CYCLE_1)
	s_xor_b32 s5, exec_lo, s6
	s_cbranch_execz .LBB163_44
; %bb.43:
	v_lshl_add_u32 v16, v29, 3, v30
	ds_load_b64 v[20:21], v16 offset:8
.LBB163_44:
	s_or_saveexec_b32 s5, s5
	v_dual_mov_b32 v25, v15 :: v_dual_mov_b32 v24, v14
	s_xor_b32 exec_lo, exec_lo, s5
	s_cbranch_execz .LBB163_46
; %bb.45:
	v_lshl_add_u32 v16, v37, 3, v30
	s_waitcnt lgkmcnt(0)
	v_dual_mov_b32 v21, v13 :: v_dual_mov_b32 v20, v12
	ds_load_b64 v[24:25], v16 offset:8
.LBB163_46:
	s_or_b32 exec_lo, exec_lo, s5
	v_add_nc_u32_e32 v16, 1, v29
	v_add_nc_u32_e32 v17, 1, v37
	s_waitcnt lgkmcnt(0)
	v_cmp_lt_i64_e64 s5, v[24:25], v[20:21]
	s_delay_alu instid0(VALU_DEP_3) | instskip(NEXT) | instid1(VALU_DEP_3)
	v_cndmask_b32_e64 v38, v16, v29, s4
	v_cndmask_b32_e64 v39, v37, v17, s4
                                        ; implicit-def: $vgpr16_vgpr17
	s_delay_alu instid0(VALU_DEP_2) | instskip(NEXT) | instid1(VALU_DEP_2)
	v_cmp_ge_i32_e64 s6, v38, v36
	v_cmp_lt_i32_e64 s7, v39, v27
	s_delay_alu instid0(VALU_DEP_2)
	s_or_b32 s5, s6, s5
	s_delay_alu instid0(VALU_DEP_1) | instid1(SALU_CYCLE_1)
	s_and_b32 s5, s7, s5
	s_delay_alu instid0(SALU_CYCLE_1) | instskip(NEXT) | instid1(SALU_CYCLE_1)
	s_xor_b32 s6, s5, -1
	s_and_saveexec_b32 s7, s6
	s_delay_alu instid0(SALU_CYCLE_1)
	s_xor_b32 s6, exec_lo, s7
	s_cbranch_execz .LBB163_48
; %bb.47:
	v_lshl_add_u32 v16, v38, 3, v30
	ds_load_b64 v[16:17], v16 offset:8
.LBB163_48:
	s_or_saveexec_b32 s6, s6
	v_dual_mov_b32 v22, v24 :: v_dual_mov_b32 v23, v25
	s_xor_b32 exec_lo, exec_lo, s6
	s_cbranch_execz .LBB163_50
; %bb.49:
	s_waitcnt lgkmcnt(0)
	v_lshl_add_u32 v16, v39, 3, v30
	ds_load_b64 v[22:23], v16 offset:8
	v_dual_mov_b32 v16, v20 :: v_dual_mov_b32 v17, v21
.LBB163_50:
	s_or_b32 exec_lo, exec_lo, s6
	v_add_nc_u32_e32 v40, 1, v38
	v_and_b32_e32 v41, 32, v35
	v_add_nc_u32_e32 v42, 1, v39
	v_cndmask_b32_e64 v25, v21, v25, s5
	v_cndmask_b32_e64 v24, v20, v24, s5
	;; [unrolled: 1-line block ×3, first 2 shown]
	v_min_i32_e32 v20, v33, v41
	v_cndmask_b32_e64 v40, v39, v42, s5
	v_cndmask_b32_e64 v38, v38, v39, s5
	s_waitcnt lgkmcnt(0)
	v_cmp_lt_i64_e64 s5, v[22:23], v[16:17]
	v_cmp_ge_i32_e64 s6, v21, v36
	v_add_nc_u32_e32 v36, 16, v20
	v_cmp_lt_i32_e64 s7, v40, v27
	v_cndmask_b32_e64 v27, v28, v26, s3
	v_cndmask_b32_e64 v29, v29, v37, s4
	s_or_b32 s5, s6, s5
	v_min_i32_e32 v26, v33, v36
	s_and_b32 s5, s7, s5
	s_delay_alu instid0(SALU_CYCLE_1)
	v_cndmask_b32_e64 v23, v17, v23, s5
	v_cndmask_b32_e64 v17, v21, v40, s5
	; wave barrier
	ds_store_2addr_b64 v31, v[0:1], v[4:5] offset1:1
	ds_store_2addr_b64 v31, v[2:3], v[6:7] offset0:2 offset1:3
	v_add_nc_u32_e32 v0, 16, v26
	v_lshl_add_u32 v1, v27, 3, v30
	v_and_b32_e32 v2, 28, v35
	v_lshl_add_u32 v3, v29, 3, v30
	v_lshl_add_u32 v6, v38, 3, v30
	;; [unrolled: 1-line block ×3, first 2 shown]
	; wave barrier
	v_min_i32_e32 v27, v33, v0
	v_min_i32_e32 v17, v33, v2
	ds_load_b64 v[0:1], v1
	ds_load_b64 v[4:5], v3
	;; [unrolled: 1-line block ×4, first 2 shown]
	v_cndmask_b32_e64 v15, v13, v15, s4
	v_cndmask_b32_e64 v14, v12, v14, s4
	v_sub_nc_u32_e32 v21, v27, v26
	v_sub_nc_u32_e32 v13, v26, v20
	v_cndmask_b32_e64 v11, v9, v11, s3
	v_cndmask_b32_e64 v10, v8, v10, s3
	v_lshl_add_u32 v8, v20, 3, v30
	v_sub_nc_u32_e32 v12, v17, v21
	v_cmp_ge_i32_e64 s3, v17, v21
	v_min_i32_e32 v9, v17, v13
	v_cndmask_b32_e64 v22, v16, v22, s5
	s_mov_b32 s5, 0
	s_mov_b32 s4, exec_lo
	v_cndmask_b32_e64 v12, 0, v12, s3
	; wave barrier
	ds_store_2addr_b64 v31, v[10:11], v[14:15] offset1:1
	ds_store_2addr_b64 v31, v[24:25], v[22:23] offset0:2 offset1:3
	; wave barrier
	v_cmpx_lt_i32_e64 v12, v9
	s_cbranch_execz .LBB163_54
; %bb.51:
	v_lshlrev_b32_e32 v10, 3, v26
	v_lshlrev_b32_e32 v11, 3, v17
	s_delay_alu instid0(VALU_DEP_1)
	v_add3_u32 v10, v30, v10, v11
	.p2align	6
.LBB163_52:                             ; =>This Inner Loop Header: Depth=1
	v_sub_nc_u32_e32 v11, v9, v12
	s_delay_alu instid0(VALU_DEP_1) | instskip(NEXT) | instid1(VALU_DEP_1)
	v_lshrrev_b32_e32 v13, 31, v11
	v_add_nc_u32_e32 v11, v11, v13
	s_delay_alu instid0(VALU_DEP_1) | instskip(NEXT) | instid1(VALU_DEP_1)
	v_ashrrev_i32_e32 v11, 1, v11
	v_add_nc_u32_e32 v11, v11, v12
	s_delay_alu instid0(VALU_DEP_1) | instskip(SKIP_1) | instid1(VALU_DEP_2)
	v_not_b32_e32 v13, v11
	v_lshl_add_u32 v14, v11, 3, v8
	v_lshl_add_u32 v15, v13, 3, v10
	ds_load_b64 v[13:14], v14
	ds_load_b64 v[15:16], v15
	s_waitcnt lgkmcnt(0)
	v_cmp_lt_i64_e64 s3, v[15:16], v[13:14]
	v_add_nc_u32_e32 v13, 1, v11
	s_delay_alu instid0(VALU_DEP_2) | instskip(NEXT) | instid1(VALU_DEP_2)
	v_cndmask_b32_e64 v9, v9, v11, s3
	v_cndmask_b32_e64 v12, v13, v12, s3
	s_delay_alu instid0(VALU_DEP_1) | instskip(NEXT) | instid1(VALU_DEP_1)
	v_cmp_ge_i32_e64 s3, v12, v9
	s_or_b32 s5, s3, s5
	s_delay_alu instid0(SALU_CYCLE_1)
	s_and_not1_b32 exec_lo, exec_lo, s5
	s_cbranch_execnz .LBB163_52
; %bb.53:
	s_or_b32 exec_lo, exec_lo, s5
.LBB163_54:
	s_delay_alu instid0(SALU_CYCLE_1) | instskip(SKIP_3) | instid1(VALU_DEP_3)
	s_or_b32 exec_lo, exec_lo, s4
	v_add_nc_u32_e32 v9, v26, v17
	v_lshl_add_u32 v14, v12, 3, v8
	v_add_nc_u32_e32 v29, v12, v20
	v_sub_nc_u32_e32 v28, v9, v12
                                        ; implicit-def: $vgpr12_vgpr13
	s_delay_alu instid0(VALU_DEP_2) | instskip(NEXT) | instid1(VALU_DEP_2)
	v_cmp_le_i32_e64 s4, v26, v29
	v_lshl_add_u32 v16, v28, 3, v30
	v_cmp_gt_i32_e64 s5, v27, v28
	ds_load_b64 v[8:9], v14
	ds_load_b64 v[10:11], v16
	s_waitcnt lgkmcnt(0)
	v_cmp_lt_i64_e64 s3, v[10:11], v[8:9]
	s_delay_alu instid0(VALU_DEP_1) | instskip(NEXT) | instid1(SALU_CYCLE_1)
	s_or_b32 s3, s4, s3
	s_and_b32 s3, s5, s3
	s_delay_alu instid0(SALU_CYCLE_1) | instskip(NEXT) | instid1(SALU_CYCLE_1)
	s_xor_b32 s4, s3, -1
	s_and_saveexec_b32 s5, s4
	s_delay_alu instid0(SALU_CYCLE_1)
	s_xor_b32 s4, exec_lo, s5
	s_cbranch_execz .LBB163_56
; %bb.55:
	ds_load_b64 v[12:13], v14 offset:8
                                        ; implicit-def: $vgpr16
.LBB163_56:
	s_or_saveexec_b32 s4, s4
	v_dual_mov_b32 v15, v11 :: v_dual_mov_b32 v14, v10
	s_xor_b32 exec_lo, exec_lo, s4
	s_cbranch_execz .LBB163_58
; %bb.57:
	ds_load_b64 v[14:15], v16 offset:8
	s_waitcnt lgkmcnt(1)
	v_dual_mov_b32 v13, v9 :: v_dual_mov_b32 v12, v8
.LBB163_58:
	s_or_b32 exec_lo, exec_lo, s4
	v_add_nc_u32_e32 v16, 1, v29
	v_add_nc_u32_e32 v17, 1, v28
	s_waitcnt lgkmcnt(0)
	v_cmp_lt_i64_e64 s4, v[14:15], v[12:13]
                                        ; implicit-def: $vgpr22_vgpr23
	s_delay_alu instid0(VALU_DEP_3) | instskip(NEXT) | instid1(VALU_DEP_3)
	v_cndmask_b32_e64 v35, v16, v29, s3
	v_cndmask_b32_e64 v36, v28, v17, s3
	s_delay_alu instid0(VALU_DEP_2) | instskip(NEXT) | instid1(VALU_DEP_2)
	v_cmp_ge_i32_e64 s5, v35, v26
	v_cmp_lt_i32_e64 s6, v36, v27
	s_delay_alu instid0(VALU_DEP_2)
	s_or_b32 s4, s5, s4
	s_delay_alu instid0(VALU_DEP_1) | instid1(SALU_CYCLE_1)
	s_and_b32 s4, s6, s4
	s_delay_alu instid0(SALU_CYCLE_1) | instskip(NEXT) | instid1(SALU_CYCLE_1)
	s_xor_b32 s5, s4, -1
	s_and_saveexec_b32 s6, s5
	s_delay_alu instid0(SALU_CYCLE_1)
	s_xor_b32 s5, exec_lo, s6
	s_cbranch_execz .LBB163_60
; %bb.59:
	v_lshl_add_u32 v16, v35, 3, v30
	ds_load_b64 v[22:23], v16 offset:8
.LBB163_60:
	s_or_saveexec_b32 s5, s5
	v_dual_mov_b32 v25, v15 :: v_dual_mov_b32 v24, v14
	s_xor_b32 exec_lo, exec_lo, s5
	s_cbranch_execz .LBB163_62
; %bb.61:
	v_lshl_add_u32 v16, v36, 3, v30
	s_waitcnt lgkmcnt(0)
	v_dual_mov_b32 v23, v13 :: v_dual_mov_b32 v22, v12
	ds_load_b64 v[24:25], v16 offset:8
.LBB163_62:
	s_or_b32 exec_lo, exec_lo, s5
	v_add_nc_u32_e32 v16, 1, v35
	v_add_nc_u32_e32 v17, 1, v36
	s_waitcnt lgkmcnt(0)
	v_cmp_lt_i64_e64 s5, v[24:25], v[22:23]
	s_delay_alu instid0(VALU_DEP_3) | instskip(NEXT) | instid1(VALU_DEP_3)
	v_cndmask_b32_e64 v38, v16, v35, s4
	v_cndmask_b32_e64 v37, v36, v17, s4
                                        ; implicit-def: $vgpr16_vgpr17
	s_delay_alu instid0(VALU_DEP_2) | instskip(NEXT) | instid1(VALU_DEP_2)
	v_cmp_ge_i32_e64 s6, v38, v26
	v_cmp_lt_i32_e64 s7, v37, v27
	s_delay_alu instid0(VALU_DEP_2)
	s_or_b32 s5, s6, s5
	s_delay_alu instid0(VALU_DEP_1) | instid1(SALU_CYCLE_1)
	s_and_b32 s5, s7, s5
	s_delay_alu instid0(SALU_CYCLE_1) | instskip(NEXT) | instid1(SALU_CYCLE_1)
	s_xor_b32 s6, s5, -1
	s_and_saveexec_b32 s7, s6
	s_delay_alu instid0(SALU_CYCLE_1)
	s_xor_b32 s6, exec_lo, s7
	s_cbranch_execz .LBB163_64
; %bb.63:
	v_lshl_add_u32 v16, v38, 3, v30
	ds_load_b64 v[16:17], v16 offset:8
.LBB163_64:
	s_or_saveexec_b32 s6, s6
	v_dual_mov_b32 v20, v24 :: v_dual_mov_b32 v21, v25
	s_xor_b32 exec_lo, exec_lo, s6
	s_cbranch_execz .LBB163_66
; %bb.65:
	s_waitcnt lgkmcnt(0)
	v_lshl_add_u32 v16, v37, 3, v30
	ds_load_b64 v[20:21], v16 offset:8
	v_dual_mov_b32 v16, v22 :: v_dual_mov_b32 v17, v23
.LBB163_66:
	s_or_b32 exec_lo, exec_lo, s6
	v_add_nc_u32_e32 v39, 1, v38
	v_cndmask_b32_e64 v25, v23, v25, s5
	v_add_nc_u32_e32 v23, 1, v37
	v_cndmask_b32_e64 v40, v38, v37, s5
	v_cndmask_b32_e64 v24, v22, v24, s5
	;; [unrolled: 1-line block ×3, first 2 shown]
	v_min_i32_e32 v22, 0, v33
	v_cndmask_b32_e64 v23, v37, v23, s5
	s_waitcnt lgkmcnt(0)
	v_cmp_lt_i64_e64 s5, v[20:21], v[16:17]
	v_cndmask_b32_e64 v35, v35, v36, s4
	v_cmp_ge_i32_e64 s6, v38, v26
	v_add_nc_u32_e32 v26, 32, v22
	v_cmp_lt_i32_e64 s7, v23, v27
	v_cndmask_b32_e64 v27, v29, v28, s3
	s_delay_alu instid0(VALU_DEP_4) | instskip(NEXT) | instid1(VALU_DEP_3)
	s_or_b32 s5, s6, s5
	v_min_i32_e32 v26, v33, v26
	s_delay_alu instid0(VALU_DEP_3) | instskip(NEXT) | instid1(SALU_CYCLE_1)
	s_and_b32 s5, s7, s5
	; wave barrier
	v_cndmask_b32_e64 v21, v17, v21, s5
	v_cndmask_b32_e64 v17, v38, v23, s5
	ds_store_2addr_b64 v31, v[0:1], v[4:5] offset1:1
	ds_store_2addr_b64 v31, v[2:3], v[6:7] offset0:2 offset1:3
	v_lshl_add_u32 v0, v27, 3, v30
	v_lshl_add_u32 v1, v35, 3, v30
	v_add_nc_u32_e32 v23, 32, v26
	v_lshl_add_u32 v2, v40, 3, v30
	v_lshl_add_u32 v3, v17, 3, v30
	; wave barrier
	ds_load_b64 v[4:5], v0
	ds_load_b64 v[6:7], v1
	;; [unrolled: 1-line block ×4, first 2 shown]
	v_min_i32_e32 v27, v33, v23
	v_min_i32_e32 v17, v33, v34
	v_cndmask_b32_e64 v15, v13, v15, s4
	v_cndmask_b32_e64 v14, v12, v14, s4
	v_sub_nc_u32_e32 v13, v26, v22
	v_sub_nc_u32_e32 v23, v27, v26
	v_cndmask_b32_e64 v11, v9, v11, s3
	v_cndmask_b32_e64 v10, v8, v10, s3
	v_lshl_add_u32 v8, v22, 3, v30
	v_min_i32_e32 v9, v17, v13
	v_sub_nc_u32_e32 v12, v17, v23
	v_cmp_ge_i32_e64 s3, v17, v23
	v_cndmask_b32_e64 v20, v16, v20, s5
	s_mov_b32 s5, 0
	s_mov_b32 s4, exec_lo
	s_delay_alu instid0(VALU_DEP_2)
	v_cndmask_b32_e64 v12, 0, v12, s3
	; wave barrier
	ds_store_2addr_b64 v31, v[10:11], v[14:15] offset1:1
	ds_store_2addr_b64 v31, v[24:25], v[20:21] offset0:2 offset1:3
	; wave barrier
	v_cmpx_lt_i32_e64 v12, v9
	s_cbranch_execz .LBB163_70
; %bb.67:
	v_lshlrev_b32_e32 v10, 3, v26
	v_lshlrev_b32_e32 v11, 3, v17
	s_delay_alu instid0(VALU_DEP_1)
	v_add3_u32 v10, v30, v10, v11
	.p2align	6
.LBB163_68:                             ; =>This Inner Loop Header: Depth=1
	v_sub_nc_u32_e32 v11, v9, v12
	s_delay_alu instid0(VALU_DEP_1) | instskip(NEXT) | instid1(VALU_DEP_1)
	v_lshrrev_b32_e32 v13, 31, v11
	v_add_nc_u32_e32 v11, v11, v13
	s_delay_alu instid0(VALU_DEP_1) | instskip(NEXT) | instid1(VALU_DEP_1)
	v_ashrrev_i32_e32 v11, 1, v11
	v_add_nc_u32_e32 v11, v11, v12
	s_delay_alu instid0(VALU_DEP_1) | instskip(SKIP_1) | instid1(VALU_DEP_2)
	v_not_b32_e32 v13, v11
	v_lshl_add_u32 v14, v11, 3, v8
	v_lshl_add_u32 v15, v13, 3, v10
	ds_load_b64 v[13:14], v14
	ds_load_b64 v[15:16], v15
	s_waitcnt lgkmcnt(0)
	v_cmp_lt_i64_e64 s3, v[15:16], v[13:14]
	v_add_nc_u32_e32 v13, 1, v11
	s_delay_alu instid0(VALU_DEP_2) | instskip(NEXT) | instid1(VALU_DEP_2)
	v_cndmask_b32_e64 v9, v9, v11, s3
	v_cndmask_b32_e64 v12, v13, v12, s3
	s_delay_alu instid0(VALU_DEP_1) | instskip(NEXT) | instid1(VALU_DEP_1)
	v_cmp_ge_i32_e64 s3, v12, v9
	s_or_b32 s5, s3, s5
	s_delay_alu instid0(SALU_CYCLE_1)
	s_and_not1_b32 exec_lo, exec_lo, s5
	s_cbranch_execnz .LBB163_68
; %bb.69:
	s_or_b32 exec_lo, exec_lo, s5
.LBB163_70:
	s_delay_alu instid0(SALU_CYCLE_1) | instskip(SKIP_3) | instid1(VALU_DEP_3)
	s_or_b32 exec_lo, exec_lo, s4
	v_add_nc_u32_e32 v9, v26, v17
	v_lshl_add_u32 v14, v12, 3, v8
	v_add_nc_u32_e32 v29, v12, v22
	v_sub_nc_u32_e32 v28, v9, v12
                                        ; implicit-def: $vgpr12_vgpr13
	s_delay_alu instid0(VALU_DEP_2) | instskip(NEXT) | instid1(VALU_DEP_2)
	v_cmp_le_i32_e64 s4, v26, v29
	v_lshl_add_u32 v16, v28, 3, v30
	v_cmp_gt_i32_e64 s5, v27, v28
	ds_load_b64 v[8:9], v14
	ds_load_b64 v[10:11], v16
	s_waitcnt lgkmcnt(0)
	v_cmp_lt_i64_e64 s3, v[10:11], v[8:9]
	s_delay_alu instid0(VALU_DEP_1) | instskip(NEXT) | instid1(SALU_CYCLE_1)
	s_or_b32 s3, s4, s3
	s_and_b32 s3, s5, s3
	s_delay_alu instid0(SALU_CYCLE_1) | instskip(NEXT) | instid1(SALU_CYCLE_1)
	s_xor_b32 s4, s3, -1
	s_and_saveexec_b32 s5, s4
	s_delay_alu instid0(SALU_CYCLE_1)
	s_xor_b32 s4, exec_lo, s5
	s_cbranch_execz .LBB163_72
; %bb.71:
	ds_load_b64 v[12:13], v14 offset:8
                                        ; implicit-def: $vgpr16
.LBB163_72:
	s_or_saveexec_b32 s4, s4
	v_dual_mov_b32 v15, v11 :: v_dual_mov_b32 v14, v10
	s_xor_b32 exec_lo, exec_lo, s4
	s_cbranch_execz .LBB163_74
; %bb.73:
	ds_load_b64 v[14:15], v16 offset:8
	s_waitcnt lgkmcnt(1)
	v_dual_mov_b32 v13, v9 :: v_dual_mov_b32 v12, v8
.LBB163_74:
	s_or_b32 exec_lo, exec_lo, s4
	v_add_nc_u32_e32 v16, 1, v29
	v_add_nc_u32_e32 v17, 1, v28
	s_waitcnt lgkmcnt(0)
	v_cmp_lt_i64_e64 s4, v[14:15], v[12:13]
	s_delay_alu instid0(VALU_DEP_3) | instskip(NEXT) | instid1(VALU_DEP_3)
	v_cndmask_b32_e64 v33, v16, v29, s3
	v_cndmask_b32_e64 v34, v28, v17, s3
                                        ; implicit-def: $vgpr16_vgpr17
	s_delay_alu instid0(VALU_DEP_2) | instskip(NEXT) | instid1(VALU_DEP_2)
	v_cmp_ge_i32_e64 s5, v33, v26
	v_cmp_lt_i32_e64 s6, v34, v27
	s_delay_alu instid0(VALU_DEP_2)
	s_or_b32 s4, s5, s4
	s_delay_alu instid0(VALU_DEP_1) | instid1(SALU_CYCLE_1)
	s_and_b32 s4, s6, s4
	s_delay_alu instid0(SALU_CYCLE_1) | instskip(NEXT) | instid1(SALU_CYCLE_1)
	s_xor_b32 s5, s4, -1
	s_and_saveexec_b32 s6, s5
	s_delay_alu instid0(SALU_CYCLE_1)
	s_xor_b32 s5, exec_lo, s6
	s_cbranch_execz .LBB163_76
; %bb.75:
	v_lshl_add_u32 v16, v33, 3, v30
	ds_load_b64 v[16:17], v16 offset:8
.LBB163_76:
	s_or_saveexec_b32 s5, s5
	v_dual_mov_b32 v21, v15 :: v_dual_mov_b32 v20, v14
	s_xor_b32 exec_lo, exec_lo, s5
	s_cbranch_execz .LBB163_78
; %bb.77:
	s_waitcnt lgkmcnt(0)
	v_lshl_add_u32 v16, v34, 3, v30
	ds_load_b64 v[20:21], v16 offset:8
	v_dual_mov_b32 v17, v13 :: v_dual_mov_b32 v16, v12
.LBB163_78:
	s_or_b32 exec_lo, exec_lo, s5
	v_add_nc_u32_e32 v22, 1, v33
	v_add_nc_u32_e32 v23, 1, v34
	s_waitcnt lgkmcnt(0)
	v_cmp_lt_i64_e64 s5, v[20:21], v[16:17]
                                        ; implicit-def: $vgpr37
	s_delay_alu instid0(VALU_DEP_3) | instskip(NEXT) | instid1(VALU_DEP_3)
	v_cndmask_b32_e64 v38, v22, v33, s4
	v_cndmask_b32_e64 v35, v34, v23, s4
                                        ; implicit-def: $vgpr22_vgpr23
	s_delay_alu instid0(VALU_DEP_2) | instskip(NEXT) | instid1(VALU_DEP_2)
	v_cmp_ge_i32_e64 s6, v38, v26
	v_cmp_lt_i32_e64 s7, v35, v27
	s_delay_alu instid0(VALU_DEP_2)
	s_or_b32 s5, s6, s5
	s_delay_alu instid0(VALU_DEP_1) | instid1(SALU_CYCLE_1)
	s_and_b32 s5, s7, s5
	s_delay_alu instid0(SALU_CYCLE_1) | instskip(NEXT) | instid1(SALU_CYCLE_1)
	s_xor_b32 s6, s5, -1
	s_and_saveexec_b32 s7, s6
	s_delay_alu instid0(SALU_CYCLE_1)
	s_xor_b32 s6, exec_lo, s7
	s_cbranch_execz .LBB163_80
; %bb.79:
	v_lshl_add_u32 v22, v38, 3, v30
	v_add_nc_u32_e32 v37, 1, v38
	ds_load_b64 v[22:23], v22 offset:8
.LBB163_80:
	s_or_saveexec_b32 s6, s6
	v_dual_mov_b32 v36, v38 :: v_dual_mov_b32 v25, v21
	v_mov_b32_e32 v24, v20
	s_xor_b32 exec_lo, exec_lo, s6
	s_cbranch_execz .LBB163_82
; %bb.81:
	s_waitcnt lgkmcnt(0)
	v_lshl_add_u32 v22, v35, 3, v30
	v_mov_b32_e32 v37, v38
	ds_load_b64 v[24:25], v22 offset:8
	v_add_nc_u32_e32 v22, 1, v35
	s_delay_alu instid0(VALU_DEP_1)
	v_dual_mov_b32 v36, v35 :: v_dual_mov_b32 v35, v22
	v_dual_mov_b32 v23, v17 :: v_dual_mov_b32 v22, v16
.LBB163_82:
	s_or_b32 exec_lo, exec_lo, s6
	s_waitcnt lgkmcnt(0)
	s_delay_alu instid0(VALU_DEP_1) | instskip(SKIP_3) | instid1(VALU_DEP_3)
	v_cmp_lt_i64_e64 s6, v[24:25], v[22:23]
	v_cmp_ge_i32_e64 s7, v37, v26
	v_cmp_lt_i32_e64 s8, v35, v27
	v_cndmask_b32_e64 v26, v33, v34, s4
	; wave barrier
	s_or_b32 s6, s7, s6
	ds_store_2addr_b64 v31, v[4:5], v[6:7] offset1:1
	ds_store_2addr_b64 v31, v[0:1], v[2:3] offset0:2 offset1:3
	s_and_b32 s6, s8, s6
	v_lshl_add_u32 v0, v26, 3, v30
	v_cndmask_b32_e64 v23, v23, v25, s6
	v_cndmask_b32_e64 v25, v37, v35, s6
	v_lshl_add_u32 v1, v36, 3, v30
	; wave barrier
	s_delay_alu instid0(VALU_DEP_2)
	v_lshl_add_u32 v2, v25, 3, v30
	ds_load_b64 v[6:7], v0
	ds_load_b64 v[4:5], v1
	;; [unrolled: 1-line block ×3, first 2 shown]
	v_cndmask_b32_e64 v1, v9, v11, s3
	v_cndmask_b32_e64 v0, v8, v10, s3
	;; [unrolled: 1-line block ×7, first 2 shown]
	s_and_saveexec_b32 s4, vcc_lo
	s_cbranch_execz .LBB163_84
; %bb.83:
	v_cndmask_b32_e64 v13, v29, v28, s3
	s_delay_alu instid0(VALU_DEP_1) | instskip(SKIP_3) | instid1(VALU_DEP_1)
	v_lshl_add_u32 v13, v13, 3, v30
	ds_load_b64 v[13:14], v13
	s_waitcnt lgkmcnt(0)
	v_add_co_u32 v0, s3, v13, v0
	v_add_co_ci_u32_e64 v1, s3, v14, v1, s3
.LBB163_84:
	s_or_b32 exec_lo, exec_lo, s4
	s_waitcnt lgkmcnt(2)
	v_add_co_u32 v6, s3, v8, v6
	s_delay_alu instid0(VALU_DEP_1) | instskip(SKIP_2) | instid1(VALU_DEP_1)
	v_add_co_ci_u32_e64 v7, s3, v9, v7, s3
	s_waitcnt lgkmcnt(1)
	v_add_co_u32 v4, s3, v11, v4
	v_add_co_ci_u32_e64 v5, s3, v12, v5, s3
	s_waitcnt lgkmcnt(0)
	v_add_co_u32 v2, s3, v10, v2
	s_delay_alu instid0(VALU_DEP_1)
	v_add_co_ci_u32_e64 v3, s3, v23, v3, s3
	v_cndmask_b32_e64 v8, v8, v6, s0
	v_cndmask_b32_e64 v6, v11, v4, s1
	v_add_co_u32 v4, s3, s10, v18
	v_cndmask_b32_e64 v9, v9, v7, s0
	v_cndmask_b32_e64 v7, v12, v5, s1
	v_add_co_ci_u32_e64 v5, s3, s11, v19, s3
	s_delay_alu instid0(VALU_DEP_4) | instskip(SKIP_2) | instid1(VALU_DEP_4)
	v_add_co_u32 v4, s3, v4, v32
	v_cndmask_b32_e64 v3, v23, v3, s2
	v_cndmask_b32_e64 v2, v10, v2, s2
	v_add_co_ci_u32_e64 v5, s3, 0, v5, s3
	s_and_saveexec_b32 s3, vcc_lo
	s_delay_alu instid0(SALU_CYCLE_1)
	s_xor_b32 s3, exec_lo, s3
	s_cbranch_execnz .LBB163_89
; %bb.85:
	s_or_b32 exec_lo, exec_lo, s3
	s_and_saveexec_b32 s3, s0
	s_cbranch_execnz .LBB163_90
.LBB163_86:
	s_or_b32 exec_lo, exec_lo, s3
	s_and_saveexec_b32 s0, s1
	s_cbranch_execnz .LBB163_91
.LBB163_87:
	s_or_b32 exec_lo, exec_lo, s0
	s_and_saveexec_b32 s0, s2
	s_cbranch_execnz .LBB163_92
.LBB163_88:
	s_nop 0
	s_sendmsg sendmsg(MSG_DEALLOC_VGPRS)
	s_endpgm
.LBB163_89:
	global_store_b64 v[4:5], v[0:1], off
	s_or_b32 exec_lo, exec_lo, s3
	s_and_saveexec_b32 s3, s0
	s_cbranch_execz .LBB163_86
.LBB163_90:
	global_store_b64 v[4:5], v[8:9], off offset:8
	s_or_b32 exec_lo, exec_lo, s3
	s_and_saveexec_b32 s0, s1
	s_cbranch_execz .LBB163_87
.LBB163_91:
	global_store_b64 v[4:5], v[6:7], off offset:16
	s_or_b32 exec_lo, exec_lo, s0
	s_and_saveexec_b32 s0, s2
	s_cbranch_execz .LBB163_88
.LBB163_92:
	global_store_b64 v[4:5], v[2:3], off offset:24
	s_nop 0
	s_sendmsg sendmsg(MSG_DEALLOC_VGPRS)
	s_endpgm
	.section	.rodata,"a",@progbits
	.p2align	6, 0x0
	.amdhsa_kernel _Z20sort_pairs_segmentedILj256ELj16ELj4ExN10test_utils4lessEEvPKT2_PS2_PKjT3_
		.amdhsa_group_segment_fixed_size 8320
		.amdhsa_private_segment_fixed_size 0
		.amdhsa_kernarg_size 28
		.amdhsa_user_sgpr_count 15
		.amdhsa_user_sgpr_dispatch_ptr 0
		.amdhsa_user_sgpr_queue_ptr 0
		.amdhsa_user_sgpr_kernarg_segment_ptr 1
		.amdhsa_user_sgpr_dispatch_id 0
		.amdhsa_user_sgpr_private_segment_size 0
		.amdhsa_wavefront_size32 1
		.amdhsa_uses_dynamic_stack 0
		.amdhsa_enable_private_segment 0
		.amdhsa_system_sgpr_workgroup_id_x 1
		.amdhsa_system_sgpr_workgroup_id_y 0
		.amdhsa_system_sgpr_workgroup_id_z 0
		.amdhsa_system_sgpr_workgroup_info 0
		.amdhsa_system_vgpr_workitem_id 0
		.amdhsa_next_free_vgpr 45
		.amdhsa_next_free_sgpr 16
		.amdhsa_reserve_vcc 1
		.amdhsa_float_round_mode_32 0
		.amdhsa_float_round_mode_16_64 0
		.amdhsa_float_denorm_mode_32 3
		.amdhsa_float_denorm_mode_16_64 3
		.amdhsa_dx10_clamp 1
		.amdhsa_ieee_mode 1
		.amdhsa_fp16_overflow 0
		.amdhsa_workgroup_processor_mode 1
		.amdhsa_memory_ordered 1
		.amdhsa_forward_progress 0
		.amdhsa_shared_vgpr_count 0
		.amdhsa_exception_fp_ieee_invalid_op 0
		.amdhsa_exception_fp_denorm_src 0
		.amdhsa_exception_fp_ieee_div_zero 0
		.amdhsa_exception_fp_ieee_overflow 0
		.amdhsa_exception_fp_ieee_underflow 0
		.amdhsa_exception_fp_ieee_inexact 0
		.amdhsa_exception_int_div_zero 0
	.end_amdhsa_kernel
	.section	.text._Z20sort_pairs_segmentedILj256ELj16ELj4ExN10test_utils4lessEEvPKT2_PS2_PKjT3_,"axG",@progbits,_Z20sort_pairs_segmentedILj256ELj16ELj4ExN10test_utils4lessEEvPKT2_PS2_PKjT3_,comdat
.Lfunc_end163:
	.size	_Z20sort_pairs_segmentedILj256ELj16ELj4ExN10test_utils4lessEEvPKT2_PS2_PKjT3_, .Lfunc_end163-_Z20sort_pairs_segmentedILj256ELj16ELj4ExN10test_utils4lessEEvPKT2_PS2_PKjT3_
                                        ; -- End function
	.section	.AMDGPU.csdata,"",@progbits
; Kernel info:
; codeLenInByte = 5452
; NumSgprs: 18
; NumVgprs: 45
; ScratchSize: 0
; MemoryBound: 1
; FloatMode: 240
; IeeeMode: 1
; LDSByteSize: 8320 bytes/workgroup (compile time only)
; SGPRBlocks: 2
; VGPRBlocks: 5
; NumSGPRsForWavesPerEU: 18
; NumVGPRsForWavesPerEU: 45
; Occupancy: 16
; WaveLimiterHint : 0
; COMPUTE_PGM_RSRC2:SCRATCH_EN: 0
; COMPUTE_PGM_RSRC2:USER_SGPR: 15
; COMPUTE_PGM_RSRC2:TRAP_HANDLER: 0
; COMPUTE_PGM_RSRC2:TGID_X_EN: 1
; COMPUTE_PGM_RSRC2:TGID_Y_EN: 0
; COMPUTE_PGM_RSRC2:TGID_Z_EN: 0
; COMPUTE_PGM_RSRC2:TIDIG_COMP_CNT: 0
	.section	.text._Z9sort_keysILj256ELj16ELj8ExN10test_utils4lessEEvPKT2_PS2_T3_,"axG",@progbits,_Z9sort_keysILj256ELj16ELj8ExN10test_utils4lessEEvPKT2_PS2_T3_,comdat
	.protected	_Z9sort_keysILj256ELj16ELj8ExN10test_utils4lessEEvPKT2_PS2_T3_ ; -- Begin function _Z9sort_keysILj256ELj16ELj8ExN10test_utils4lessEEvPKT2_PS2_T3_
	.globl	_Z9sort_keysILj256ELj16ELj8ExN10test_utils4lessEEvPKT2_PS2_T3_
	.p2align	8
	.type	_Z9sort_keysILj256ELj16ELj8ExN10test_utils4lessEEvPKT2_PS2_T3_,@function
_Z9sort_keysILj256ELj16ELj8ExN10test_utils4lessEEvPKT2_PS2_T3_: ; @_Z9sort_keysILj256ELj16ELj8ExN10test_utils4lessEEvPKT2_PS2_T3_
; %bb.0:
	s_load_b128 s[8:11], s[0:1], 0x0
	s_mov_b32 s7, 0
	s_lshl_b32 s6, s15, 11
	v_lshlrev_b32_e32 v1, 6, v0
	s_lshl_b64 s[12:13], s[6:7], 3
	v_lshlrev_b32_e32 v32, 3, v0
	s_waitcnt lgkmcnt(0)
	s_add_u32 s0, s8, s12
	s_addc_u32 s1, s9, s13
	s_clause 0x3
	global_load_b128 v[10:13], v1, s[0:1]
	global_load_b128 v[14:17], v1, s[0:1] offset:16
	global_load_b128 v[18:21], v1, s[0:1] offset:32
	;; [unrolled: 1-line block ×3, first 2 shown]
	v_mbcnt_lo_u32_b32 v1, -1, 0
	; wave barrier
	s_delay_alu instid0(VALU_DEP_1) | instskip(SKIP_1) | instid1(VALU_DEP_2)
	v_lshlrev_b32_e32 v36, 3, v1
	v_lshrrev_b32_e32 v1, 4, v0
	v_and_b32_e32 v8, 0x70, v36
	v_and_b32_e32 v4, 8, v36
	s_delay_alu instid0(VALU_DEP_2) | instskip(SKIP_2) | instid1(VALU_DEP_2)
	v_or_b32_e32 v38, 8, v8
	v_add_nc_u32_e32 v37, 16, v8
	v_lshlrev_b32_e32 v3, 3, v8
	v_sub_nc_u32_e32 v5, v37, v38
	s_delay_alu instid0(VALU_DEP_2) | instskip(NEXT) | instid1(VALU_DEP_2)
	v_mad_u32_u24 v0, 0x408, v1, v3
	v_sub_nc_u32_e32 v3, v4, v5
	v_cmp_ge_i32_e32 vcc_lo, v4, v5
	s_delay_alu instid0(VALU_DEP_2)
	v_cndmask_b32_e32 v9, 0, v3, vcc_lo
	s_waitcnt vmcnt(3)
	v_cmp_gt_i64_e32 vcc_lo, v[12:13], v[10:11]
	v_cmp_lt_i64_e64 s0, v[12:13], v[10:11]
	s_waitcnt vmcnt(2)
	v_cmp_gt_i64_e64 s1, v[16:17], v[14:15]
	v_cmp_lt_i64_e64 s2, v[16:17], v[14:15]
	s_waitcnt vmcnt(1)
	v_cmp_lt_i64_e64 s3, v[20:21], v[18:19]
	v_cmp_gt_i64_e64 s4, v[20:21], v[18:19]
	s_waitcnt vmcnt(0)
	v_cmp_lt_i64_e64 s5, v[24:25], v[22:23]
	v_cndmask_b32_e32 v6, v11, v13, vcc_lo
	v_cndmask_b32_e64 v11, v11, v13, s0
	v_cndmask_b32_e64 v13, v15, v17, s1
	;; [unrolled: 1-line block ×6, first 2 shown]
	v_cndmask_b32_e32 v5, v10, v12, vcc_lo
	v_cndmask_b32_e64 v10, v10, v12, s0
	v_cndmask_b32_e64 v12, v14, v16, s1
	;; [unrolled: 1-line block ×6, first 2 shown]
	v_cmp_gt_i64_e64 s6, v[24:25], v[22:23]
	v_cmp_gt_i64_e32 vcc_lo, v[14:15], v[5:6]
	v_cmp_lt_i64_e64 s0, v[14:15], v[5:6]
	v_cmp_lt_i64_e64 s1, v[16:17], v[12:13]
	v_cmp_gt_i64_e64 s2, v[16:17], v[12:13]
	v_cmp_lt_i64_e64 s3, v[20:21], v[18:19]
	v_cmp_gt_i64_e64 s4, v[20:21], v[18:19]
	v_cndmask_b32_e64 v23, v23, v25, s6
	v_cndmask_b32_e64 v22, v22, v24, s6
	v_cndmask_b32_e32 v25, v6, v15, vcc_lo
	v_cndmask_b32_e64 v3, v5, v14, s0
	v_cndmask_b32_e64 v7, v13, v17, s1
	;; [unrolled: 1-line block ×4, first 2 shown]
	v_cndmask_b32_e32 v24, v5, v14, vcc_lo
	v_cndmask_b32_e64 v5, v6, v15, s0
	v_cndmask_b32_e64 v6, v12, v16, s1
	;; [unrolled: 1-line block ×6, first 2 shown]
	v_cmp_gt_i64_e32 vcc_lo, v[18:19], v[22:23]
	v_cmp_lt_i64_e64 s0, v[14:15], v[10:11]
	v_cmp_gt_i64_e64 s1, v[6:7], v[24:25]
	v_cmp_lt_i64_e64 s2, v[6:7], v[24:25]
	v_cmp_lt_i64_e64 s3, v[16:17], v[12:13]
	v_cmp_gt_i64_e64 s4, v[16:17], v[12:13]
	v_dual_cndmask_b32 v27, v21, v23 :: v_dual_and_b32 v34, 0x78, v36
	v_cndmask_b32_e64 v14, v5, v11, s0
	v_cndmask_b32_e64 v18, v25, v7, s1
	v_cndmask_b32_e64 v20, v25, v7, s2
	v_cndmask_b32_e64 v7, v13, v17, s3
	v_cndmask_b32_e64 v25, v13, v17, s4
	v_cndmask_b32_e64 v13, v3, v10, s0
	v_cndmask_b32_e32 v26, v28, v22, vcc_lo
	v_cndmask_b32_e64 v19, v24, v6, s2
	v_cndmask_b32_e64 v17, v24, v6, s1
	;; [unrolled: 1-line block ×4, first 2 shown]
	v_dual_cndmask_b32 v23, v23, v21 :: v_dual_lshlrev_b32 v2, 3, v34
	v_cndmask_b32_e64 v11, v11, v5, s0
	v_cndmask_b32_e64 v10, v10, v3, s0
	v_cndmask_b32_e32 v22, v22, v28, vcc_lo
	v_cmp_gt_i64_e32 vcc_lo, v[19:20], v[13:14]
	v_cmp_lt_i64_e64 s0, v[19:20], v[13:14]
	v_cmp_lt_i64_e64 s1, v[6:7], v[17:18]
	v_cmp_gt_i64_e64 s2, v[6:7], v[17:18]
	v_cmp_lt_i64_e64 s3, v[26:27], v[24:25]
	v_cmp_gt_i64_e64 s4, v[26:27], v[24:25]
	v_cndmask_b32_e32 v15, v14, v20, vcc_lo
	v_cndmask_b32_e64 v20, v14, v20, s0
	v_cndmask_b32_e64 v28, v18, v7, s1
	;; [unrolled: 1-line block ×5, first 2 shown]
	v_cndmask_b32_e32 v14, v13, v19, vcc_lo
	v_cndmask_b32_e64 v19, v13, v19, s0
	v_cndmask_b32_e64 v27, v17, v6, s1
	;; [unrolled: 1-line block ×5, first 2 shown]
	v_cmp_gt_i64_e32 vcc_lo, v[19:20], v[10:11]
	v_cmp_lt_i64_e64 s0, v[19:20], v[10:11]
	v_cmp_gt_i64_e64 s1, v[27:28], v[14:15]
	v_cmp_lt_i64_e64 s2, v[27:28], v[14:15]
	v_cmp_lt_i64_e64 s3, v[17:18], v[6:7]
	v_cmp_gt_i64_e64 s4, v[17:18], v[6:7]
	v_cmp_lt_i64_e64 s5, v[22:23], v[24:25]
	v_cmp_gt_i64_e64 s6, v[22:23], v[24:25]
	v_cndmask_b32_e32 v12, v11, v20, vcc_lo
	v_cndmask_b32_e64 v16, v11, v20, s0
	v_cndmask_b32_e64 v20, v15, v28, s1
	;; [unrolled: 1-line block ×7, first 2 shown]
	v_cndmask_b32_e32 v11, v10, v19, vcc_lo
	v_cndmask_b32_e64 v15, v10, v19, s0
	v_cndmask_b32_e64 v19, v14, v27, s1
	;; [unrolled: 1-line block ×7, first 2 shown]
	v_cmp_gt_i64_e32 vcc_lo, v[25:26], v[11:12]
	v_cmp_lt_i64_e64 s0, v[25:26], v[11:12]
	v_cmp_lt_i64_e64 s1, v[27:28], v[19:20]
	v_cmp_gt_i64_e64 s2, v[27:28], v[19:20]
	v_cmp_lt_i64_e64 s3, v[17:18], v[6:7]
	v_cmp_gt_i64_e64 s4, v[17:18], v[6:7]
	v_cndmask_b32_e32 v13, v12, v26, vcc_lo
	v_cndmask_b32_e64 v21, v12, v26, s0
	v_cndmask_b32_e32 v12, v11, v25, vcc_lo
	v_cndmask_b32_e64 v29, v20, v28, s1
	v_cndmask_b32_e64 v31, v20, v28, s2
	;; [unrolled: 1-line block ×9, first 2 shown]
	v_cmp_lt_i64_e64 s0, v[25:26], v[15:16]
	v_cmp_lt_i64_e64 s1, v[20:21], v[15:16]
	v_cmp_gt_i64_e64 s2, v[20:21], v[15:16]
	v_cmp_gt_i64_e64 s3, v[28:29], v[12:13]
	v_cmp_lt_i64_e64 s4, v[28:29], v[12:13]
	v_cmp_lt_i64_e64 s5, v[39:40], v[30:31]
	v_cmp_gt_i64_e32 vcc_lo, v[6:7], v[22:23]
	v_cmp_gt_i64_e64 s6, v[39:40], v[30:31]
	v_cndmask_b32_e64 v6, v16, v21, s1
	v_cndmask_b32_e64 v11, v16, v21, s2
	;; [unrolled: 1-line block ×11, first 2 shown]
	v_dual_cndmask_b32 v26, v5, v23 :: v_dual_cndmask_b32 v25, v3, v22
	v_cndmask_b32_e32 v41, v23, v5, vcc_lo
	v_cndmask_b32_e64 v23, v30, v39, s6
	v_cndmask_b32_e64 v7, v20, v15, s0
	v_cndmask_b32_e32 v40, v22, v3, vcc_lo
	v_cndmask_b32_e64 v5, v15, v20, s1
	v_cmp_gt_i64_e32 vcc_lo, v[16:17], v[10:11]
	v_cmp_lt_i64_e64 s0, v[16:17], v[10:11]
	v_cmp_lt_i64_e64 s1, v[18:19], v[13:14]
	v_cmp_gt_i64_e64 s2, v[18:19], v[13:14]
	v_mad_u32_u24 v35, 0x408, v1, v2
	v_sub_nc_u32_e32 v2, v38, v8
	v_cmp_lt_i64_e64 s3, v[25:26], v[23:24]
	v_cmp_gt_i64_e64 s4, v[25:26], v[23:24]
	v_dual_cndmask_b32 v12, v11, v17 :: v_dual_cndmask_b32 v11, v10, v16
	s_delay_alu instid0(VALU_DEP_4)
	v_min_i32_e32 v2, v4, v2
	v_cndmask_b32_e64 v15, v21, v17, s0
	v_cndmask_b32_e64 v17, v14, v19, s1
	;; [unrolled: 1-line block ×10, first 2 shown]
	s_mov_b32 s0, exec_lo
	ds_store_2addr_b64 v35, v[5:6], v[14:15] offset1:1
	ds_store_2addr_b64 v35, v[11:12], v[16:17] offset0:2 offset1:3
	ds_store_2addr_b64 v35, v[18:19], v[20:21] offset0:4 offset1:5
	;; [unrolled: 1-line block ×3, first 2 shown]
	; wave barrier
	v_cmpx_lt_i32_e64 v9, v2
	s_cbranch_execz .LBB164_4
; %bb.1:
	v_lshlrev_b32_e32 v3, 3, v4
	s_delay_alu instid0(VALU_DEP_1)
	v_add3_u32 v3, v0, v3, 64
	.p2align	6
.LBB164_2:                              ; =>This Inner Loop Header: Depth=1
	v_sub_nc_u32_e32 v5, v2, v9
	s_delay_alu instid0(VALU_DEP_1) | instskip(NEXT) | instid1(VALU_DEP_1)
	v_lshrrev_b32_e32 v6, 31, v5
	v_add_nc_u32_e32 v5, v5, v6
	s_delay_alu instid0(VALU_DEP_1) | instskip(NEXT) | instid1(VALU_DEP_1)
	v_ashrrev_i32_e32 v5, 1, v5
	v_add_nc_u32_e32 v7, v5, v9
	s_delay_alu instid0(VALU_DEP_1) | instskip(SKIP_1) | instid1(VALU_DEP_2)
	v_not_b32_e32 v5, v7
	v_lshl_add_u32 v6, v7, 3, v0
	v_lshl_add_u32 v10, v5, 3, v3
	ds_load_b64 v[5:6], v6
	ds_load_b64 v[10:11], v10
	s_waitcnt lgkmcnt(0)
	v_cmp_lt_i64_e32 vcc_lo, v[10:11], v[5:6]
	v_add_nc_u32_e32 v5, 1, v7
	s_delay_alu instid0(VALU_DEP_1) | instskip(NEXT) | instid1(VALU_DEP_1)
	v_dual_cndmask_b32 v2, v2, v7 :: v_dual_cndmask_b32 v9, v5, v9
	v_cmp_ge_i32_e32 vcc_lo, v9, v2
	s_or_b32 s7, vcc_lo, s7
	s_delay_alu instid0(SALU_CYCLE_1)
	s_and_not1_b32 exec_lo, exec_lo, s7
	s_cbranch_execnz .LBB164_2
; %bb.3:
	s_or_b32 exec_lo, exec_lo, s7
.LBB164_4:
	s_delay_alu instid0(SALU_CYCLE_1)
	s_or_b32 exec_lo, exec_lo, s0
	v_mul_u32_u24_e32 v33, 0x408, v1
	v_add_nc_u32_e32 v1, v8, v4
	v_lshl_add_u32 v6, v9, 3, v0
	v_add_nc_u32_e32 v4, v38, v4
	v_cmp_lt_i32_e64 s0, 7, v9
	s_delay_alu instid0(VALU_DEP_4) | instskip(NEXT) | instid1(VALU_DEP_3)
	v_sub_nc_u32_e32 v1, v1, v9
	v_sub_nc_u32_e32 v10, v4, v9
                                        ; implicit-def: $vgpr4_vgpr5
	s_delay_alu instid0(VALU_DEP_2)
	v_lshl_add_u32 v11, v1, 3, v33
	ds_load_b64 v[0:1], v6
	ds_load_b64 v[2:3], v11 offset:64
	v_cmp_gt_i32_e64 s1, v37, v10
	s_waitcnt lgkmcnt(0)
	v_cmp_lt_i64_e32 vcc_lo, v[2:3], v[0:1]
	s_or_b32 s0, s0, vcc_lo
	s_delay_alu instid0(VALU_DEP_2) | instid1(SALU_CYCLE_1)
	s_and_b32 vcc_lo, s1, s0
	s_delay_alu instid0(SALU_CYCLE_1) | instskip(NEXT) | instid1(SALU_CYCLE_1)
	s_xor_b32 s0, vcc_lo, -1
	s_and_saveexec_b32 s1, s0
	s_delay_alu instid0(SALU_CYCLE_1)
	s_xor_b32 s0, exec_lo, s1
	s_cbranch_execz .LBB164_6
; %bb.5:
	ds_load_b64 v[4:5], v6 offset:8
                                        ; implicit-def: $vgpr11
.LBB164_6:
	s_or_saveexec_b32 s0, s0
	v_dual_mov_b32 v7, v3 :: v_dual_mov_b32 v6, v2
	s_xor_b32 exec_lo, exec_lo, s0
	s_cbranch_execz .LBB164_8
; %bb.7:
	ds_load_b64 v[6:7], v11 offset:72
	s_waitcnt lgkmcnt(1)
	v_dual_mov_b32 v5, v1 :: v_dual_mov_b32 v4, v0
.LBB164_8:
	s_or_b32 exec_lo, exec_lo, s0
	v_add_nc_u32_e32 v8, v9, v8
	v_add_nc_u32_e32 v11, 1, v10
	s_waitcnt lgkmcnt(0)
	v_cmp_lt_i64_e64 s0, v[6:7], v[4:5]
	s_delay_alu instid0(VALU_DEP_2) | instskip(NEXT) | instid1(VALU_DEP_1)
	v_dual_cndmask_b32 v12, v10, v11 :: v_dual_add_nc_u32 v9, 1, v8
	v_cndmask_b32_e32 v13, v9, v8, vcc_lo
	s_delay_alu instid0(VALU_DEP_2) | instskip(NEXT) | instid1(VALU_DEP_2)
	v_cmp_lt_i32_e64 s2, v12, v37
                                        ; implicit-def: $vgpr8_vgpr9
	v_cmp_ge_i32_e64 s1, v13, v38
	s_delay_alu instid0(VALU_DEP_1)
	s_or_b32 s0, s1, s0
	s_delay_alu instid0(VALU_DEP_2) | instid1(SALU_CYCLE_1)
	s_and_b32 s0, s2, s0
	s_delay_alu instid0(SALU_CYCLE_1) | instskip(NEXT) | instid1(SALU_CYCLE_1)
	s_xor_b32 s1, s0, -1
	s_and_saveexec_b32 s2, s1
	s_delay_alu instid0(SALU_CYCLE_1)
	s_xor_b32 s1, exec_lo, s2
	s_cbranch_execz .LBB164_10
; %bb.9:
	v_lshl_add_u32 v8, v13, 3, v33
	ds_load_b64 v[8:9], v8 offset:8
.LBB164_10:
	s_or_saveexec_b32 s1, s1
	v_dual_mov_b32 v11, v7 :: v_dual_mov_b32 v10, v6
	s_xor_b32 exec_lo, exec_lo, s1
	s_cbranch_execz .LBB164_12
; %bb.11:
	s_waitcnt lgkmcnt(0)
	v_lshl_add_u32 v8, v12, 3, v33
	ds_load_b64 v[10:11], v8 offset:8
	v_dual_mov_b32 v9, v5 :: v_dual_mov_b32 v8, v4
.LBB164_12:
	s_or_b32 exec_lo, exec_lo, s1
	v_add_nc_u32_e32 v14, 1, v13
	v_add_nc_u32_e32 v15, 1, v12
	s_waitcnt lgkmcnt(0)
	v_cmp_lt_i64_e64 s1, v[10:11], v[8:9]
	s_delay_alu instid0(VALU_DEP_3) | instskip(NEXT) | instid1(VALU_DEP_3)
	v_cndmask_b32_e64 v17, v14, v13, s0
	v_cndmask_b32_e64 v16, v12, v15, s0
                                        ; implicit-def: $vgpr12_vgpr13
	s_delay_alu instid0(VALU_DEP_2) | instskip(NEXT) | instid1(VALU_DEP_2)
	v_cmp_ge_i32_e64 s2, v17, v38
	v_cmp_lt_i32_e64 s3, v16, v37
	s_delay_alu instid0(VALU_DEP_2)
	s_or_b32 s1, s2, s1
	s_delay_alu instid0(VALU_DEP_1) | instid1(SALU_CYCLE_1)
	s_and_b32 s1, s3, s1
	s_delay_alu instid0(SALU_CYCLE_1) | instskip(NEXT) | instid1(SALU_CYCLE_1)
	s_xor_b32 s2, s1, -1
	s_and_saveexec_b32 s3, s2
	s_delay_alu instid0(SALU_CYCLE_1)
	s_xor_b32 s2, exec_lo, s3
	s_cbranch_execz .LBB164_14
; %bb.13:
	v_lshl_add_u32 v12, v17, 3, v33
	ds_load_b64 v[12:13], v12 offset:8
.LBB164_14:
	s_or_saveexec_b32 s2, s2
	v_dual_mov_b32 v15, v11 :: v_dual_mov_b32 v14, v10
	s_xor_b32 exec_lo, exec_lo, s2
	s_cbranch_execz .LBB164_16
; %bb.15:
	s_waitcnt lgkmcnt(0)
	v_lshl_add_u32 v12, v16, 3, v33
	ds_load_b64 v[14:15], v12 offset:8
	v_dual_mov_b32 v13, v9 :: v_dual_mov_b32 v12, v8
.LBB164_16:
	s_or_b32 exec_lo, exec_lo, s2
	v_add_nc_u32_e32 v18, 1, v17
	v_add_nc_u32_e32 v19, 1, v16
	s_waitcnt lgkmcnt(0)
	v_cmp_lt_i64_e64 s2, v[14:15], v[12:13]
	s_delay_alu instid0(VALU_DEP_3) | instskip(NEXT) | instid1(VALU_DEP_3)
	v_cndmask_b32_e64 v21, v18, v17, s1
	v_cndmask_b32_e64 v20, v16, v19, s1
                                        ; implicit-def: $vgpr16_vgpr17
	s_delay_alu instid0(VALU_DEP_2) | instskip(NEXT) | instid1(VALU_DEP_2)
	v_cmp_ge_i32_e64 s3, v21, v38
	v_cmp_lt_i32_e64 s4, v20, v37
	s_delay_alu instid0(VALU_DEP_2)
	s_or_b32 s2, s3, s2
	s_delay_alu instid0(VALU_DEP_1) | instid1(SALU_CYCLE_1)
	s_and_b32 s2, s4, s2
	s_delay_alu instid0(SALU_CYCLE_1) | instskip(NEXT) | instid1(SALU_CYCLE_1)
	s_xor_b32 s3, s2, -1
	s_and_saveexec_b32 s4, s3
	s_delay_alu instid0(SALU_CYCLE_1)
	s_xor_b32 s3, exec_lo, s4
	s_cbranch_execz .LBB164_18
; %bb.17:
	v_lshl_add_u32 v16, v21, 3, v33
	ds_load_b64 v[16:17], v16 offset:8
.LBB164_18:
	s_or_saveexec_b32 s3, s3
	v_dual_mov_b32 v19, v15 :: v_dual_mov_b32 v18, v14
	s_xor_b32 exec_lo, exec_lo, s3
	s_cbranch_execz .LBB164_20
; %bb.19:
	s_waitcnt lgkmcnt(0)
	v_lshl_add_u32 v16, v20, 3, v33
	ds_load_b64 v[18:19], v16 offset:8
	v_dual_mov_b32 v17, v13 :: v_dual_mov_b32 v16, v12
.LBB164_20:
	s_or_b32 exec_lo, exec_lo, s3
	v_add_nc_u32_e32 v22, 1, v21
	v_add_nc_u32_e32 v23, 1, v20
	s_waitcnt lgkmcnt(0)
	v_cmp_lt_i64_e64 s3, v[18:19], v[16:17]
	s_delay_alu instid0(VALU_DEP_3) | instskip(NEXT) | instid1(VALU_DEP_3)
	v_cndmask_b32_e64 v25, v22, v21, s2
	v_cndmask_b32_e64 v24, v20, v23, s2
                                        ; implicit-def: $vgpr20_vgpr21
	s_delay_alu instid0(VALU_DEP_2) | instskip(NEXT) | instid1(VALU_DEP_2)
	v_cmp_ge_i32_e64 s4, v25, v38
	v_cmp_lt_i32_e64 s5, v24, v37
	s_delay_alu instid0(VALU_DEP_2)
	s_or_b32 s3, s4, s3
	s_delay_alu instid0(VALU_DEP_1) | instid1(SALU_CYCLE_1)
	s_and_b32 s3, s5, s3
	s_delay_alu instid0(SALU_CYCLE_1) | instskip(NEXT) | instid1(SALU_CYCLE_1)
	s_xor_b32 s4, s3, -1
	s_and_saveexec_b32 s5, s4
	s_delay_alu instid0(SALU_CYCLE_1)
	s_xor_b32 s4, exec_lo, s5
	s_cbranch_execz .LBB164_22
; %bb.21:
	v_lshl_add_u32 v20, v25, 3, v33
	ds_load_b64 v[20:21], v20 offset:8
.LBB164_22:
	s_or_saveexec_b32 s4, s4
	v_dual_mov_b32 v23, v19 :: v_dual_mov_b32 v22, v18
	s_xor_b32 exec_lo, exec_lo, s4
	s_cbranch_execz .LBB164_24
; %bb.23:
	s_waitcnt lgkmcnt(0)
	v_lshl_add_u32 v20, v24, 3, v33
	ds_load_b64 v[22:23], v20 offset:8
	v_dual_mov_b32 v21, v17 :: v_dual_mov_b32 v20, v16
.LBB164_24:
	s_or_b32 exec_lo, exec_lo, s4
	v_add_nc_u32_e32 v26, 1, v25
	v_add_nc_u32_e32 v27, 1, v24
	s_waitcnt lgkmcnt(0)
	v_cmp_lt_i64_e64 s4, v[22:23], v[20:21]
                                        ; implicit-def: $vgpr28_vgpr29
	s_delay_alu instid0(VALU_DEP_3) | instskip(NEXT) | instid1(VALU_DEP_3)
	v_cndmask_b32_e64 v25, v26, v25, s3
	v_cndmask_b32_e64 v24, v24, v27, s3
	s_delay_alu instid0(VALU_DEP_2) | instskip(NEXT) | instid1(VALU_DEP_2)
	v_cmp_ge_i32_e64 s5, v25, v38
	v_cmp_lt_i32_e64 s6, v24, v37
	s_delay_alu instid0(VALU_DEP_2)
	s_or_b32 s4, s5, s4
	s_delay_alu instid0(VALU_DEP_1) | instid1(SALU_CYCLE_1)
	s_and_b32 s4, s6, s4
	s_delay_alu instid0(SALU_CYCLE_1) | instskip(NEXT) | instid1(SALU_CYCLE_1)
	s_xor_b32 s5, s4, -1
	s_and_saveexec_b32 s6, s5
	s_delay_alu instid0(SALU_CYCLE_1)
	s_xor_b32 s5, exec_lo, s6
	s_cbranch_execz .LBB164_26
; %bb.25:
	v_lshl_add_u32 v26, v25, 3, v33
	ds_load_b64 v[28:29], v26 offset:8
.LBB164_26:
	s_or_saveexec_b32 s5, s5
	v_dual_mov_b32 v31, v23 :: v_dual_mov_b32 v30, v22
	s_xor_b32 exec_lo, exec_lo, s5
	s_cbranch_execz .LBB164_28
; %bb.27:
	v_lshl_add_u32 v26, v24, 3, v33
	s_waitcnt lgkmcnt(0)
	v_dual_mov_b32 v29, v21 :: v_dual_mov_b32 v28, v20
	ds_load_b64 v[30:31], v26 offset:8
.LBB164_28:
	s_or_b32 exec_lo, exec_lo, s5
	v_add_nc_u32_e32 v26, 1, v25
	v_add_nc_u32_e32 v27, 1, v24
	s_waitcnt lgkmcnt(0)
	v_cmp_lt_i64_e64 s5, v[30:31], v[28:29]
	s_delay_alu instid0(VALU_DEP_3) | instskip(NEXT) | instid1(VALU_DEP_3)
	v_cndmask_b32_e64 v39, v26, v25, s4
	v_cndmask_b32_e64 v40, v24, v27, s4
                                        ; implicit-def: $vgpr24_vgpr25
	s_delay_alu instid0(VALU_DEP_2) | instskip(NEXT) | instid1(VALU_DEP_2)
	v_cmp_ge_i32_e64 s6, v39, v38
	v_cmp_lt_i32_e64 s7, v40, v37
	s_delay_alu instid0(VALU_DEP_2)
	s_or_b32 s5, s6, s5
	s_delay_alu instid0(VALU_DEP_1) | instid1(SALU_CYCLE_1)
	s_and_b32 s5, s7, s5
	s_delay_alu instid0(SALU_CYCLE_1) | instskip(NEXT) | instid1(SALU_CYCLE_1)
	s_xor_b32 s6, s5, -1
	s_and_saveexec_b32 s7, s6
	s_delay_alu instid0(SALU_CYCLE_1)
	s_xor_b32 s6, exec_lo, s7
	s_cbranch_execz .LBB164_30
; %bb.29:
	v_lshl_add_u32 v24, v39, 3, v33
	ds_load_b64 v[24:25], v24 offset:8
.LBB164_30:
	s_or_saveexec_b32 s6, s6
	v_dual_mov_b32 v26, v30 :: v_dual_mov_b32 v27, v31
	s_xor_b32 exec_lo, exec_lo, s6
	s_cbranch_execz .LBB164_32
; %bb.31:
	s_waitcnt lgkmcnt(0)
	v_lshl_add_u32 v24, v40, 3, v33
	ds_load_b64 v[26:27], v24 offset:8
	v_dual_mov_b32 v24, v28 :: v_dual_mov_b32 v25, v29
.LBB164_32:
	s_or_b32 exec_lo, exec_lo, s6
	v_add_nc_u32_e32 v42, 1, v39
	v_dual_cndmask_b32 v2, v0, v2 :: v_dual_add_nc_u32 v41, 1, v40
	v_cndmask_b32_e64 v29, v29, v31, s5
	v_cndmask_b32_e64 v28, v28, v30, s5
	s_delay_alu instid0(VALU_DEP_4) | instskip(NEXT) | instid1(VALU_DEP_4)
	v_cndmask_b32_e64 v31, v42, v39, s5
	v_cndmask_b32_e64 v30, v40, v41, s5
	;; [unrolled: 1-line block ×4, first 2 shown]
	s_waitcnt lgkmcnt(0)
	v_cmp_lt_i64_e64 s0, v[26:27], v[24:25]
	v_cndmask_b32_e64 v11, v9, v11, s1
	v_cndmask_b32_e64 v10, v8, v10, s1
	v_cmp_ge_i32_e64 s1, v31, v38
	v_cndmask_b32_e64 v13, v13, v15, s2
	v_cndmask_b32_e64 v12, v12, v14, s2
	v_cmp_lt_i32_e64 s2, v30, v37
	v_dual_cndmask_b32 v3, v1, v3 :: v_dual_and_b32 v4, 24, v36
	s_or_b32 s0, s1, s0
	v_cndmask_b32_e64 v21, v21, v23, s4
	s_delay_alu instid0(VALU_DEP_3) | instskip(SKIP_4) | instid1(VALU_DEP_4)
	s_and_b32 vcc_lo, s2, s0
	v_dual_cndmask_b32 v14, v24, v26 :: v_dual_and_b32 v9, 0x60, v36
	v_cndmask_b32_e32 v15, v25, v27, vcc_lo
	v_cndmask_b32_e64 v20, v20, v22, s4
	v_cndmask_b32_e64 v17, v17, v19, s3
	v_or_b32_e32 v40, 16, v9
	v_add_nc_u32_e32 v39, 32, v9
	v_cndmask_b32_e64 v16, v16, v18, s3
	s_mov_b32 s1, 0
	s_mov_b32 s0, exec_lo
	v_sub_nc_u32_e32 v5, v40, v9
	v_sub_nc_u32_e32 v1, v39, v40
	; wave barrier
	ds_store_2addr_b64 v35, v[2:3], v[6:7] offset1:1
	ds_store_2addr_b64 v35, v[10:11], v[12:13] offset0:2 offset1:3
	ds_store_2addr_b64 v35, v[16:17], v[20:21] offset0:4 offset1:5
	;; [unrolled: 1-line block ×3, first 2 shown]
	v_sub_nc_u32_e32 v0, v4, v1
	v_cmp_ge_i32_e32 vcc_lo, v4, v1
	v_min_i32_e32 v1, v4, v5
	; wave barrier
	s_delay_alu instid0(VALU_DEP_3) | instskip(SKIP_1) | instid1(VALU_DEP_2)
	v_cndmask_b32_e32 v8, 0, v0, vcc_lo
	v_lshl_add_u32 v0, v9, 3, v33
	v_cmpx_lt_i32_e64 v8, v1
	s_cbranch_execz .LBB164_36
; %bb.33:
	v_lshlrev_b32_e32 v2, 3, v4
	s_delay_alu instid0(VALU_DEP_1)
	v_add3_u32 v2, v0, v2, 0x80
	.p2align	6
.LBB164_34:                             ; =>This Inner Loop Header: Depth=1
	v_sub_nc_u32_e32 v3, v1, v8
	s_delay_alu instid0(VALU_DEP_1) | instskip(NEXT) | instid1(VALU_DEP_1)
	v_lshrrev_b32_e32 v5, 31, v3
	v_add_nc_u32_e32 v3, v3, v5
	s_delay_alu instid0(VALU_DEP_1) | instskip(NEXT) | instid1(VALU_DEP_1)
	v_ashrrev_i32_e32 v3, 1, v3
	v_add_nc_u32_e32 v3, v3, v8
	s_delay_alu instid0(VALU_DEP_1) | instskip(SKIP_1) | instid1(VALU_DEP_2)
	v_not_b32_e32 v5, v3
	v_lshl_add_u32 v6, v3, 3, v0
	v_lshl_add_u32 v7, v5, 3, v2
	ds_load_b64 v[5:6], v6
	ds_load_b64 v[10:11], v7
	s_waitcnt lgkmcnt(0)
	v_cmp_lt_i64_e32 vcc_lo, v[10:11], v[5:6]
	v_add_nc_u32_e32 v5, 1, v3
	s_delay_alu instid0(VALU_DEP_1) | instskip(SKIP_1) | instid1(VALU_DEP_1)
	v_cndmask_b32_e32 v8, v5, v8, vcc_lo
	v_cndmask_b32_e32 v1, v1, v3, vcc_lo
	v_cmp_ge_i32_e32 vcc_lo, v8, v1
	s_or_b32 s1, vcc_lo, s1
	s_delay_alu instid0(SALU_CYCLE_1)
	s_and_not1_b32 exec_lo, exec_lo, s1
	s_cbranch_execnz .LBB164_34
; %bb.35:
	s_or_b32 exec_lo, exec_lo, s1
.LBB164_36:
	s_delay_alu instid0(SALU_CYCLE_1) | instskip(SKIP_4) | instid1(VALU_DEP_4)
	s_or_b32 exec_lo, exec_lo, s0
	v_add_nc_u32_e32 v1, v9, v4
	v_lshl_add_u32 v6, v8, 3, v0
	v_add_nc_u32_e32 v4, v40, v4
	v_cmp_lt_i32_e64 s0, 15, v8
	v_sub_nc_u32_e32 v1, v1, v8
	s_delay_alu instid0(VALU_DEP_3) | instskip(NEXT) | instid1(VALU_DEP_2)
	v_sub_nc_u32_e32 v10, v4, v8
                                        ; implicit-def: $vgpr4_vgpr5
	v_lshl_add_u32 v11, v1, 3, v33
	ds_load_b64 v[0:1], v6
	ds_load_b64 v[2:3], v11 offset:128
	v_cmp_gt_i32_e64 s1, v39, v10
	s_waitcnt lgkmcnt(0)
	v_cmp_lt_i64_e32 vcc_lo, v[2:3], v[0:1]
	s_or_b32 s0, s0, vcc_lo
	s_delay_alu instid0(VALU_DEP_2) | instid1(SALU_CYCLE_1)
	s_and_b32 vcc_lo, s1, s0
	s_delay_alu instid0(SALU_CYCLE_1) | instskip(NEXT) | instid1(SALU_CYCLE_1)
	s_xor_b32 s0, vcc_lo, -1
	s_and_saveexec_b32 s1, s0
	s_delay_alu instid0(SALU_CYCLE_1)
	s_xor_b32 s0, exec_lo, s1
	s_cbranch_execz .LBB164_38
; %bb.37:
	ds_load_b64 v[4:5], v6 offset:8
                                        ; implicit-def: $vgpr11
.LBB164_38:
	s_or_saveexec_b32 s0, s0
	v_dual_mov_b32 v7, v3 :: v_dual_mov_b32 v6, v2
	s_xor_b32 exec_lo, exec_lo, s0
	s_cbranch_execz .LBB164_40
; %bb.39:
	ds_load_b64 v[6:7], v11 offset:136
	s_waitcnt lgkmcnt(1)
	v_dual_mov_b32 v5, v1 :: v_dual_mov_b32 v4, v0
.LBB164_40:
	s_or_b32 exec_lo, exec_lo, s0
	v_add_nc_u32_e32 v8, v8, v9
	v_add_nc_u32_e32 v11, 1, v10
	s_waitcnt lgkmcnt(0)
	v_cmp_lt_i64_e64 s0, v[6:7], v[4:5]
	s_delay_alu instid0(VALU_DEP_2) | instskip(NEXT) | instid1(VALU_DEP_1)
	v_dual_cndmask_b32 v12, v10, v11 :: v_dual_add_nc_u32 v9, 1, v8
	v_cndmask_b32_e32 v13, v9, v8, vcc_lo
	s_delay_alu instid0(VALU_DEP_2) | instskip(NEXT) | instid1(VALU_DEP_2)
	v_cmp_lt_i32_e64 s2, v12, v39
                                        ; implicit-def: $vgpr8_vgpr9
	v_cmp_ge_i32_e64 s1, v13, v40
	s_delay_alu instid0(VALU_DEP_1)
	s_or_b32 s0, s1, s0
	s_delay_alu instid0(VALU_DEP_2) | instid1(SALU_CYCLE_1)
	s_and_b32 s0, s2, s0
	s_delay_alu instid0(SALU_CYCLE_1) | instskip(NEXT) | instid1(SALU_CYCLE_1)
	s_xor_b32 s1, s0, -1
	s_and_saveexec_b32 s2, s1
	s_delay_alu instid0(SALU_CYCLE_1)
	s_xor_b32 s1, exec_lo, s2
	s_cbranch_execz .LBB164_42
; %bb.41:
	v_lshl_add_u32 v8, v13, 3, v33
	ds_load_b64 v[8:9], v8 offset:8
.LBB164_42:
	s_or_saveexec_b32 s1, s1
	v_dual_mov_b32 v11, v7 :: v_dual_mov_b32 v10, v6
	s_xor_b32 exec_lo, exec_lo, s1
	s_cbranch_execz .LBB164_44
; %bb.43:
	s_waitcnt lgkmcnt(0)
	v_lshl_add_u32 v8, v12, 3, v33
	ds_load_b64 v[10:11], v8 offset:8
	v_dual_mov_b32 v9, v5 :: v_dual_mov_b32 v8, v4
.LBB164_44:
	s_or_b32 exec_lo, exec_lo, s1
	v_add_nc_u32_e32 v14, 1, v13
	v_add_nc_u32_e32 v15, 1, v12
	s_waitcnt lgkmcnt(0)
	v_cmp_lt_i64_e64 s1, v[10:11], v[8:9]
	s_delay_alu instid0(VALU_DEP_3) | instskip(NEXT) | instid1(VALU_DEP_3)
	v_cndmask_b32_e64 v17, v14, v13, s0
	v_cndmask_b32_e64 v16, v12, v15, s0
                                        ; implicit-def: $vgpr12_vgpr13
	s_delay_alu instid0(VALU_DEP_2) | instskip(NEXT) | instid1(VALU_DEP_2)
	v_cmp_ge_i32_e64 s2, v17, v40
	v_cmp_lt_i32_e64 s3, v16, v39
	s_delay_alu instid0(VALU_DEP_2)
	s_or_b32 s1, s2, s1
	s_delay_alu instid0(VALU_DEP_1) | instid1(SALU_CYCLE_1)
	s_and_b32 s1, s3, s1
	s_delay_alu instid0(SALU_CYCLE_1) | instskip(NEXT) | instid1(SALU_CYCLE_1)
	s_xor_b32 s2, s1, -1
	s_and_saveexec_b32 s3, s2
	s_delay_alu instid0(SALU_CYCLE_1)
	s_xor_b32 s2, exec_lo, s3
	s_cbranch_execz .LBB164_46
; %bb.45:
	v_lshl_add_u32 v12, v17, 3, v33
	ds_load_b64 v[12:13], v12 offset:8
.LBB164_46:
	s_or_saveexec_b32 s2, s2
	v_dual_mov_b32 v15, v11 :: v_dual_mov_b32 v14, v10
	s_xor_b32 exec_lo, exec_lo, s2
	s_cbranch_execz .LBB164_48
; %bb.47:
	s_waitcnt lgkmcnt(0)
	v_lshl_add_u32 v12, v16, 3, v33
	ds_load_b64 v[14:15], v12 offset:8
	v_dual_mov_b32 v13, v9 :: v_dual_mov_b32 v12, v8
.LBB164_48:
	s_or_b32 exec_lo, exec_lo, s2
	v_add_nc_u32_e32 v18, 1, v17
	v_add_nc_u32_e32 v19, 1, v16
	s_waitcnt lgkmcnt(0)
	v_cmp_lt_i64_e64 s2, v[14:15], v[12:13]
	s_delay_alu instid0(VALU_DEP_3) | instskip(NEXT) | instid1(VALU_DEP_3)
	v_cndmask_b32_e64 v21, v18, v17, s1
	v_cndmask_b32_e64 v20, v16, v19, s1
                                        ; implicit-def: $vgpr16_vgpr17
	s_delay_alu instid0(VALU_DEP_2) | instskip(NEXT) | instid1(VALU_DEP_2)
	v_cmp_ge_i32_e64 s3, v21, v40
	v_cmp_lt_i32_e64 s4, v20, v39
	s_delay_alu instid0(VALU_DEP_2)
	s_or_b32 s2, s3, s2
	s_delay_alu instid0(VALU_DEP_1) | instid1(SALU_CYCLE_1)
	s_and_b32 s2, s4, s2
	s_delay_alu instid0(SALU_CYCLE_1) | instskip(NEXT) | instid1(SALU_CYCLE_1)
	s_xor_b32 s3, s2, -1
	s_and_saveexec_b32 s4, s3
	s_delay_alu instid0(SALU_CYCLE_1)
	s_xor_b32 s3, exec_lo, s4
	s_cbranch_execz .LBB164_50
; %bb.49:
	v_lshl_add_u32 v16, v21, 3, v33
	ds_load_b64 v[16:17], v16 offset:8
.LBB164_50:
	s_or_saveexec_b32 s3, s3
	v_dual_mov_b32 v19, v15 :: v_dual_mov_b32 v18, v14
	s_xor_b32 exec_lo, exec_lo, s3
	s_cbranch_execz .LBB164_52
; %bb.51:
	s_waitcnt lgkmcnt(0)
	v_lshl_add_u32 v16, v20, 3, v33
	ds_load_b64 v[18:19], v16 offset:8
	v_dual_mov_b32 v17, v13 :: v_dual_mov_b32 v16, v12
.LBB164_52:
	s_or_b32 exec_lo, exec_lo, s3
	v_add_nc_u32_e32 v22, 1, v21
	v_add_nc_u32_e32 v23, 1, v20
	s_waitcnt lgkmcnt(0)
	v_cmp_lt_i64_e64 s3, v[18:19], v[16:17]
	s_delay_alu instid0(VALU_DEP_3) | instskip(NEXT) | instid1(VALU_DEP_3)
	v_cndmask_b32_e64 v25, v22, v21, s2
	v_cndmask_b32_e64 v24, v20, v23, s2
                                        ; implicit-def: $vgpr20_vgpr21
	s_delay_alu instid0(VALU_DEP_2) | instskip(NEXT) | instid1(VALU_DEP_2)
	v_cmp_ge_i32_e64 s4, v25, v40
	v_cmp_lt_i32_e64 s5, v24, v39
	s_delay_alu instid0(VALU_DEP_2)
	s_or_b32 s3, s4, s3
	s_delay_alu instid0(VALU_DEP_1) | instid1(SALU_CYCLE_1)
	s_and_b32 s3, s5, s3
	s_delay_alu instid0(SALU_CYCLE_1) | instskip(NEXT) | instid1(SALU_CYCLE_1)
	s_xor_b32 s4, s3, -1
	s_and_saveexec_b32 s5, s4
	s_delay_alu instid0(SALU_CYCLE_1)
	s_xor_b32 s4, exec_lo, s5
	s_cbranch_execz .LBB164_54
; %bb.53:
	v_lshl_add_u32 v20, v25, 3, v33
	ds_load_b64 v[20:21], v20 offset:8
.LBB164_54:
	s_or_saveexec_b32 s4, s4
	v_dual_mov_b32 v23, v19 :: v_dual_mov_b32 v22, v18
	s_xor_b32 exec_lo, exec_lo, s4
	s_cbranch_execz .LBB164_56
; %bb.55:
	s_waitcnt lgkmcnt(0)
	v_lshl_add_u32 v20, v24, 3, v33
	ds_load_b64 v[22:23], v20 offset:8
	v_dual_mov_b32 v21, v17 :: v_dual_mov_b32 v20, v16
.LBB164_56:
	s_or_b32 exec_lo, exec_lo, s4
	v_add_nc_u32_e32 v26, 1, v25
	v_add_nc_u32_e32 v27, 1, v24
	s_waitcnt lgkmcnt(0)
	v_cmp_lt_i64_e64 s4, v[22:23], v[20:21]
                                        ; implicit-def: $vgpr28_vgpr29
	s_delay_alu instid0(VALU_DEP_3) | instskip(NEXT) | instid1(VALU_DEP_3)
	v_cndmask_b32_e64 v25, v26, v25, s3
	v_cndmask_b32_e64 v24, v24, v27, s3
	s_delay_alu instid0(VALU_DEP_2) | instskip(NEXT) | instid1(VALU_DEP_2)
	v_cmp_ge_i32_e64 s5, v25, v40
	v_cmp_lt_i32_e64 s6, v24, v39
	s_delay_alu instid0(VALU_DEP_2)
	s_or_b32 s4, s5, s4
	s_delay_alu instid0(VALU_DEP_1) | instid1(SALU_CYCLE_1)
	s_and_b32 s4, s6, s4
	s_delay_alu instid0(SALU_CYCLE_1) | instskip(NEXT) | instid1(SALU_CYCLE_1)
	s_xor_b32 s5, s4, -1
	s_and_saveexec_b32 s6, s5
	s_delay_alu instid0(SALU_CYCLE_1)
	s_xor_b32 s5, exec_lo, s6
	s_cbranch_execz .LBB164_58
; %bb.57:
	v_lshl_add_u32 v26, v25, 3, v33
	ds_load_b64 v[28:29], v26 offset:8
.LBB164_58:
	s_or_saveexec_b32 s5, s5
	v_dual_mov_b32 v31, v23 :: v_dual_mov_b32 v30, v22
	s_xor_b32 exec_lo, exec_lo, s5
	s_cbranch_execz .LBB164_60
; %bb.59:
	v_lshl_add_u32 v26, v24, 3, v33
	s_waitcnt lgkmcnt(0)
	v_dual_mov_b32 v29, v21 :: v_dual_mov_b32 v28, v20
	ds_load_b64 v[30:31], v26 offset:8
.LBB164_60:
	s_or_b32 exec_lo, exec_lo, s5
	v_add_nc_u32_e32 v26, 1, v25
	v_add_nc_u32_e32 v27, 1, v24
	s_waitcnt lgkmcnt(0)
	v_cmp_lt_i64_e64 s5, v[30:31], v[28:29]
	s_delay_alu instid0(VALU_DEP_3) | instskip(NEXT) | instid1(VALU_DEP_3)
	v_cndmask_b32_e64 v37, v26, v25, s4
	v_cndmask_b32_e64 v38, v24, v27, s4
                                        ; implicit-def: $vgpr24_vgpr25
	s_delay_alu instid0(VALU_DEP_2) | instskip(NEXT) | instid1(VALU_DEP_2)
	v_cmp_ge_i32_e64 s6, v37, v40
	v_cmp_lt_i32_e64 s7, v38, v39
	s_delay_alu instid0(VALU_DEP_2)
	s_or_b32 s5, s6, s5
	s_delay_alu instid0(VALU_DEP_1) | instid1(SALU_CYCLE_1)
	s_and_b32 s5, s7, s5
	s_delay_alu instid0(SALU_CYCLE_1) | instskip(NEXT) | instid1(SALU_CYCLE_1)
	s_xor_b32 s6, s5, -1
	s_and_saveexec_b32 s7, s6
	s_delay_alu instid0(SALU_CYCLE_1)
	s_xor_b32 s6, exec_lo, s7
	s_cbranch_execz .LBB164_62
; %bb.61:
	v_lshl_add_u32 v24, v37, 3, v33
	ds_load_b64 v[24:25], v24 offset:8
.LBB164_62:
	s_or_saveexec_b32 s6, s6
	v_dual_mov_b32 v26, v30 :: v_dual_mov_b32 v27, v31
	s_xor_b32 exec_lo, exec_lo, s6
	s_cbranch_execz .LBB164_64
; %bb.63:
	s_waitcnt lgkmcnt(0)
	v_lshl_add_u32 v24, v38, 3, v33
	ds_load_b64 v[26:27], v24 offset:8
	v_dual_mov_b32 v24, v28 :: v_dual_mov_b32 v25, v29
.LBB164_64:
	s_or_b32 exec_lo, exec_lo, s6
	v_dual_cndmask_b32 v3, v1, v3 :: v_dual_add_nc_u32 v42, 1, v37
	v_add_nc_u32_e32 v41, 1, v38
	v_cndmask_b32_e64 v29, v29, v31, s5
	v_cndmask_b32_e64 v28, v28, v30, s5
	s_delay_alu instid0(VALU_DEP_4)
	v_cndmask_b32_e64 v31, v42, v37, s5
	v_cndmask_b32_e64 v7, v5, v7, s0
	;; [unrolled: 1-line block ×4, first 2 shown]
	s_waitcnt lgkmcnt(0)
	v_cmp_lt_i64_e64 s0, v[26:27], v[24:25]
	v_cndmask_b32_e64 v11, v9, v11, s1
	v_cndmask_b32_e64 v10, v8, v10, s1
	v_cmp_ge_i32_e64 s1, v31, v40
	v_cndmask_b32_e64 v13, v13, v15, s2
	v_cndmask_b32_e64 v12, v12, v14, s2
	v_dual_cndmask_b32 v2, v0, v2 :: v_dual_and_b32 v9, 64, v36
	v_cmp_lt_i32_e64 s2, v30, v39
	s_or_b32 s0, s1, s0
	v_cndmask_b32_e64 v21, v21, v23, s4
	s_delay_alu instid0(VALU_DEP_3)
	v_or_b32_e32 v38, 32, v9
	v_cndmask_b32_e64 v20, v20, v22, s4
	s_and_b32 vcc_lo, s2, s0
	v_dual_cndmask_b32 v14, v24, v26 :: v_dual_add_nc_u32 v37, 64, v9
	v_dual_cndmask_b32 v15, v25, v27 :: v_dual_and_b32 v4, 56, v36
	v_sub_nc_u32_e32 v5, v38, v9
	s_delay_alu instid0(VALU_DEP_3)
	v_sub_nc_u32_e32 v1, v37, v38
	v_cndmask_b32_e64 v17, v17, v19, s3
	v_cndmask_b32_e64 v16, v16, v18, s3
	s_mov_b32 s1, 0
	s_mov_b32 s0, exec_lo
	v_sub_nc_u32_e32 v0, v4, v1
	v_cmp_ge_i32_e32 vcc_lo, v4, v1
	v_min_i32_e32 v1, v4, v5
	; wave barrier
	ds_store_2addr_b64 v35, v[2:3], v[6:7] offset1:1
	ds_store_2addr_b64 v35, v[10:11], v[12:13] offset0:2 offset1:3
	v_cndmask_b32_e32 v8, 0, v0, vcc_lo
	v_lshl_add_u32 v0, v9, 3, v33
	ds_store_2addr_b64 v35, v[16:17], v[20:21] offset0:4 offset1:5
	ds_store_2addr_b64 v35, v[28:29], v[14:15] offset0:6 offset1:7
	; wave barrier
	v_cmpx_lt_i32_e64 v8, v1
	s_cbranch_execz .LBB164_68
; %bb.65:
	v_lshlrev_b32_e32 v2, 3, v4
	s_delay_alu instid0(VALU_DEP_1)
	v_add3_u32 v2, v0, v2, 0x100
	.p2align	6
.LBB164_66:                             ; =>This Inner Loop Header: Depth=1
	v_sub_nc_u32_e32 v3, v1, v8
	s_delay_alu instid0(VALU_DEP_1) | instskip(NEXT) | instid1(VALU_DEP_1)
	v_lshrrev_b32_e32 v5, 31, v3
	v_add_nc_u32_e32 v3, v3, v5
	s_delay_alu instid0(VALU_DEP_1) | instskip(NEXT) | instid1(VALU_DEP_1)
	v_ashrrev_i32_e32 v3, 1, v3
	v_add_nc_u32_e32 v3, v3, v8
	s_delay_alu instid0(VALU_DEP_1) | instskip(SKIP_1) | instid1(VALU_DEP_2)
	v_not_b32_e32 v5, v3
	v_lshl_add_u32 v6, v3, 3, v0
	v_lshl_add_u32 v7, v5, 3, v2
	ds_load_b64 v[5:6], v6
	ds_load_b64 v[10:11], v7
	s_waitcnt lgkmcnt(0)
	v_cmp_lt_i64_e32 vcc_lo, v[10:11], v[5:6]
	v_add_nc_u32_e32 v5, 1, v3
	s_delay_alu instid0(VALU_DEP_1) | instskip(SKIP_1) | instid1(VALU_DEP_1)
	v_cndmask_b32_e32 v8, v5, v8, vcc_lo
	v_cndmask_b32_e32 v1, v1, v3, vcc_lo
	v_cmp_ge_i32_e32 vcc_lo, v8, v1
	s_or_b32 s1, vcc_lo, s1
	s_delay_alu instid0(SALU_CYCLE_1)
	s_and_not1_b32 exec_lo, exec_lo, s1
	s_cbranch_execnz .LBB164_66
; %bb.67:
	s_or_b32 exec_lo, exec_lo, s1
.LBB164_68:
	s_delay_alu instid0(SALU_CYCLE_1) | instskip(SKIP_4) | instid1(VALU_DEP_4)
	s_or_b32 exec_lo, exec_lo, s0
	v_add_nc_u32_e32 v1, v9, v4
	v_lshl_add_u32 v6, v8, 3, v0
	v_add_nc_u32_e32 v4, v38, v4
	v_cmp_lt_i32_e64 s0, 31, v8
	v_sub_nc_u32_e32 v1, v1, v8
	s_delay_alu instid0(VALU_DEP_3) | instskip(NEXT) | instid1(VALU_DEP_2)
	v_sub_nc_u32_e32 v10, v4, v8
                                        ; implicit-def: $vgpr4_vgpr5
	v_lshl_add_u32 v11, v1, 3, v33
	ds_load_b64 v[0:1], v6
	ds_load_b64 v[2:3], v11 offset:256
	v_cmp_gt_i32_e64 s1, v37, v10
	s_waitcnt lgkmcnt(0)
	v_cmp_lt_i64_e32 vcc_lo, v[2:3], v[0:1]
	s_or_b32 s0, s0, vcc_lo
	s_delay_alu instid0(VALU_DEP_2) | instid1(SALU_CYCLE_1)
	s_and_b32 vcc_lo, s1, s0
	s_delay_alu instid0(SALU_CYCLE_1) | instskip(NEXT) | instid1(SALU_CYCLE_1)
	s_xor_b32 s0, vcc_lo, -1
	s_and_saveexec_b32 s1, s0
	s_delay_alu instid0(SALU_CYCLE_1)
	s_xor_b32 s0, exec_lo, s1
	s_cbranch_execz .LBB164_70
; %bb.69:
	ds_load_b64 v[4:5], v6 offset:8
                                        ; implicit-def: $vgpr11
.LBB164_70:
	s_or_saveexec_b32 s0, s0
	v_dual_mov_b32 v7, v3 :: v_dual_mov_b32 v6, v2
	s_xor_b32 exec_lo, exec_lo, s0
	s_cbranch_execz .LBB164_72
; %bb.71:
	ds_load_b64 v[6:7], v11 offset:264
	s_waitcnt lgkmcnt(1)
	v_dual_mov_b32 v5, v1 :: v_dual_mov_b32 v4, v0
.LBB164_72:
	s_or_b32 exec_lo, exec_lo, s0
	v_add_nc_u32_e32 v8, v8, v9
	v_add_nc_u32_e32 v11, 1, v10
	s_waitcnt lgkmcnt(0)
	v_cmp_lt_i64_e64 s0, v[6:7], v[4:5]
	s_delay_alu instid0(VALU_DEP_2) | instskip(NEXT) | instid1(VALU_DEP_1)
	v_dual_cndmask_b32 v12, v10, v11 :: v_dual_add_nc_u32 v9, 1, v8
	v_cndmask_b32_e32 v13, v9, v8, vcc_lo
	s_delay_alu instid0(VALU_DEP_2) | instskip(NEXT) | instid1(VALU_DEP_2)
	v_cmp_lt_i32_e64 s2, v12, v37
                                        ; implicit-def: $vgpr8_vgpr9
	v_cmp_ge_i32_e64 s1, v13, v38
	s_delay_alu instid0(VALU_DEP_1)
	s_or_b32 s0, s1, s0
	s_delay_alu instid0(VALU_DEP_2) | instid1(SALU_CYCLE_1)
	s_and_b32 s0, s2, s0
	s_delay_alu instid0(SALU_CYCLE_1) | instskip(NEXT) | instid1(SALU_CYCLE_1)
	s_xor_b32 s1, s0, -1
	s_and_saveexec_b32 s2, s1
	s_delay_alu instid0(SALU_CYCLE_1)
	s_xor_b32 s1, exec_lo, s2
	s_cbranch_execz .LBB164_74
; %bb.73:
	v_lshl_add_u32 v8, v13, 3, v33
	ds_load_b64 v[8:9], v8 offset:8
.LBB164_74:
	s_or_saveexec_b32 s1, s1
	v_dual_mov_b32 v11, v7 :: v_dual_mov_b32 v10, v6
	s_xor_b32 exec_lo, exec_lo, s1
	s_cbranch_execz .LBB164_76
; %bb.75:
	s_waitcnt lgkmcnt(0)
	v_lshl_add_u32 v8, v12, 3, v33
	ds_load_b64 v[10:11], v8 offset:8
	v_dual_mov_b32 v9, v5 :: v_dual_mov_b32 v8, v4
.LBB164_76:
	s_or_b32 exec_lo, exec_lo, s1
	v_add_nc_u32_e32 v14, 1, v13
	v_add_nc_u32_e32 v15, 1, v12
	s_waitcnt lgkmcnt(0)
	v_cmp_lt_i64_e64 s1, v[10:11], v[8:9]
	s_delay_alu instid0(VALU_DEP_3) | instskip(NEXT) | instid1(VALU_DEP_3)
	v_cndmask_b32_e64 v17, v14, v13, s0
	v_cndmask_b32_e64 v16, v12, v15, s0
                                        ; implicit-def: $vgpr12_vgpr13
	s_delay_alu instid0(VALU_DEP_2) | instskip(NEXT) | instid1(VALU_DEP_2)
	v_cmp_ge_i32_e64 s2, v17, v38
	v_cmp_lt_i32_e64 s3, v16, v37
	s_delay_alu instid0(VALU_DEP_2)
	s_or_b32 s1, s2, s1
	s_delay_alu instid0(VALU_DEP_1) | instid1(SALU_CYCLE_1)
	s_and_b32 s1, s3, s1
	s_delay_alu instid0(SALU_CYCLE_1) | instskip(NEXT) | instid1(SALU_CYCLE_1)
	s_xor_b32 s2, s1, -1
	s_and_saveexec_b32 s3, s2
	s_delay_alu instid0(SALU_CYCLE_1)
	s_xor_b32 s2, exec_lo, s3
	s_cbranch_execz .LBB164_78
; %bb.77:
	v_lshl_add_u32 v12, v17, 3, v33
	ds_load_b64 v[12:13], v12 offset:8
.LBB164_78:
	s_or_saveexec_b32 s2, s2
	v_dual_mov_b32 v15, v11 :: v_dual_mov_b32 v14, v10
	s_xor_b32 exec_lo, exec_lo, s2
	s_cbranch_execz .LBB164_80
; %bb.79:
	s_waitcnt lgkmcnt(0)
	v_lshl_add_u32 v12, v16, 3, v33
	ds_load_b64 v[14:15], v12 offset:8
	v_dual_mov_b32 v13, v9 :: v_dual_mov_b32 v12, v8
.LBB164_80:
	s_or_b32 exec_lo, exec_lo, s2
	v_add_nc_u32_e32 v18, 1, v17
	v_add_nc_u32_e32 v19, 1, v16
	s_waitcnt lgkmcnt(0)
	v_cmp_lt_i64_e64 s2, v[14:15], v[12:13]
	s_delay_alu instid0(VALU_DEP_3) | instskip(NEXT) | instid1(VALU_DEP_3)
	v_cndmask_b32_e64 v21, v18, v17, s1
	v_cndmask_b32_e64 v20, v16, v19, s1
                                        ; implicit-def: $vgpr16_vgpr17
	s_delay_alu instid0(VALU_DEP_2) | instskip(NEXT) | instid1(VALU_DEP_2)
	v_cmp_ge_i32_e64 s3, v21, v38
	v_cmp_lt_i32_e64 s4, v20, v37
	s_delay_alu instid0(VALU_DEP_2)
	s_or_b32 s2, s3, s2
	s_delay_alu instid0(VALU_DEP_1) | instid1(SALU_CYCLE_1)
	s_and_b32 s2, s4, s2
	s_delay_alu instid0(SALU_CYCLE_1) | instskip(NEXT) | instid1(SALU_CYCLE_1)
	s_xor_b32 s3, s2, -1
	s_and_saveexec_b32 s4, s3
	s_delay_alu instid0(SALU_CYCLE_1)
	s_xor_b32 s3, exec_lo, s4
	s_cbranch_execz .LBB164_82
; %bb.81:
	v_lshl_add_u32 v16, v21, 3, v33
	ds_load_b64 v[16:17], v16 offset:8
.LBB164_82:
	s_or_saveexec_b32 s3, s3
	v_dual_mov_b32 v19, v15 :: v_dual_mov_b32 v18, v14
	s_xor_b32 exec_lo, exec_lo, s3
	s_cbranch_execz .LBB164_84
; %bb.83:
	s_waitcnt lgkmcnt(0)
	v_lshl_add_u32 v16, v20, 3, v33
	ds_load_b64 v[18:19], v16 offset:8
	v_dual_mov_b32 v17, v13 :: v_dual_mov_b32 v16, v12
.LBB164_84:
	s_or_b32 exec_lo, exec_lo, s3
	v_add_nc_u32_e32 v22, 1, v21
	v_add_nc_u32_e32 v23, 1, v20
	s_waitcnt lgkmcnt(0)
	v_cmp_lt_i64_e64 s3, v[18:19], v[16:17]
	s_delay_alu instid0(VALU_DEP_3) | instskip(NEXT) | instid1(VALU_DEP_3)
	v_cndmask_b32_e64 v25, v22, v21, s2
	v_cndmask_b32_e64 v24, v20, v23, s2
                                        ; implicit-def: $vgpr20_vgpr21
	s_delay_alu instid0(VALU_DEP_2) | instskip(NEXT) | instid1(VALU_DEP_2)
	v_cmp_ge_i32_e64 s4, v25, v38
	v_cmp_lt_i32_e64 s5, v24, v37
	s_delay_alu instid0(VALU_DEP_2)
	s_or_b32 s3, s4, s3
	s_delay_alu instid0(VALU_DEP_1) | instid1(SALU_CYCLE_1)
	s_and_b32 s3, s5, s3
	s_delay_alu instid0(SALU_CYCLE_1) | instskip(NEXT) | instid1(SALU_CYCLE_1)
	s_xor_b32 s4, s3, -1
	s_and_saveexec_b32 s5, s4
	s_delay_alu instid0(SALU_CYCLE_1)
	s_xor_b32 s4, exec_lo, s5
	s_cbranch_execz .LBB164_86
; %bb.85:
	v_lshl_add_u32 v20, v25, 3, v33
	ds_load_b64 v[20:21], v20 offset:8
.LBB164_86:
	s_or_saveexec_b32 s4, s4
	v_dual_mov_b32 v23, v19 :: v_dual_mov_b32 v22, v18
	s_xor_b32 exec_lo, exec_lo, s4
	s_cbranch_execz .LBB164_88
; %bb.87:
	s_waitcnt lgkmcnt(0)
	v_lshl_add_u32 v20, v24, 3, v33
	ds_load_b64 v[22:23], v20 offset:8
	v_dual_mov_b32 v21, v17 :: v_dual_mov_b32 v20, v16
.LBB164_88:
	s_or_b32 exec_lo, exec_lo, s4
	v_add_nc_u32_e32 v26, 1, v25
	v_add_nc_u32_e32 v27, 1, v24
	s_waitcnt lgkmcnt(0)
	v_cmp_lt_i64_e64 s4, v[22:23], v[20:21]
	s_delay_alu instid0(VALU_DEP_3) | instskip(NEXT) | instid1(VALU_DEP_3)
	v_cndmask_b32_e64 v29, v26, v25, s3
	v_cndmask_b32_e64 v28, v24, v27, s3
                                        ; implicit-def: $vgpr24_vgpr25
	s_delay_alu instid0(VALU_DEP_2) | instskip(NEXT) | instid1(VALU_DEP_2)
	v_cmp_ge_i32_e64 s5, v29, v38
	v_cmp_lt_i32_e64 s6, v28, v37
	s_delay_alu instid0(VALU_DEP_2)
	s_or_b32 s4, s5, s4
	s_delay_alu instid0(VALU_DEP_1) | instid1(SALU_CYCLE_1)
	s_and_b32 s4, s6, s4
	s_delay_alu instid0(SALU_CYCLE_1) | instskip(NEXT) | instid1(SALU_CYCLE_1)
	s_xor_b32 s5, s4, -1
	s_and_saveexec_b32 s6, s5
	s_delay_alu instid0(SALU_CYCLE_1)
	s_xor_b32 s5, exec_lo, s6
	s_cbranch_execz .LBB164_90
; %bb.89:
	v_lshl_add_u32 v24, v29, 3, v33
	ds_load_b64 v[24:25], v24 offset:8
.LBB164_90:
	s_or_saveexec_b32 s5, s5
	v_dual_mov_b32 v27, v23 :: v_dual_mov_b32 v26, v22
	s_xor_b32 exec_lo, exec_lo, s5
	s_cbranch_execz .LBB164_92
; %bb.91:
	s_waitcnt lgkmcnt(0)
	v_lshl_add_u32 v24, v28, 3, v33
	ds_load_b64 v[26:27], v24 offset:8
	v_dual_mov_b32 v25, v21 :: v_dual_mov_b32 v24, v20
.LBB164_92:
	s_or_b32 exec_lo, exec_lo, s5
	v_add_nc_u32_e32 v30, 1, v29
	v_add_nc_u32_e32 v31, 1, v28
	s_waitcnt lgkmcnt(0)
	v_cmp_lt_i64_e64 s5, v[26:27], v[24:25]
	s_delay_alu instid0(VALU_DEP_3) | instskip(NEXT) | instid1(VALU_DEP_3)
	v_cndmask_b32_e64 v36, v30, v29, s4
	v_cndmask_b32_e64 v39, v28, v31, s4
                                        ; implicit-def: $vgpr28_vgpr29
	s_delay_alu instid0(VALU_DEP_2) | instskip(NEXT) | instid1(VALU_DEP_2)
	v_cmp_ge_i32_e64 s6, v36, v38
	v_cmp_lt_i32_e64 s7, v39, v37
	s_delay_alu instid0(VALU_DEP_2)
	s_or_b32 s5, s6, s5
	s_delay_alu instid0(VALU_DEP_1) | instid1(SALU_CYCLE_1)
	s_and_b32 s5, s7, s5
	s_delay_alu instid0(SALU_CYCLE_1) | instskip(NEXT) | instid1(SALU_CYCLE_1)
	s_xor_b32 s6, s5, -1
	s_and_saveexec_b32 s7, s6
	s_delay_alu instid0(SALU_CYCLE_1)
	s_xor_b32 s6, exec_lo, s7
	s_cbranch_execz .LBB164_94
; %bb.93:
	v_lshl_add_u32 v28, v36, 3, v33
	ds_load_b64 v[28:29], v28 offset:8
.LBB164_94:
	s_or_saveexec_b32 s6, s6
	v_dual_mov_b32 v31, v27 :: v_dual_mov_b32 v30, v26
	s_xor_b32 exec_lo, exec_lo, s6
	s_cbranch_execz .LBB164_96
; %bb.95:
	s_waitcnt lgkmcnt(0)
	v_lshl_add_u32 v28, v39, 3, v33
	ds_load_b64 v[30:31], v28 offset:8
	v_dual_mov_b32 v29, v25 :: v_dual_mov_b32 v28, v24
.LBB164_96:
	s_or_b32 exec_lo, exec_lo, s6
	v_dual_cndmask_b32 v2, v0, v2 :: v_dual_add_nc_u32 v41, 1, v36
	v_add_nc_u32_e32 v40, 1, v39
	v_cndmask_b32_e64 v25, v25, v27, s5
	v_cndmask_b32_e64 v24, v24, v26, s5
	s_delay_alu instid0(VALU_DEP_4)
	v_cndmask_b32_e64 v27, v41, v36, s5
	v_cndmask_b32_e64 v9, v9, v11, s1
	;; [unrolled: 1-line block ×4, first 2 shown]
	s_waitcnt lgkmcnt(0)
	v_cmp_lt_i64_e64 s1, v[30:31], v[28:29]
	v_cndmask_b32_e64 v13, v13, v15, s2
	v_cndmask_b32_e64 v12, v12, v14, s2
	v_cmp_ge_i32_e64 s2, v27, v38
	v_cndmask_b32_e64 v17, v17, v19, s3
	v_cndmask_b32_e64 v16, v16, v18, s3
	v_cmp_lt_i32_e64 s3, v26, v37
	v_cndmask_b32_e64 v5, v5, v7, s0
	v_cndmask_b32_e64 v4, v4, v6, s0
	s_or_b32 s0, s2, s1
	v_cndmask_b32_e32 v3, v1, v3, vcc_lo
	v_sub_nc_u32_e64 v0, v34, 64 clamp
	v_min_i32_e32 v1, 64, v34
	s_and_b32 vcc_lo, s3, s0
	v_cndmask_b32_e64 v21, v21, v23, s4
	v_cndmask_b32_e32 v6, v28, v30, vcc_lo
	v_cndmask_b32_e64 v20, v20, v22, s4
	v_cndmask_b32_e32 v7, v29, v31, vcc_lo
	s_mov_b32 s0, exec_lo
	; wave barrier
	ds_store_2addr_b64 v35, v[2:3], v[4:5] offset1:1
	ds_store_2addr_b64 v35, v[8:9], v[12:13] offset0:2 offset1:3
	ds_store_2addr_b64 v35, v[16:17], v[20:21] offset0:4 offset1:5
	;; [unrolled: 1-line block ×3, first 2 shown]
	; wave barrier
	v_cmpx_lt_u32_e64 v0, v1
	s_cbranch_execz .LBB164_100
; %bb.97:
	v_add_nc_u32_e32 v2, 0x200, v35
	s_mov_b32 s1, 0
	.p2align	6
.LBB164_98:                             ; =>This Inner Loop Header: Depth=1
	v_sub_nc_u32_e32 v3, v1, v0
	s_delay_alu instid0(VALU_DEP_1) | instskip(NEXT) | instid1(VALU_DEP_1)
	v_lshrrev_b32_e32 v4, 31, v3
	v_add_nc_u32_e32 v3, v3, v4
	s_delay_alu instid0(VALU_DEP_1) | instskip(NEXT) | instid1(VALU_DEP_1)
	v_ashrrev_i32_e32 v3, 1, v3
	v_add_nc_u32_e32 v7, v3, v0
	s_delay_alu instid0(VALU_DEP_1) | instskip(SKIP_1) | instid1(VALU_DEP_2)
	v_not_b32_e32 v3, v7
	v_lshl_add_u32 v4, v7, 3, v33
	v_lshl_add_u32 v5, v3, 3, v2
	ds_load_b64 v[3:4], v4
	ds_load_b64 v[5:6], v5
	s_waitcnt lgkmcnt(0)
	v_cmp_lt_i64_e32 vcc_lo, v[5:6], v[3:4]
	v_add_nc_u32_e32 v3, 1, v7
	s_delay_alu instid0(VALU_DEP_1) | instskip(NEXT) | instid1(VALU_DEP_1)
	v_dual_cndmask_b32 v1, v1, v7 :: v_dual_cndmask_b32 v0, v3, v0
	v_cmp_ge_i32_e32 vcc_lo, v0, v1
	s_or_b32 s1, vcc_lo, s1
	s_delay_alu instid0(SALU_CYCLE_1)
	s_and_not1_b32 exec_lo, exec_lo, s1
	s_cbranch_execnz .LBB164_98
; %bb.99:
	s_or_b32 exec_lo, exec_lo, s1
.LBB164_100:
	s_delay_alu instid0(SALU_CYCLE_1) | instskip(SKIP_3) | instid1(VALU_DEP_3)
	s_or_b32 exec_lo, exec_lo, s0
	v_sub_nc_u32_e32 v1, v34, v0
	v_lshl_add_u32 v8, v0, 3, v33
	v_cmp_lt_i32_e64 s0, 63, v0
                                        ; implicit-def: $vgpr6_vgpr7
	v_lshl_add_u32 v10, v1, 3, v33
	v_add_nc_u32_e32 v1, 64, v1
	ds_load_b64 v[2:3], v8
	ds_load_b64 v[4:5], v10 offset:512
	v_cmp_gt_i32_e64 s1, 0x80, v1
	s_waitcnt lgkmcnt(0)
	v_cmp_lt_i64_e32 vcc_lo, v[4:5], v[2:3]
	s_or_b32 s0, s0, vcc_lo
	s_delay_alu instid0(VALU_DEP_2) | instid1(SALU_CYCLE_1)
	s_and_b32 vcc_lo, s1, s0
	s_delay_alu instid0(SALU_CYCLE_1) | instskip(NEXT) | instid1(SALU_CYCLE_1)
	s_xor_b32 s0, vcc_lo, -1
	s_and_saveexec_b32 s1, s0
	s_delay_alu instid0(SALU_CYCLE_1)
	s_xor_b32 s0, exec_lo, s1
	s_cbranch_execz .LBB164_102
; %bb.101:
	ds_load_b64 v[6:7], v8 offset:8
                                        ; implicit-def: $vgpr10
.LBB164_102:
	s_or_saveexec_b32 s0, s0
	v_dual_mov_b32 v9, v5 :: v_dual_mov_b32 v8, v4
	s_xor_b32 exec_lo, exec_lo, s0
	s_cbranch_execz .LBB164_104
; %bb.103:
	ds_load_b64 v[8:9], v10 offset:520
	s_waitcnt lgkmcnt(1)
	v_dual_mov_b32 v7, v3 :: v_dual_mov_b32 v6, v2
.LBB164_104:
	s_or_b32 exec_lo, exec_lo, s0
	v_add_nc_u32_e32 v10, 1, v0
	v_add_nc_u32_e32 v11, 1, v1
	s_waitcnt lgkmcnt(0)
	v_cmp_lt_i64_e64 s0, v[8:9], v[6:7]
	s_delay_alu instid0(VALU_DEP_3) | instskip(NEXT) | instid1(VALU_DEP_3)
	v_cndmask_b32_e32 v14, v10, v0, vcc_lo
	v_cndmask_b32_e32 v0, v1, v11, vcc_lo
                                        ; implicit-def: $vgpr10_vgpr11
	s_delay_alu instid0(VALU_DEP_2) | instskip(NEXT) | instid1(VALU_DEP_2)
	v_cmp_lt_i32_e64 s1, 63, v14
	v_cmp_gt_i32_e64 s2, 0x80, v0
	s_delay_alu instid0(VALU_DEP_2)
	s_or_b32 s0, s1, s0
	s_delay_alu instid0(VALU_DEP_1) | instid1(SALU_CYCLE_1)
	s_and_b32 s0, s2, s0
	s_delay_alu instid0(SALU_CYCLE_1) | instskip(NEXT) | instid1(SALU_CYCLE_1)
	s_xor_b32 s1, s0, -1
	s_and_saveexec_b32 s2, s1
	s_delay_alu instid0(SALU_CYCLE_1)
	s_xor_b32 s1, exec_lo, s2
	s_cbranch_execz .LBB164_106
; %bb.105:
	v_lshl_add_u32 v1, v14, 3, v33
	ds_load_b64 v[10:11], v1 offset:8
.LBB164_106:
	s_or_saveexec_b32 s1, s1
	v_dual_mov_b32 v13, v9 :: v_dual_mov_b32 v12, v8
	s_xor_b32 exec_lo, exec_lo, s1
	s_cbranch_execz .LBB164_108
; %bb.107:
	v_lshl_add_u32 v1, v0, 3, v33
	s_waitcnt lgkmcnt(0)
	v_dual_mov_b32 v11, v7 :: v_dual_mov_b32 v10, v6
	ds_load_b64 v[12:13], v1 offset:8
.LBB164_108:
	s_or_b32 exec_lo, exec_lo, s1
	v_add_nc_u32_e32 v1, 1, v14
	v_add_nc_u32_e32 v15, 1, v0
	s_waitcnt lgkmcnt(0)
	v_cmp_lt_i64_e64 s1, v[12:13], v[10:11]
	s_delay_alu instid0(VALU_DEP_3) | instskip(NEXT) | instid1(VALU_DEP_3)
	v_cndmask_b32_e64 v1, v1, v14, s0
	v_cndmask_b32_e64 v0, v0, v15, s0
                                        ; implicit-def: $vgpr14_vgpr15
	s_delay_alu instid0(VALU_DEP_2) | instskip(NEXT) | instid1(VALU_DEP_2)
	v_cmp_lt_i32_e64 s2, 63, v1
	v_cmp_gt_i32_e64 s3, 0x80, v0
	s_delay_alu instid0(VALU_DEP_2)
	s_or_b32 s1, s2, s1
	s_delay_alu instid0(VALU_DEP_1) | instid1(SALU_CYCLE_1)
	s_and_b32 s1, s3, s1
	s_delay_alu instid0(SALU_CYCLE_1) | instskip(NEXT) | instid1(SALU_CYCLE_1)
	s_xor_b32 s2, s1, -1
	s_and_saveexec_b32 s3, s2
	s_delay_alu instid0(SALU_CYCLE_1)
	s_xor_b32 s2, exec_lo, s3
	s_cbranch_execz .LBB164_110
; %bb.109:
	v_lshl_add_u32 v14, v1, 3, v33
	ds_load_b64 v[14:15], v14 offset:8
.LBB164_110:
	s_or_saveexec_b32 s2, s2
	v_dual_mov_b32 v17, v13 :: v_dual_mov_b32 v16, v12
	s_xor_b32 exec_lo, exec_lo, s2
	s_cbranch_execz .LBB164_112
; %bb.111:
	s_waitcnt lgkmcnt(0)
	v_lshl_add_u32 v14, v0, 3, v33
	ds_load_b64 v[16:17], v14 offset:8
	v_dual_mov_b32 v15, v11 :: v_dual_mov_b32 v14, v10
.LBB164_112:
	s_or_b32 exec_lo, exec_lo, s2
	v_add_nc_u32_e32 v18, 1, v1
	v_add_nc_u32_e32 v19, 1, v0
	s_waitcnt lgkmcnt(0)
	v_cmp_lt_i64_e64 s2, v[16:17], v[14:15]
	s_delay_alu instid0(VALU_DEP_3) | instskip(NEXT) | instid1(VALU_DEP_3)
	v_cndmask_b32_e64 v1, v18, v1, s1
	v_cndmask_b32_e64 v0, v0, v19, s1
                                        ; implicit-def: $vgpr18_vgpr19
	s_delay_alu instid0(VALU_DEP_2) | instskip(NEXT) | instid1(VALU_DEP_2)
	v_cmp_lt_i32_e64 s3, 63, v1
	v_cmp_gt_i32_e64 s4, 0x80, v0
	s_delay_alu instid0(VALU_DEP_2)
	s_or_b32 s2, s3, s2
	s_delay_alu instid0(VALU_DEP_1) | instid1(SALU_CYCLE_1)
	s_and_b32 s2, s4, s2
	s_delay_alu instid0(SALU_CYCLE_1) | instskip(NEXT) | instid1(SALU_CYCLE_1)
	s_xor_b32 s3, s2, -1
	s_and_saveexec_b32 s4, s3
	s_delay_alu instid0(SALU_CYCLE_1)
	s_xor_b32 s3, exec_lo, s4
	s_cbranch_execz .LBB164_114
; %bb.113:
	v_lshl_add_u32 v18, v1, 3, v33
	ds_load_b64 v[18:19], v18 offset:8
.LBB164_114:
	s_or_saveexec_b32 s3, s3
	v_dual_mov_b32 v21, v17 :: v_dual_mov_b32 v20, v16
	s_xor_b32 exec_lo, exec_lo, s3
	s_cbranch_execz .LBB164_116
; %bb.115:
	s_waitcnt lgkmcnt(0)
	v_lshl_add_u32 v18, v0, 3, v33
	ds_load_b64 v[20:21], v18 offset:8
	v_dual_mov_b32 v19, v15 :: v_dual_mov_b32 v18, v14
.LBB164_116:
	s_or_b32 exec_lo, exec_lo, s3
	v_add_nc_u32_e32 v22, 1, v1
	v_add_nc_u32_e32 v23, 1, v0
	s_waitcnt lgkmcnt(0)
	v_cmp_lt_i64_e64 s3, v[20:21], v[18:19]
	s_delay_alu instid0(VALU_DEP_3) | instskip(NEXT) | instid1(VALU_DEP_3)
	v_cndmask_b32_e64 v1, v22, v1, s2
	v_cndmask_b32_e64 v0, v0, v23, s2
                                        ; implicit-def: $vgpr22_vgpr23
	s_delay_alu instid0(VALU_DEP_2) | instskip(NEXT) | instid1(VALU_DEP_2)
	v_cmp_lt_i32_e64 s4, 63, v1
	v_cmp_gt_i32_e64 s5, 0x80, v0
	s_delay_alu instid0(VALU_DEP_2)
	s_or_b32 s3, s4, s3
	s_delay_alu instid0(VALU_DEP_1) | instid1(SALU_CYCLE_1)
	s_and_b32 s3, s5, s3
	s_delay_alu instid0(SALU_CYCLE_1) | instskip(NEXT) | instid1(SALU_CYCLE_1)
	s_xor_b32 s4, s3, -1
	s_and_saveexec_b32 s5, s4
	s_delay_alu instid0(SALU_CYCLE_1)
	s_xor_b32 s4, exec_lo, s5
	s_cbranch_execz .LBB164_118
; %bb.117:
	v_lshl_add_u32 v22, v1, 3, v33
	ds_load_b64 v[22:23], v22 offset:8
.LBB164_118:
	s_or_saveexec_b32 s4, s4
	v_dual_mov_b32 v25, v21 :: v_dual_mov_b32 v24, v20
	s_xor_b32 exec_lo, exec_lo, s4
	s_cbranch_execz .LBB164_120
; %bb.119:
	s_waitcnt lgkmcnt(0)
	v_lshl_add_u32 v22, v0, 3, v33
	ds_load_b64 v[24:25], v22 offset:8
	v_dual_mov_b32 v23, v19 :: v_dual_mov_b32 v22, v18
.LBB164_120:
	s_or_b32 exec_lo, exec_lo, s4
	v_add_nc_u32_e32 v26, 1, v1
	v_add_nc_u32_e32 v27, 1, v0
	s_waitcnt lgkmcnt(0)
	v_cmp_lt_i64_e64 s4, v[24:25], v[22:23]
                                        ; implicit-def: $vgpr28_vgpr29
	s_delay_alu instid0(VALU_DEP_3) | instskip(NEXT) | instid1(VALU_DEP_3)
	v_cndmask_b32_e64 v1, v26, v1, s3
	v_cndmask_b32_e64 v0, v0, v27, s3
	s_delay_alu instid0(VALU_DEP_2) | instskip(NEXT) | instid1(VALU_DEP_2)
	v_cmp_lt_i32_e64 s5, 63, v1
	v_cmp_gt_i32_e64 s6, 0x80, v0
	s_delay_alu instid0(VALU_DEP_2)
	s_or_b32 s4, s5, s4
	s_delay_alu instid0(VALU_DEP_1) | instid1(SALU_CYCLE_1)
	s_and_b32 s4, s6, s4
	s_delay_alu instid0(SALU_CYCLE_1) | instskip(NEXT) | instid1(SALU_CYCLE_1)
	s_xor_b32 s5, s4, -1
	s_and_saveexec_b32 s6, s5
	s_delay_alu instid0(SALU_CYCLE_1)
	s_xor_b32 s5, exec_lo, s6
	s_cbranch_execz .LBB164_122
; %bb.121:
	v_lshl_add_u32 v26, v1, 3, v33
	ds_load_b64 v[28:29], v26 offset:8
.LBB164_122:
	s_or_saveexec_b32 s5, s5
	v_dual_mov_b32 v27, v25 :: v_dual_mov_b32 v26, v24
	s_xor_b32 exec_lo, exec_lo, s5
	s_cbranch_execz .LBB164_124
; %bb.123:
	v_lshl_add_u32 v26, v0, 3, v33
	s_waitcnt lgkmcnt(0)
	v_dual_mov_b32 v29, v23 :: v_dual_mov_b32 v28, v22
	ds_load_b64 v[26:27], v26 offset:8
.LBB164_124:
	s_or_b32 exec_lo, exec_lo, s5
	v_add_nc_u32_e32 v30, 1, v1
	v_add_nc_u32_e32 v31, 1, v0
	s_waitcnt lgkmcnt(0)
	v_cmp_ge_i64_e64 s5, v[26:27], v[28:29]
                                        ; implicit-def: $vgpr35
	s_delay_alu instid0(VALU_DEP_3) | instskip(NEXT) | instid1(VALU_DEP_3)
	v_cndmask_b32_e64 v36, v30, v1, s4
	v_cndmask_b32_e64 v34, v0, v31, s4
                                        ; implicit-def: $vgpr30_vgpr31
	s_delay_alu instid0(VALU_DEP_2) | instskip(NEXT) | instid1(VALU_DEP_2)
	v_cmp_gt_i32_e64 s6, 64, v36
	v_cmp_lt_i32_e64 s7, 0x7f, v34
	s_delay_alu instid0(VALU_DEP_2)
	s_and_b32 s5, s6, s5
	s_delay_alu instid0(VALU_DEP_1) | instid1(SALU_CYCLE_1)
	s_or_b32 s5, s7, s5
	s_delay_alu instid0(SALU_CYCLE_1) | instskip(NEXT) | instid1(SALU_CYCLE_1)
	s_and_saveexec_b32 s6, s5
	s_xor_b32 s5, exec_lo, s6
	s_cbranch_execz .LBB164_126
; %bb.125:
	v_lshl_add_u32 v0, v36, 3, v33
	v_add_nc_u32_e32 v35, 1, v36
                                        ; implicit-def: $vgpr36
                                        ; implicit-def: $vgpr33
	ds_load_b64 v[30:31], v0 offset:8
.LBB164_126:
	s_or_saveexec_b32 s5, s5
	v_dual_mov_b32 v0, v28 :: v_dual_mov_b32 v1, v29
	s_xor_b32 exec_lo, exec_lo, s5
	s_cbranch_execz .LBB164_128
; %bb.127:
	v_lshl_add_u32 v0, v34, 3, v33
	s_waitcnt lgkmcnt(0)
	v_dual_mov_b32 v31, v29 :: v_dual_add_nc_u32 v34, 1, v34
	v_mov_b32_e32 v30, v28
	v_mov_b32_e32 v35, v36
	ds_load_b64 v[37:38], v0 offset:8
	v_dual_mov_b32 v0, v26 :: v_dual_mov_b32 v1, v27
	s_waitcnt lgkmcnt(0)
	v_dual_mov_b32 v26, v37 :: v_dual_mov_b32 v27, v38
.LBB164_128:
	s_or_b32 exec_lo, exec_lo, s5
	v_cndmask_b32_e64 v13, v11, v13, s1
	v_cndmask_b32_e64 v12, v10, v12, s1
	s_waitcnt lgkmcnt(0)
	v_cmp_lt_i64_e64 s1, v[26:27], v[30:31]
	v_cndmask_b32_e64 v15, v15, v17, s2
	v_cndmask_b32_e64 v14, v14, v16, s2
	v_cmp_lt_i32_e64 s2, 63, v35
	v_cndmask_b32_e64 v21, v19, v21, s3
	v_cndmask_b32_e64 v20, v18, v20, s3
	v_cmp_gt_i32_e64 s3, 0x80, v34
	v_cndmask_b32_e64 v7, v7, v9, s0
	v_cndmask_b32_e64 v6, v6, v8, s0
	s_or_b32 s0, s2, s1
	v_dual_cndmask_b32 v5, v3, v5 :: v_dual_cndmask_b32 v4, v2, v4
	s_and_b32 vcc_lo, s3, s0
	v_dual_cndmask_b32 v3, v31, v27 :: v_dual_lshlrev_b32 v8, 3, v32
	v_cndmask_b32_e64 v23, v23, v25, s4
	v_cndmask_b32_e64 v22, v22, v24, s4
	s_add_u32 s0, s10, s12
	v_cndmask_b32_e32 v2, v30, v26, vcc_lo
	s_addc_u32 s1, s11, s13
	s_clause 0x3
	global_store_b128 v8, v[4:7], s[0:1]
	global_store_b128 v8, v[12:15], s[0:1] offset:16
	global_store_b128 v8, v[20:23], s[0:1] offset:32
	;; [unrolled: 1-line block ×3, first 2 shown]
	s_nop 0
	s_sendmsg sendmsg(MSG_DEALLOC_VGPRS)
	s_endpgm
	.section	.rodata,"a",@progbits
	.p2align	6, 0x0
	.amdhsa_kernel _Z9sort_keysILj256ELj16ELj8ExN10test_utils4lessEEvPKT2_PS2_T3_
		.amdhsa_group_segment_fixed_size 16512
		.amdhsa_private_segment_fixed_size 0
		.amdhsa_kernarg_size 20
		.amdhsa_user_sgpr_count 15
		.amdhsa_user_sgpr_dispatch_ptr 0
		.amdhsa_user_sgpr_queue_ptr 0
		.amdhsa_user_sgpr_kernarg_segment_ptr 1
		.amdhsa_user_sgpr_dispatch_id 0
		.amdhsa_user_sgpr_private_segment_size 0
		.amdhsa_wavefront_size32 1
		.amdhsa_uses_dynamic_stack 0
		.amdhsa_enable_private_segment 0
		.amdhsa_system_sgpr_workgroup_id_x 1
		.amdhsa_system_sgpr_workgroup_id_y 0
		.amdhsa_system_sgpr_workgroup_id_z 0
		.amdhsa_system_sgpr_workgroup_info 0
		.amdhsa_system_vgpr_workitem_id 0
		.amdhsa_next_free_vgpr 43
		.amdhsa_next_free_sgpr 16
		.amdhsa_reserve_vcc 1
		.amdhsa_float_round_mode_32 0
		.amdhsa_float_round_mode_16_64 0
		.amdhsa_float_denorm_mode_32 3
		.amdhsa_float_denorm_mode_16_64 3
		.amdhsa_dx10_clamp 1
		.amdhsa_ieee_mode 1
		.amdhsa_fp16_overflow 0
		.amdhsa_workgroup_processor_mode 1
		.amdhsa_memory_ordered 1
		.amdhsa_forward_progress 0
		.amdhsa_shared_vgpr_count 0
		.amdhsa_exception_fp_ieee_invalid_op 0
		.amdhsa_exception_fp_denorm_src 0
		.amdhsa_exception_fp_ieee_div_zero 0
		.amdhsa_exception_fp_ieee_overflow 0
		.amdhsa_exception_fp_ieee_underflow 0
		.amdhsa_exception_fp_ieee_inexact 0
		.amdhsa_exception_int_div_zero 0
	.end_amdhsa_kernel
	.section	.text._Z9sort_keysILj256ELj16ELj8ExN10test_utils4lessEEvPKT2_PS2_T3_,"axG",@progbits,_Z9sort_keysILj256ELj16ELj8ExN10test_utils4lessEEvPKT2_PS2_T3_,comdat
.Lfunc_end164:
	.size	_Z9sort_keysILj256ELj16ELj8ExN10test_utils4lessEEvPKT2_PS2_T3_, .Lfunc_end164-_Z9sort_keysILj256ELj16ELj8ExN10test_utils4lessEEvPKT2_PS2_T3_
                                        ; -- End function
	.section	.AMDGPU.csdata,"",@progbits
; Kernel info:
; codeLenInByte = 7780
; NumSgprs: 18
; NumVgprs: 43
; ScratchSize: 0
; MemoryBound: 0
; FloatMode: 240
; IeeeMode: 1
; LDSByteSize: 16512 bytes/workgroup (compile time only)
; SGPRBlocks: 2
; VGPRBlocks: 5
; NumSGPRsForWavesPerEU: 18
; NumVGPRsForWavesPerEU: 43
; Occupancy: 14
; WaveLimiterHint : 0
; COMPUTE_PGM_RSRC2:SCRATCH_EN: 0
; COMPUTE_PGM_RSRC2:USER_SGPR: 15
; COMPUTE_PGM_RSRC2:TRAP_HANDLER: 0
; COMPUTE_PGM_RSRC2:TGID_X_EN: 1
; COMPUTE_PGM_RSRC2:TGID_Y_EN: 0
; COMPUTE_PGM_RSRC2:TGID_Z_EN: 0
; COMPUTE_PGM_RSRC2:TIDIG_COMP_CNT: 0
	.section	.text._Z10sort_pairsILj256ELj16ELj8ExN10test_utils4lessEEvPKT2_PS2_T3_,"axG",@progbits,_Z10sort_pairsILj256ELj16ELj8ExN10test_utils4lessEEvPKT2_PS2_T3_,comdat
	.protected	_Z10sort_pairsILj256ELj16ELj8ExN10test_utils4lessEEvPKT2_PS2_T3_ ; -- Begin function _Z10sort_pairsILj256ELj16ELj8ExN10test_utils4lessEEvPKT2_PS2_T3_
	.globl	_Z10sort_pairsILj256ELj16ELj8ExN10test_utils4lessEEvPKT2_PS2_T3_
	.p2align	8
	.type	_Z10sort_pairsILj256ELj16ELj8ExN10test_utils4lessEEvPKT2_PS2_T3_,@function
_Z10sort_pairsILj256ELj16ELj8ExN10test_utils4lessEEvPKT2_PS2_T3_: ; @_Z10sort_pairsILj256ELj16ELj8ExN10test_utils4lessEEvPKT2_PS2_T3_
; %bb.0:
	s_load_b128 s[8:11], s[0:1], 0x0
	s_mov_b32 s1, 0
	s_lshl_b32 s0, s15, 11
	v_lshlrev_b32_e32 v9, 6, v0
	s_lshl_b64 s[12:13], s[0:1], 3
	s_waitcnt lgkmcnt(0)
	s_add_u32 s0, s8, s12
	s_addc_u32 s1, s9, s13
	s_clause 0x3
	global_load_b128 v[1:4], v9, s[0:1]
	global_load_b128 v[13:16], v9, s[0:1] offset:16
	global_load_b128 v[5:8], v9, s[0:1] offset:48
	;; [unrolled: 1-line block ×3, first 2 shown]
	s_mov_b32 s0, exec_lo
	s_waitcnt vmcnt(3)
	v_mov_b32_e32 v20, v4
	v_add_co_u32 v23, vcc_lo, v3, 1
	v_add_co_ci_u32_e32 v24, vcc_lo, 0, v4, vcc_lo
	v_add_co_u32 v17, vcc_lo, v1, 1
	s_delay_alu instid0(VALU_DEP_3) | instskip(SKIP_1) | instid1(VALU_DEP_4)
	v_mov_b32_e32 v21, v23
	v_add_co_ci_u32_e32 v18, vcc_lo, 0, v2, vcc_lo
	v_dual_mov_b32 v19, v3 :: v_dual_mov_b32 v22, v24
	v_cmpx_lt_i64_e64 v[3:4], v[1:2]
; %bb.1:
	v_dual_mov_b32 v20, v2 :: v_dual_mov_b32 v19, v1
	v_dual_mov_b32 v1, v3 :: v_dual_mov_b32 v2, v4
	;; [unrolled: 1-line block ×4, first 2 shown]
; %bb.2:
	s_or_b32 exec_lo, exec_lo, s0
	s_waitcnt vmcnt(2)
	v_add_co_u32 v25, vcc_lo, v15, 1
	v_add_co_ci_u32_e32 v26, vcc_lo, 0, v16, vcc_lo
	v_add_co_u32 v31, vcc_lo, v13, 1
	v_add_co_ci_u32_e32 v32, vcc_lo, 0, v14, vcc_lo
	v_dual_mov_b32 v3, v15 :: v_dual_mov_b32 v4, v16
	s_delay_alu instid0(VALU_DEP_4)
	v_dual_mov_b32 v23, v25 :: v_dual_mov_b32 v24, v26
	s_mov_b32 s0, exec_lo
	v_cmpx_lt_i64_e64 v[15:16], v[13:14]
; %bb.3:
	v_dual_mov_b32 v3, v13 :: v_dual_mov_b32 v4, v14
	v_dual_mov_b32 v13, v15 :: v_dual_mov_b32 v14, v16
	;; [unrolled: 1-line block ×4, first 2 shown]
; %bb.4:
	s_or_b32 exec_lo, exec_lo, s0
	s_waitcnt vmcnt(0)
	v_add_co_u32 v27, vcc_lo, v11, 1
	v_add_co_ci_u32_e32 v28, vcc_lo, 0, v12, vcc_lo
	v_add_co_u32 v35, vcc_lo, v9, 1
	v_add_co_ci_u32_e32 v36, vcc_lo, 0, v10, vcc_lo
	v_dual_mov_b32 v16, v12 :: v_dual_mov_b32 v15, v11
	s_delay_alu instid0(VALU_DEP_4)
	v_dual_mov_b32 v25, v27 :: v_dual_mov_b32 v26, v28
	s_mov_b32 s0, exec_lo
	v_cmpx_lt_i64_e64 v[11:12], v[9:10]
; %bb.5:
	v_dual_mov_b32 v16, v10 :: v_dual_mov_b32 v15, v9
	v_dual_mov_b32 v9, v11 :: v_dual_mov_b32 v10, v12
	;; [unrolled: 1-line block ×4, first 2 shown]
; %bb.6:
	s_or_b32 exec_lo, exec_lo, s0
	v_add_co_u32 v29, vcc_lo, v7, 1
	v_add_co_ci_u32_e32 v30, vcc_lo, 0, v8, vcc_lo
	v_add_co_u32 v37, vcc_lo, v5, 1
	v_add_co_ci_u32_e32 v38, vcc_lo, 0, v6, vcc_lo
	v_dual_mov_b32 v12, v8 :: v_dual_mov_b32 v11, v7
	s_delay_alu instid0(VALU_DEP_4)
	v_dual_mov_b32 v27, v29 :: v_dual_mov_b32 v28, v30
	s_mov_b32 s0, exec_lo
	v_cmpx_lt_i64_e64 v[7:8], v[5:6]
; %bb.7:
	v_dual_mov_b32 v12, v6 :: v_dual_mov_b32 v11, v5
	v_dual_mov_b32 v5, v7 :: v_dual_mov_b32 v6, v8
	;; [unrolled: 1-line block ×4, first 2 shown]
; %bb.8:
	s_or_b32 exec_lo, exec_lo, s0
	v_dual_mov_b32 v7, v13 :: v_dual_mov_b32 v8, v14
	v_dual_mov_b32 v29, v31 :: v_dual_mov_b32 v30, v32
	s_mov_b32 s0, exec_lo
	v_cmpx_lt_i64_e64 v[13:14], v[19:20]
	s_xor_b32 s0, exec_lo, s0
; %bb.9:
	v_dual_mov_b32 v7, v19 :: v_dual_mov_b32 v8, v20
	v_dual_mov_b32 v20, v14 :: v_dual_mov_b32 v19, v13
	v_dual_mov_b32 v30, v22 :: v_dual_mov_b32 v29, v21
	v_dual_mov_b32 v21, v31 :: v_dual_mov_b32 v22, v32
; %bb.10:
	s_or_b32 exec_lo, exec_lo, s0
	v_dual_mov_b32 v14, v10 :: v_dual_mov_b32 v13, v9
	v_dual_mov_b32 v33, v35 :: v_dual_mov_b32 v34, v36
	s_mov_b32 s0, exec_lo
	v_cmpx_lt_i64_e64 v[9:10], v[3:4]
; %bb.11:
	v_dual_mov_b32 v14, v4 :: v_dual_mov_b32 v13, v3
	v_dual_mov_b32 v3, v9 :: v_dual_mov_b32 v4, v10
	v_dual_mov_b32 v34, v24 :: v_dual_mov_b32 v33, v23
	v_dual_mov_b32 v23, v35 :: v_dual_mov_b32 v24, v36
; %bb.12:
	s_or_b32 exec_lo, exec_lo, s0
	v_dual_mov_b32 v10, v6 :: v_dual_mov_b32 v9, v5
	v_dual_mov_b32 v35, v37 :: v_dual_mov_b32 v36, v38
	s_mov_b32 s0, exec_lo
	v_cmpx_lt_i64_e64 v[5:6], v[15:16]
	;; [unrolled: 11-line block ×23, first 2 shown]
; %bb.55:
	v_dual_mov_b32 v32, v24 :: v_dual_mov_b32 v31, v23
	v_dual_mov_b32 v23, v29 :: v_dual_mov_b32 v24, v30
	;; [unrolled: 1-line block ×4, first 2 shown]
; %bb.56:
	s_or_b32 exec_lo, exec_lo, s0
	v_mbcnt_lo_u32_b32 v29, -1, 0
	; wave barrier
	s_mov_b32 s0, 0
	s_mov_b32 s1, exec_lo
	s_delay_alu instid0(VALU_DEP_1) | instskip(NEXT) | instid1(VALU_DEP_1)
	v_lshlrev_b32_e32 v53, 3, v29
	v_and_b32_e32 v29, 0x70, v53
	v_and_b32_e32 v52, 0x78, v53
	;; [unrolled: 1-line block ×3, first 2 shown]
	s_delay_alu instid0(VALU_DEP_3) | instskip(SKIP_1) | instid1(VALU_DEP_4)
	v_or_b32_e32 v55, 8, v29
	v_add_nc_u32_e32 v54, 16, v29
	v_lshlrev_b32_e32 v36, 3, v52
	v_lshlrev_b32_e32 v39, 3, v29
	s_delay_alu instid0(VALU_DEP_4) | instskip(NEXT) | instid1(VALU_DEP_4)
	v_sub_nc_u32_e32 v38, v55, v29
	v_sub_nc_u32_e32 v30, v54, v55
	s_delay_alu instid0(VALU_DEP_1) | instskip(SKIP_3) | instid1(VALU_DEP_4)
	v_sub_nc_u32_e32 v37, v35, v30
	v_cmp_ge_i32_e32 vcc_lo, v35, v30
	v_lshlrev_b32_e32 v49, 3, v0
	v_lshrrev_b32_e32 v0, 4, v0
	v_cndmask_b32_e32 v30, 0, v37, vcc_lo
	s_delay_alu instid0(VALU_DEP_2)
	v_mad_u32_u24 v50, 0x408, v0, v36
	v_min_i32_e32 v36, v35, v38
	ds_store_2addr_b64 v50, v[1:2], v[19:20] offset1:1
	ds_store_2addr_b64 v50, v[33:34], v[21:22] offset0:2 offset1:3
	v_mad_u32_u24 v1, 0x408, v0, v39
	ds_store_2addr_b64 v50, v[27:28], v[23:24] offset0:4 offset1:5
	ds_store_2addr_b64 v50, v[31:32], v[25:26] offset0:6 offset1:7
	; wave barrier
	v_cmpx_lt_i32_e64 v30, v36
	s_cbranch_execz .LBB165_60
; %bb.57:
	v_lshlrev_b32_e32 v2, 3, v35
	s_delay_alu instid0(VALU_DEP_1)
	v_add3_u32 v2, v1, v2, 64
	.p2align	6
.LBB165_58:                             ; =>This Inner Loop Header: Depth=1
	v_sub_nc_u32_e32 v19, v36, v30
	s_delay_alu instid0(VALU_DEP_1) | instskip(NEXT) | instid1(VALU_DEP_1)
	v_lshrrev_b32_e32 v20, 31, v19
	v_add_nc_u32_e32 v19, v19, v20
	s_delay_alu instid0(VALU_DEP_1) | instskip(NEXT) | instid1(VALU_DEP_1)
	v_ashrrev_i32_e32 v19, 1, v19
	v_add_nc_u32_e32 v23, v19, v30
	s_delay_alu instid0(VALU_DEP_1) | instskip(SKIP_1) | instid1(VALU_DEP_2)
	v_not_b32_e32 v19, v23
	v_lshl_add_u32 v20, v23, 3, v1
	v_lshl_add_u32 v21, v19, 3, v2
	ds_load_b64 v[19:20], v20
	ds_load_b64 v[21:22], v21
	s_waitcnt lgkmcnt(0)
	v_cmp_lt_i64_e32 vcc_lo, v[21:22], v[19:20]
	v_add_nc_u32_e32 v19, 1, v23
	v_cndmask_b32_e32 v36, v36, v23, vcc_lo
	s_delay_alu instid0(VALU_DEP_2) | instskip(NEXT) | instid1(VALU_DEP_1)
	v_cndmask_b32_e32 v30, v19, v30, vcc_lo
	v_cmp_ge_i32_e32 vcc_lo, v30, v36
	s_or_b32 s0, vcc_lo, s0
	s_delay_alu instid0(SALU_CYCLE_1)
	s_and_not1_b32 exec_lo, exec_lo, s0
	s_cbranch_execnz .LBB165_58
; %bb.59:
	s_or_b32 exec_lo, exec_lo, s0
.LBB165_60:
	s_delay_alu instid0(SALU_CYCLE_1) | instskip(SKIP_4) | instid1(VALU_DEP_3)
	s_or_b32 exec_lo, exec_lo, s1
	v_mul_u32_u24_e32 v51, 0x408, v0
	v_add_nc_u32_e32 v0, v29, v35
	v_lshl_add_u32 v23, v30, 3, v1
	v_cmp_lt_i32_e64 s0, 7, v30
	v_sub_nc_u32_e32 v0, v0, v30
	s_delay_alu instid0(VALU_DEP_1) | instskip(SKIP_4) | instid1(VALU_DEP_1)
	v_lshl_add_u32 v25, v0, 3, v51
	v_add_nc_u32_e32 v0, v55, v35
	ds_load_b64 v[19:20], v23
	ds_load_b64 v[21:22], v25 offset:64
	v_sub_nc_u32_e32 v2, v0, v30
                                        ; implicit-def: $vgpr0_vgpr1
	v_cmp_gt_i32_e64 s1, v54, v2
	s_waitcnt lgkmcnt(0)
	v_cmp_lt_i64_e32 vcc_lo, v[21:22], v[19:20]
	s_or_b32 s0, s0, vcc_lo
	s_delay_alu instid0(VALU_DEP_2) | instid1(SALU_CYCLE_1)
	s_and_b32 vcc_lo, s1, s0
	s_delay_alu instid0(SALU_CYCLE_1) | instskip(NEXT) | instid1(SALU_CYCLE_1)
	s_xor_b32 s0, vcc_lo, -1
	s_and_saveexec_b32 s1, s0
	s_delay_alu instid0(SALU_CYCLE_1)
	s_xor_b32 s0, exec_lo, s1
	s_cbranch_execz .LBB165_62
; %bb.61:
	ds_load_b64 v[0:1], v23 offset:8
                                        ; implicit-def: $vgpr25
.LBB165_62:
	s_or_saveexec_b32 s0, s0
	v_dual_mov_b32 v24, v22 :: v_dual_mov_b32 v23, v21
	s_xor_b32 exec_lo, exec_lo, s0
	s_cbranch_execz .LBB165_64
; %bb.63:
	ds_load_b64 v[23:24], v25 offset:72
	s_waitcnt lgkmcnt(1)
	v_dual_mov_b32 v0, v19 :: v_dual_mov_b32 v1, v20
.LBB165_64:
	s_or_b32 exec_lo, exec_lo, s0
	v_add_nc_u32_e32 v56, v30, v29
	v_add_nc_u32_e32 v26, 1, v2
	s_waitcnt lgkmcnt(0)
	v_cmp_lt_i64_e64 s0, v[23:24], v[0:1]
	s_delay_alu instid0(VALU_DEP_2) | instskip(NEXT) | instid1(VALU_DEP_1)
	v_dual_cndmask_b32 v58, v2, v26 :: v_dual_add_nc_u32 v25, 1, v56
	v_cndmask_b32_e32 v57, v25, v56, vcc_lo
	s_delay_alu instid0(VALU_DEP_2) | instskip(NEXT) | instid1(VALU_DEP_2)
	v_cmp_lt_i32_e64 s2, v58, v54
                                        ; implicit-def: $vgpr25_vgpr26
	v_cmp_ge_i32_e64 s1, v57, v55
	s_delay_alu instid0(VALU_DEP_1)
	s_or_b32 s0, s1, s0
	s_delay_alu instid0(VALU_DEP_2) | instid1(SALU_CYCLE_1)
	s_and_b32 s0, s2, s0
	s_delay_alu instid0(SALU_CYCLE_1) | instskip(NEXT) | instid1(SALU_CYCLE_1)
	s_xor_b32 s1, s0, -1
	s_and_saveexec_b32 s2, s1
	s_delay_alu instid0(SALU_CYCLE_1)
	s_xor_b32 s1, exec_lo, s2
	s_cbranch_execz .LBB165_66
; %bb.65:
	v_lshl_add_u32 v25, v57, 3, v51
	ds_load_b64 v[25:26], v25 offset:8
.LBB165_66:
	s_or_saveexec_b32 s1, s1
	v_dual_mov_b32 v28, v24 :: v_dual_mov_b32 v27, v23
	s_xor_b32 exec_lo, exec_lo, s1
	s_cbranch_execz .LBB165_68
; %bb.67:
	s_waitcnt lgkmcnt(0)
	v_lshl_add_u32 v25, v58, 3, v51
	ds_load_b64 v[27:28], v25 offset:8
	v_dual_mov_b32 v26, v1 :: v_dual_mov_b32 v25, v0
.LBB165_68:
	s_or_b32 exec_lo, exec_lo, s1
	v_add_nc_u32_e32 v29, 1, v57
	v_add_nc_u32_e32 v30, 1, v58
	s_waitcnt lgkmcnt(0)
	v_cmp_lt_i64_e64 s1, v[27:28], v[25:26]
	s_delay_alu instid0(VALU_DEP_3) | instskip(NEXT) | instid1(VALU_DEP_3)
	v_cndmask_b32_e64 v59, v29, v57, s0
	v_cndmask_b32_e64 v60, v58, v30, s0
                                        ; implicit-def: $vgpr29_vgpr30
	s_delay_alu instid0(VALU_DEP_2) | instskip(NEXT) | instid1(VALU_DEP_2)
	v_cmp_ge_i32_e64 s2, v59, v55
	v_cmp_lt_i32_e64 s3, v60, v54
	s_delay_alu instid0(VALU_DEP_2)
	s_or_b32 s1, s2, s1
	s_delay_alu instid0(VALU_DEP_1) | instid1(SALU_CYCLE_1)
	s_and_b32 s1, s3, s1
	s_delay_alu instid0(SALU_CYCLE_1) | instskip(NEXT) | instid1(SALU_CYCLE_1)
	s_xor_b32 s2, s1, -1
	s_and_saveexec_b32 s3, s2
	s_delay_alu instid0(SALU_CYCLE_1)
	s_xor_b32 s2, exec_lo, s3
	s_cbranch_execz .LBB165_70
; %bb.69:
	v_lshl_add_u32 v29, v59, 3, v51
	ds_load_b64 v[29:30], v29 offset:8
.LBB165_70:
	s_or_saveexec_b32 s2, s2
	v_dual_mov_b32 v32, v28 :: v_dual_mov_b32 v31, v27
	s_xor_b32 exec_lo, exec_lo, s2
	s_cbranch_execz .LBB165_72
; %bb.71:
	s_waitcnt lgkmcnt(0)
	v_lshl_add_u32 v29, v60, 3, v51
	ds_load_b64 v[31:32], v29 offset:8
	v_dual_mov_b32 v30, v26 :: v_dual_mov_b32 v29, v25
.LBB165_72:
	s_or_b32 exec_lo, exec_lo, s2
	v_add_nc_u32_e32 v33, 1, v59
	v_add_nc_u32_e32 v34, 1, v60
	s_waitcnt lgkmcnt(0)
	v_cmp_lt_i64_e64 s2, v[31:32], v[29:30]
	s_delay_alu instid0(VALU_DEP_3) | instskip(NEXT) | instid1(VALU_DEP_3)
	v_cndmask_b32_e64 v61, v33, v59, s1
	v_cndmask_b32_e64 v62, v60, v34, s1
                                        ; implicit-def: $vgpr33_vgpr34
	s_delay_alu instid0(VALU_DEP_2) | instskip(NEXT) | instid1(VALU_DEP_2)
	v_cmp_ge_i32_e64 s3, v61, v55
	v_cmp_lt_i32_e64 s4, v62, v54
	s_delay_alu instid0(VALU_DEP_2)
	s_or_b32 s2, s3, s2
	s_delay_alu instid0(VALU_DEP_1) | instid1(SALU_CYCLE_1)
	s_and_b32 s2, s4, s2
	s_delay_alu instid0(SALU_CYCLE_1) | instskip(NEXT) | instid1(SALU_CYCLE_1)
	s_xor_b32 s3, s2, -1
	s_and_saveexec_b32 s4, s3
	s_delay_alu instid0(SALU_CYCLE_1)
	s_xor_b32 s3, exec_lo, s4
	s_cbranch_execz .LBB165_74
; %bb.73:
	v_lshl_add_u32 v33, v61, 3, v51
	ds_load_b64 v[33:34], v33 offset:8
.LBB165_74:
	s_or_saveexec_b32 s3, s3
	v_dual_mov_b32 v38, v32 :: v_dual_mov_b32 v37, v31
	s_xor_b32 exec_lo, exec_lo, s3
	s_cbranch_execz .LBB165_76
; %bb.75:
	s_waitcnt lgkmcnt(0)
	v_lshl_add_u32 v33, v62, 3, v51
	ds_load_b64 v[37:38], v33 offset:8
	v_dual_mov_b32 v34, v30 :: v_dual_mov_b32 v33, v29
.LBB165_76:
	s_or_b32 exec_lo, exec_lo, s3
	v_add_nc_u32_e32 v35, 1, v61
	v_add_nc_u32_e32 v36, 1, v62
	s_waitcnt lgkmcnt(0)
	v_cmp_lt_i64_e64 s3, v[37:38], v[33:34]
                                        ; implicit-def: $vgpr41_vgpr42
	s_delay_alu instid0(VALU_DEP_3) | instskip(NEXT) | instid1(VALU_DEP_3)
	v_cndmask_b32_e64 v63, v35, v61, s2
	v_cndmask_b32_e64 v64, v62, v36, s2
	s_delay_alu instid0(VALU_DEP_2) | instskip(NEXT) | instid1(VALU_DEP_2)
	v_cmp_ge_i32_e64 s4, v63, v55
	v_cmp_lt_i32_e64 s5, v64, v54
	s_delay_alu instid0(VALU_DEP_2)
	s_or_b32 s3, s4, s3
	s_delay_alu instid0(VALU_DEP_1) | instid1(SALU_CYCLE_1)
	s_and_b32 s3, s5, s3
	s_delay_alu instid0(SALU_CYCLE_1) | instskip(NEXT) | instid1(SALU_CYCLE_1)
	s_xor_b32 s4, s3, -1
	s_and_saveexec_b32 s5, s4
	s_delay_alu instid0(SALU_CYCLE_1)
	s_xor_b32 s4, exec_lo, s5
	s_cbranch_execz .LBB165_78
; %bb.77:
	v_lshl_add_u32 v35, v63, 3, v51
	ds_load_b64 v[41:42], v35 offset:8
.LBB165_78:
	s_or_saveexec_b32 s4, s4
	v_dual_mov_b32 v44, v38 :: v_dual_mov_b32 v43, v37
	s_xor_b32 exec_lo, exec_lo, s4
	s_cbranch_execz .LBB165_80
; %bb.79:
	v_lshl_add_u32 v35, v64, 3, v51
	s_waitcnt lgkmcnt(0)
	v_dual_mov_b32 v42, v34 :: v_dual_mov_b32 v41, v33
	ds_load_b64 v[43:44], v35 offset:8
.LBB165_80:
	s_or_b32 exec_lo, exec_lo, s4
	v_add_nc_u32_e32 v35, 1, v63
	v_add_nc_u32_e32 v36, 1, v64
	s_waitcnt lgkmcnt(0)
	v_cmp_lt_i64_e64 s4, v[43:44], v[41:42]
                                        ; implicit-def: $vgpr45_vgpr46
	s_delay_alu instid0(VALU_DEP_3) | instskip(NEXT) | instid1(VALU_DEP_3)
	v_cndmask_b32_e64 v65, v35, v63, s3
	v_cndmask_b32_e64 v66, v64, v36, s3
	s_delay_alu instid0(VALU_DEP_2) | instskip(NEXT) | instid1(VALU_DEP_2)
	v_cmp_ge_i32_e64 s5, v65, v55
	v_cmp_lt_i32_e64 s6, v66, v54
	s_delay_alu instid0(VALU_DEP_2)
	s_or_b32 s4, s5, s4
	s_delay_alu instid0(VALU_DEP_1) | instid1(SALU_CYCLE_1)
	s_and_b32 s4, s6, s4
	s_delay_alu instid0(SALU_CYCLE_1) | instskip(NEXT) | instid1(SALU_CYCLE_1)
	s_xor_b32 s5, s4, -1
	s_and_saveexec_b32 s6, s5
	s_delay_alu instid0(SALU_CYCLE_1)
	s_xor_b32 s5, exec_lo, s6
	s_cbranch_execz .LBB165_82
; %bb.81:
	v_lshl_add_u32 v35, v65, 3, v51
	ds_load_b64 v[45:46], v35 offset:8
.LBB165_82:
	s_or_saveexec_b32 s5, s5
	v_dual_mov_b32 v48, v44 :: v_dual_mov_b32 v47, v43
	s_xor_b32 exec_lo, exec_lo, s5
	s_cbranch_execz .LBB165_84
; %bb.83:
	v_lshl_add_u32 v35, v66, 3, v51
	s_waitcnt lgkmcnt(0)
	v_dual_mov_b32 v46, v42 :: v_dual_mov_b32 v45, v41
	ds_load_b64 v[47:48], v35 offset:8
.LBB165_84:
	s_or_b32 exec_lo, exec_lo, s5
	v_add_nc_u32_e32 v35, 1, v65
	v_add_nc_u32_e32 v36, 1, v66
	s_waitcnt lgkmcnt(0)
	v_cmp_lt_i64_e64 s5, v[47:48], v[45:46]
	s_delay_alu instid0(VALU_DEP_3) | instskip(NEXT) | instid1(VALU_DEP_3)
	v_cndmask_b32_e64 v67, v35, v65, s4
	v_cndmask_b32_e64 v68, v66, v36, s4
                                        ; implicit-def: $vgpr35_vgpr36
	s_delay_alu instid0(VALU_DEP_2) | instskip(NEXT) | instid1(VALU_DEP_2)
	v_cmp_ge_i32_e64 s6, v67, v55
	v_cmp_lt_i32_e64 s7, v68, v54
	s_delay_alu instid0(VALU_DEP_2)
	s_or_b32 s5, s6, s5
	s_delay_alu instid0(VALU_DEP_1) | instid1(SALU_CYCLE_1)
	s_and_b32 s5, s7, s5
	s_delay_alu instid0(SALU_CYCLE_1) | instskip(NEXT) | instid1(SALU_CYCLE_1)
	s_xor_b32 s6, s5, -1
	s_and_saveexec_b32 s7, s6
	s_delay_alu instid0(SALU_CYCLE_1)
	s_xor_b32 s6, exec_lo, s7
	s_cbranch_execz .LBB165_86
; %bb.85:
	v_lshl_add_u32 v35, v67, 3, v51
	ds_load_b64 v[35:36], v35 offset:8
.LBB165_86:
	s_or_saveexec_b32 s6, s6
	v_dual_mov_b32 v39, v47 :: v_dual_mov_b32 v40, v48
	s_xor_b32 exec_lo, exec_lo, s6
	s_cbranch_execz .LBB165_88
; %bb.87:
	s_waitcnt lgkmcnt(0)
	v_lshl_add_u32 v35, v68, 3, v51
	ds_load_b64 v[39:40], v35 offset:8
	v_dual_mov_b32 v35, v45 :: v_dual_mov_b32 v36, v46
.LBB165_88:
	s_or_b32 exec_lo, exec_lo, s6
	v_add_nc_u32_e32 v70, 1, v67
	v_dual_cndmask_b32 v20, v20, v22 :: v_dual_add_nc_u32 v69, 1, v68
	v_cndmask_b32_e64 v46, v46, v48, s5
	v_cndmask_b32_e64 v30, v30, v32, s2
	;; [unrolled: 1-line block ×3, first 2 shown]
	v_cndmask_b32_e32 v1, v56, v2, vcc_lo
	v_cndmask_b32_e64 v48, v70, v67, s5
	v_cndmask_b32_e64 v45, v45, v47, s5
	;; [unrolled: 1-line block ×6, first 2 shown]
	s_waitcnt lgkmcnt(0)
	v_cmp_lt_i64_e64 s1, v[39:40], v[35:36]
	v_cndmask_b32_e64 v34, v34, v38, s3
	v_cndmask_b32_e64 v29, v29, v31, s2
	;; [unrolled: 1-line block ×3, first 2 shown]
	v_cmp_ge_i32_e64 s2, v48, v55
	v_cndmask_b32_e64 v33, v33, v37, s3
	v_cndmask_b32_e64 v37, v63, v64, s3
	v_cmp_lt_i32_e64 s3, v47, v54
	v_cndmask_b32_e64 v31, v0, v23, s0
	v_cndmask_b32_e64 v0, v57, v58, s0
	s_or_b32 s0, s2, s1
	v_lshl_add_u32 v1, v1, 3, v51
	v_cndmask_b32_e64 v41, v41, v43, s4
	v_cndmask_b32_e64 v43, v65, v66, s4
	s_and_b32 s0, s3, s0
	v_lshl_add_u32 v0, v0, 3, v51
	v_cndmask_b32_e64 v67, v67, v68, s5
	; wave barrier
	ds_store_2addr_b64 v50, v[17:18], v[3:4] offset1:1
	ds_store_2addr_b64 v50, v[11:12], v[5:6] offset0:2 offset1:3
	ds_store_2addr_b64 v50, v[13:14], v[7:8] offset0:4 offset1:5
	;; [unrolled: 1-line block ×3, first 2 shown]
	v_lshl_add_u32 v3, v25, 3, v51
	v_cndmask_b32_e64 v2, v48, v47, s0
	v_lshl_add_u32 v6, v38, 3, v51
	; wave barrier
	ds_load_b64 v[12:13], v1
	ds_load_b64 v[14:15], v0
	;; [unrolled: 1-line block ×4, first 2 shown]
	v_lshl_add_u32 v0, v37, 3, v51
	v_lshl_add_u32 v1, v43, 3, v51
	v_and_b32_e32 v24, 0x60, v53
	v_lshl_add_u32 v3, v67, 3, v51
	v_lshl_add_u32 v2, v2, 3, v51
	ds_load_b64 v[8:9], v0
	ds_load_b64 v[10:11], v1
	;; [unrolled: 1-line block ×4, first 2 shown]
	v_or_b32_e32 v54, 16, v24
	v_dual_cndmask_b32 v19, v19, v21 :: v_dual_add_nc_u32 v48, 32, v24
	v_and_b32_e32 v23, 24, v53
	v_cndmask_b32_e64 v42, v42, v44, s4
	s_delay_alu instid0(VALU_DEP_4) | instskip(NEXT) | instid1(VALU_DEP_4)
	v_sub_nc_u32_e32 v18, v54, v24
	v_sub_nc_u32_e32 v16, v48, v54
	v_cndmask_b32_e64 v36, v36, v40, s0
	v_cndmask_b32_e64 v35, v35, v39, s0
	s_mov_b32 s1, 0
	s_mov_b32 s0, exec_lo
	v_sub_nc_u32_e32 v17, v23, v16
	v_cmp_ge_i32_e32 vcc_lo, v23, v16
	v_lshl_add_u32 v16, v24, 3, v51
	; wave barrier
	ds_store_2addr_b64 v50, v[19:20], v[31:32] offset1:1
	ds_store_2addr_b64 v50, v[27:28], v[29:30] offset0:2 offset1:3
	v_cndmask_b32_e32 v25, 0, v17, vcc_lo
	v_min_i32_e32 v17, v23, v18
	ds_store_2addr_b64 v50, v[33:34], v[41:42] offset0:4 offset1:5
	ds_store_2addr_b64 v50, v[45:46], v[35:36] offset0:6 offset1:7
	; wave barrier
	v_cmpx_lt_i32_e64 v25, v17
	s_cbranch_execz .LBB165_92
; %bb.89:
	v_lshlrev_b32_e32 v18, 3, v23
	s_delay_alu instid0(VALU_DEP_1)
	v_add3_u32 v18, v16, v18, 0x80
	.p2align	6
.LBB165_90:                             ; =>This Inner Loop Header: Depth=1
	v_sub_nc_u32_e32 v19, v17, v25
	s_delay_alu instid0(VALU_DEP_1) | instskip(NEXT) | instid1(VALU_DEP_1)
	v_lshrrev_b32_e32 v20, 31, v19
	v_add_nc_u32_e32 v19, v19, v20
	s_delay_alu instid0(VALU_DEP_1) | instskip(NEXT) | instid1(VALU_DEP_1)
	v_ashrrev_i32_e32 v19, 1, v19
	v_add_nc_u32_e32 v26, v19, v25
	s_delay_alu instid0(VALU_DEP_1) | instskip(SKIP_1) | instid1(VALU_DEP_2)
	v_not_b32_e32 v19, v26
	v_lshl_add_u32 v20, v26, 3, v16
	v_lshl_add_u32 v21, v19, 3, v18
	ds_load_b64 v[19:20], v20
	ds_load_b64 v[21:22], v21
	s_waitcnt lgkmcnt(0)
	v_cmp_lt_i64_e32 vcc_lo, v[21:22], v[19:20]
	v_add_nc_u32_e32 v19, 1, v26
	v_cndmask_b32_e32 v17, v17, v26, vcc_lo
	s_delay_alu instid0(VALU_DEP_2) | instskip(NEXT) | instid1(VALU_DEP_1)
	v_cndmask_b32_e32 v25, v19, v25, vcc_lo
	v_cmp_ge_i32_e32 vcc_lo, v25, v17
	s_or_b32 s1, vcc_lo, s1
	s_delay_alu instid0(SALU_CYCLE_1)
	s_and_not1_b32 exec_lo, exec_lo, s1
	s_cbranch_execnz .LBB165_90
; %bb.91:
	s_or_b32 exec_lo, exec_lo, s1
.LBB165_92:
	s_delay_alu instid0(SALU_CYCLE_1) | instskip(SKIP_4) | instid1(VALU_DEP_4)
	s_or_b32 exec_lo, exec_lo, s0
	v_add_nc_u32_e32 v17, v24, v23
	v_lshl_add_u32 v22, v25, 3, v16
	v_add_nc_u32_e32 v20, v54, v23
	v_cmp_lt_i32_e64 s0, 15, v25
	v_sub_nc_u32_e32 v17, v17, v25
	s_delay_alu instid0(VALU_DEP_3) | instskip(NEXT) | instid1(VALU_DEP_2)
	v_sub_nc_u32_e32 v55, v20, v25
                                        ; implicit-def: $vgpr20_vgpr21
	v_lshl_add_u32 v26, v17, 3, v51
	ds_load_b64 v[16:17], v22
	ds_load_b64 v[18:19], v26 offset:128
	v_cmp_gt_i32_e64 s1, v48, v55
	s_waitcnt lgkmcnt(0)
	v_cmp_lt_i64_e32 vcc_lo, v[18:19], v[16:17]
	s_or_b32 s0, s0, vcc_lo
	s_delay_alu instid0(VALU_DEP_2) | instid1(SALU_CYCLE_1)
	s_and_b32 vcc_lo, s1, s0
	s_delay_alu instid0(SALU_CYCLE_1) | instskip(NEXT) | instid1(SALU_CYCLE_1)
	s_xor_b32 s0, vcc_lo, -1
	s_and_saveexec_b32 s1, s0
	s_delay_alu instid0(SALU_CYCLE_1)
	s_xor_b32 s0, exec_lo, s1
	s_cbranch_execz .LBB165_94
; %bb.93:
	ds_load_b64 v[20:21], v22 offset:8
                                        ; implicit-def: $vgpr26
.LBB165_94:
	s_or_saveexec_b32 s0, s0
	v_dual_mov_b32 v23, v19 :: v_dual_mov_b32 v22, v18
	s_xor_b32 exec_lo, exec_lo, s0
	s_cbranch_execz .LBB165_96
; %bb.95:
	ds_load_b64 v[22:23], v26 offset:136
	s_waitcnt lgkmcnt(1)
	v_dual_mov_b32 v21, v17 :: v_dual_mov_b32 v20, v16
.LBB165_96:
	s_or_b32 exec_lo, exec_lo, s0
	v_add_nc_u32_e32 v56, v25, v24
	v_add_nc_u32_e32 v25, 1, v55
	s_waitcnt lgkmcnt(0)
	v_cmp_lt_i64_e64 s0, v[22:23], v[20:21]
	s_delay_alu instid0(VALU_DEP_3) | instskip(NEXT) | instid1(VALU_DEP_1)
	v_add_nc_u32_e32 v24, 1, v56
	v_dual_cndmask_b32 v58, v55, v25 :: v_dual_cndmask_b32 v57, v24, v56
                                        ; implicit-def: $vgpr24_vgpr25
	s_delay_alu instid0(VALU_DEP_1) | instskip(NEXT) | instid1(VALU_DEP_2)
	v_cmp_lt_i32_e64 s2, v58, v48
	v_cmp_ge_i32_e64 s1, v57, v54
	s_delay_alu instid0(VALU_DEP_1)
	s_or_b32 s0, s1, s0
	s_delay_alu instid0(VALU_DEP_2) | instid1(SALU_CYCLE_1)
	s_and_b32 s0, s2, s0
	s_delay_alu instid0(SALU_CYCLE_1) | instskip(NEXT) | instid1(SALU_CYCLE_1)
	s_xor_b32 s1, s0, -1
	s_and_saveexec_b32 s2, s1
	s_delay_alu instid0(SALU_CYCLE_1)
	s_xor_b32 s1, exec_lo, s2
	s_cbranch_execz .LBB165_98
; %bb.97:
	v_lshl_add_u32 v24, v57, 3, v51
	ds_load_b64 v[24:25], v24 offset:8
.LBB165_98:
	s_or_saveexec_b32 s1, s1
	v_dual_mov_b32 v27, v23 :: v_dual_mov_b32 v26, v22
	s_xor_b32 exec_lo, exec_lo, s1
	s_cbranch_execz .LBB165_100
; %bb.99:
	s_waitcnt lgkmcnt(0)
	v_lshl_add_u32 v24, v58, 3, v51
	ds_load_b64 v[26:27], v24 offset:8
	v_dual_mov_b32 v25, v21 :: v_dual_mov_b32 v24, v20
.LBB165_100:
	s_or_b32 exec_lo, exec_lo, s1
	v_add_nc_u32_e32 v28, 1, v57
	v_add_nc_u32_e32 v29, 1, v58
	s_waitcnt lgkmcnt(0)
	v_cmp_lt_i64_e64 s1, v[26:27], v[24:25]
	s_delay_alu instid0(VALU_DEP_3) | instskip(NEXT) | instid1(VALU_DEP_3)
	v_cndmask_b32_e64 v59, v28, v57, s0
	v_cndmask_b32_e64 v60, v58, v29, s0
                                        ; implicit-def: $vgpr28_vgpr29
	s_delay_alu instid0(VALU_DEP_2) | instskip(NEXT) | instid1(VALU_DEP_2)
	v_cmp_ge_i32_e64 s2, v59, v54
	v_cmp_lt_i32_e64 s3, v60, v48
	s_delay_alu instid0(VALU_DEP_2)
	s_or_b32 s1, s2, s1
	s_delay_alu instid0(VALU_DEP_1) | instid1(SALU_CYCLE_1)
	s_and_b32 s1, s3, s1
	s_delay_alu instid0(SALU_CYCLE_1) | instskip(NEXT) | instid1(SALU_CYCLE_1)
	s_xor_b32 s2, s1, -1
	s_and_saveexec_b32 s3, s2
	s_delay_alu instid0(SALU_CYCLE_1)
	s_xor_b32 s2, exec_lo, s3
	s_cbranch_execz .LBB165_102
; %bb.101:
	v_lshl_add_u32 v28, v59, 3, v51
	ds_load_b64 v[28:29], v28 offset:8
.LBB165_102:
	s_or_saveexec_b32 s2, s2
	v_dual_mov_b32 v31, v27 :: v_dual_mov_b32 v30, v26
	s_xor_b32 exec_lo, exec_lo, s2
	s_cbranch_execz .LBB165_104
; %bb.103:
	s_waitcnt lgkmcnt(0)
	v_lshl_add_u32 v28, v60, 3, v51
	ds_load_b64 v[30:31], v28 offset:8
	v_dual_mov_b32 v29, v25 :: v_dual_mov_b32 v28, v24
.LBB165_104:
	s_or_b32 exec_lo, exec_lo, s2
	v_add_nc_u32_e32 v32, 1, v59
	v_add_nc_u32_e32 v33, 1, v60
	s_waitcnt lgkmcnt(0)
	v_cmp_lt_i64_e64 s2, v[30:31], v[28:29]
	s_delay_alu instid0(VALU_DEP_3) | instskip(NEXT) | instid1(VALU_DEP_3)
	v_cndmask_b32_e64 v61, v32, v59, s1
	v_cndmask_b32_e64 v62, v60, v33, s1
                                        ; implicit-def: $vgpr32_vgpr33
	s_delay_alu instid0(VALU_DEP_2) | instskip(NEXT) | instid1(VALU_DEP_2)
	v_cmp_ge_i32_e64 s3, v61, v54
	v_cmp_lt_i32_e64 s4, v62, v48
	s_delay_alu instid0(VALU_DEP_2)
	s_or_b32 s2, s3, s2
	s_delay_alu instid0(VALU_DEP_1) | instid1(SALU_CYCLE_1)
	s_and_b32 s2, s4, s2
	s_delay_alu instid0(SALU_CYCLE_1) | instskip(NEXT) | instid1(SALU_CYCLE_1)
	s_xor_b32 s3, s2, -1
	s_and_saveexec_b32 s4, s3
	s_delay_alu instid0(SALU_CYCLE_1)
	s_xor_b32 s3, exec_lo, s4
	s_cbranch_execz .LBB165_106
; %bb.105:
	v_lshl_add_u32 v32, v61, 3, v51
	ds_load_b64 v[32:33], v32 offset:8
.LBB165_106:
	s_or_saveexec_b32 s3, s3
	v_dual_mov_b32 v37, v31 :: v_dual_mov_b32 v36, v30
	s_xor_b32 exec_lo, exec_lo, s3
	s_cbranch_execz .LBB165_108
; %bb.107:
	s_waitcnt lgkmcnt(0)
	v_lshl_add_u32 v32, v62, 3, v51
	ds_load_b64 v[36:37], v32 offset:8
	v_dual_mov_b32 v33, v29 :: v_dual_mov_b32 v32, v28
.LBB165_108:
	s_or_b32 exec_lo, exec_lo, s3
	v_add_nc_u32_e32 v34, 1, v61
	v_add_nc_u32_e32 v35, 1, v62
	s_waitcnt lgkmcnt(0)
	v_cmp_lt_i64_e64 s3, v[36:37], v[32:33]
                                        ; implicit-def: $vgpr40_vgpr41
	s_delay_alu instid0(VALU_DEP_3) | instskip(NEXT) | instid1(VALU_DEP_3)
	v_cndmask_b32_e64 v63, v34, v61, s2
	v_cndmask_b32_e64 v64, v62, v35, s2
	s_delay_alu instid0(VALU_DEP_2) | instskip(NEXT) | instid1(VALU_DEP_2)
	v_cmp_ge_i32_e64 s4, v63, v54
	v_cmp_lt_i32_e64 s5, v64, v48
	s_delay_alu instid0(VALU_DEP_2)
	s_or_b32 s3, s4, s3
	s_delay_alu instid0(VALU_DEP_1) | instid1(SALU_CYCLE_1)
	s_and_b32 s3, s5, s3
	s_delay_alu instid0(SALU_CYCLE_1) | instskip(NEXT) | instid1(SALU_CYCLE_1)
	s_xor_b32 s4, s3, -1
	s_and_saveexec_b32 s5, s4
	s_delay_alu instid0(SALU_CYCLE_1)
	s_xor_b32 s4, exec_lo, s5
	s_cbranch_execz .LBB165_110
; %bb.109:
	v_lshl_add_u32 v34, v63, 3, v51
	ds_load_b64 v[40:41], v34 offset:8
.LBB165_110:
	s_or_saveexec_b32 s4, s4
	v_dual_mov_b32 v43, v37 :: v_dual_mov_b32 v42, v36
	s_xor_b32 exec_lo, exec_lo, s4
	s_cbranch_execz .LBB165_112
; %bb.111:
	v_lshl_add_u32 v34, v64, 3, v51
	s_waitcnt lgkmcnt(0)
	v_dual_mov_b32 v41, v33 :: v_dual_mov_b32 v40, v32
	ds_load_b64 v[42:43], v34 offset:8
.LBB165_112:
	s_or_b32 exec_lo, exec_lo, s4
	v_add_nc_u32_e32 v34, 1, v63
	v_add_nc_u32_e32 v35, 1, v64
	s_waitcnt lgkmcnt(0)
	v_cmp_lt_i64_e64 s4, v[42:43], v[40:41]
                                        ; implicit-def: $vgpr44_vgpr45
	s_delay_alu instid0(VALU_DEP_3) | instskip(NEXT) | instid1(VALU_DEP_3)
	v_cndmask_b32_e64 v65, v34, v63, s3
	v_cndmask_b32_e64 v66, v64, v35, s3
	s_delay_alu instid0(VALU_DEP_2) | instskip(NEXT) | instid1(VALU_DEP_2)
	v_cmp_ge_i32_e64 s5, v65, v54
	v_cmp_lt_i32_e64 s6, v66, v48
	s_delay_alu instid0(VALU_DEP_2)
	s_or_b32 s4, s5, s4
	s_delay_alu instid0(VALU_DEP_1) | instid1(SALU_CYCLE_1)
	s_and_b32 s4, s6, s4
	s_delay_alu instid0(SALU_CYCLE_1) | instskip(NEXT) | instid1(SALU_CYCLE_1)
	s_xor_b32 s5, s4, -1
	s_and_saveexec_b32 s6, s5
	s_delay_alu instid0(SALU_CYCLE_1)
	s_xor_b32 s5, exec_lo, s6
	s_cbranch_execz .LBB165_114
; %bb.113:
	v_lshl_add_u32 v34, v65, 3, v51
	ds_load_b64 v[44:45], v34 offset:8
.LBB165_114:
	s_or_saveexec_b32 s5, s5
	v_dual_mov_b32 v47, v43 :: v_dual_mov_b32 v46, v42
	s_xor_b32 exec_lo, exec_lo, s5
	s_cbranch_execz .LBB165_116
; %bb.115:
	v_lshl_add_u32 v34, v66, 3, v51
	s_waitcnt lgkmcnt(0)
	v_dual_mov_b32 v45, v41 :: v_dual_mov_b32 v44, v40
	ds_load_b64 v[46:47], v34 offset:8
.LBB165_116:
	s_or_b32 exec_lo, exec_lo, s5
	v_add_nc_u32_e32 v34, 1, v65
	v_add_nc_u32_e32 v35, 1, v66
	s_waitcnt lgkmcnt(0)
	v_cmp_lt_i64_e64 s5, v[46:47], v[44:45]
	s_delay_alu instid0(VALU_DEP_3) | instskip(NEXT) | instid1(VALU_DEP_3)
	v_cndmask_b32_e64 v67, v34, v65, s4
	v_cndmask_b32_e64 v68, v66, v35, s4
                                        ; implicit-def: $vgpr34_vgpr35
	s_delay_alu instid0(VALU_DEP_2) | instskip(NEXT) | instid1(VALU_DEP_2)
	v_cmp_ge_i32_e64 s6, v67, v54
	v_cmp_lt_i32_e64 s7, v68, v48
	s_delay_alu instid0(VALU_DEP_2)
	s_or_b32 s5, s6, s5
	s_delay_alu instid0(VALU_DEP_1) | instid1(SALU_CYCLE_1)
	s_and_b32 s5, s7, s5
	s_delay_alu instid0(SALU_CYCLE_1) | instskip(NEXT) | instid1(SALU_CYCLE_1)
	s_xor_b32 s6, s5, -1
	s_and_saveexec_b32 s7, s6
	s_delay_alu instid0(SALU_CYCLE_1)
	s_xor_b32 s6, exec_lo, s7
	s_cbranch_execz .LBB165_118
; %bb.117:
	v_lshl_add_u32 v34, v67, 3, v51
	ds_load_b64 v[34:35], v34 offset:8
.LBB165_118:
	s_or_saveexec_b32 s6, s6
	v_dual_mov_b32 v38, v46 :: v_dual_mov_b32 v39, v47
	s_xor_b32 exec_lo, exec_lo, s6
	s_cbranch_execz .LBB165_120
; %bb.119:
	s_waitcnt lgkmcnt(0)
	v_lshl_add_u32 v34, v68, 3, v51
	ds_load_b64 v[38:39], v34 offset:8
	v_dual_mov_b32 v34, v44 :: v_dual_mov_b32 v35, v45
.LBB165_120:
	s_or_b32 exec_lo, exec_lo, s6
	v_add_nc_u32_e32 v70, 1, v67
	v_dual_cndmask_b32 v18, v16, v18 :: v_dual_add_nc_u32 v69, 1, v68
	v_cndmask_b32_e64 v45, v45, v47, s5
	v_cndmask_b32_e64 v44, v44, v46, s5
	s_delay_alu instid0(VALU_DEP_4) | instskip(NEXT) | instid1(VALU_DEP_4)
	v_cndmask_b32_e64 v47, v70, v67, s5
	v_cndmask_b32_e64 v46, v68, v69, s5
	v_cndmask_b32_e64 v27, v25, v27, s1
	v_cndmask_b32_e64 v26, v24, v26, s1
	v_cndmask_b32_e64 v24, v59, v60, s1
	s_waitcnt lgkmcnt(0)
	v_cmp_lt_i64_e64 s1, v[38:39], v[34:35]
	v_cndmask_b32_e64 v29, v29, v31, s2
	v_cndmask_b32_e64 v28, v28, v30, s2
	;; [unrolled: 1-line block ×3, first 2 shown]
	v_cmp_ge_i32_e64 s2, v47, v54
	v_cndmask_b32_e64 v23, v21, v23, s0
	v_cndmask_b32_e32 v21, v56, v55, vcc_lo
	v_cndmask_b32_e64 v33, v33, v37, s3
	v_cndmask_b32_e64 v32, v32, v36, s3
	;; [unrolled: 1-line block ×3, first 2 shown]
	v_cmp_lt_i32_e64 s3, v46, v48
	v_cndmask_b32_e64 v22, v20, v22, s0
	v_cndmask_b32_e64 v20, v57, v58, s0
	s_or_b32 s0, s2, s1
	; wave barrier
	ds_store_2addr_b64 v50, v[12:13], v[14:15] offset1:1
	ds_store_2addr_b64 v50, v[4:5], v[6:7] offset0:2 offset1:3
	ds_store_2addr_b64 v50, v[8:9], v[10:11] offset0:4 offset1:5
	;; [unrolled: 1-line block ×3, first 2 shown]
	v_lshl_add_u32 v2, v24, 3, v51
	v_and_b32_e32 v24, 64, v53
	v_lshl_add_u32 v0, v21, 3, v51
	v_cndmask_b32_e64 v40, v40, v42, s4
	v_cndmask_b32_e64 v42, v65, v66, s4
	s_and_b32 s0, s3, s0
	v_lshl_add_u32 v1, v20, 3, v51
	v_cndmask_b32_e64 v67, v67, v68, s5
	v_cndmask_b32_e64 v25, v47, v46, s0
	v_lshl_add_u32 v3, v30, 3, v51
	; wave barrier
	ds_load_b64 v[12:13], v0
	ds_load_b64 v[14:15], v1
	;; [unrolled: 1-line block ×4, first 2 shown]
	v_lshl_add_u32 v0, v36, 3, v51
	v_lshl_add_u32 v1, v42, 3, v51
	v_lshl_add_u32 v2, v67, 3, v51
	v_lshl_add_u32 v3, v25, 3, v51
	ds_load_b64 v[8:9], v0
	ds_load_b64 v[10:11], v1
	;; [unrolled: 1-line block ×4, first 2 shown]
	v_or_b32_e32 v54, 32, v24
	v_dual_cndmask_b32 v19, v17, v19 :: v_dual_add_nc_u32 v48, 64, v24
	v_and_b32_e32 v20, 56, v53
	v_cndmask_b32_e64 v41, v41, v43, s4
	s_delay_alu instid0(VALU_DEP_4) | instskip(NEXT) | instid1(VALU_DEP_4)
	v_sub_nc_u32_e32 v17, v54, v24
	v_sub_nc_u32_e32 v21, v48, v54
	v_cndmask_b32_e64 v31, v35, v39, s0
	v_cndmask_b32_e64 v30, v34, v38, s0
	s_mov_b32 s1, 0
	v_min_i32_e32 v17, v20, v17
	v_sub_nc_u32_e32 v16, v20, v21
	v_cmp_ge_i32_e32 vcc_lo, v20, v21
	s_mov_b32 s0, exec_lo
	; wave barrier
	ds_store_2addr_b64 v50, v[18:19], v[22:23] offset1:1
	ds_store_2addr_b64 v50, v[26:27], v[28:29] offset0:2 offset1:3
	v_cndmask_b32_e32 v25, 0, v16, vcc_lo
	v_lshl_add_u32 v16, v24, 3, v51
	ds_store_2addr_b64 v50, v[32:33], v[40:41] offset0:4 offset1:5
	ds_store_2addr_b64 v50, v[44:45], v[30:31] offset0:6 offset1:7
	; wave barrier
	v_cmpx_lt_i32_e64 v25, v17
	s_cbranch_execz .LBB165_124
; %bb.121:
	v_lshlrev_b32_e32 v18, 3, v20
	s_delay_alu instid0(VALU_DEP_1)
	v_add3_u32 v18, v16, v18, 0x100
	.p2align	6
.LBB165_122:                            ; =>This Inner Loop Header: Depth=1
	v_sub_nc_u32_e32 v19, v17, v25
	s_delay_alu instid0(VALU_DEP_1) | instskip(NEXT) | instid1(VALU_DEP_1)
	v_lshrrev_b32_e32 v21, 31, v19
	v_add_nc_u32_e32 v19, v19, v21
	s_delay_alu instid0(VALU_DEP_1) | instskip(NEXT) | instid1(VALU_DEP_1)
	v_ashrrev_i32_e32 v19, 1, v19
	v_add_nc_u32_e32 v19, v19, v25
	s_delay_alu instid0(VALU_DEP_1) | instskip(SKIP_1) | instid1(VALU_DEP_2)
	v_not_b32_e32 v21, v19
	v_lshl_add_u32 v22, v19, 3, v16
	v_lshl_add_u32 v23, v21, 3, v18
	ds_load_b64 v[21:22], v22
	ds_load_b64 v[26:27], v23
	s_waitcnt lgkmcnt(0)
	v_cmp_lt_i64_e32 vcc_lo, v[26:27], v[21:22]
	v_add_nc_u32_e32 v21, 1, v19
	v_cndmask_b32_e32 v17, v17, v19, vcc_lo
	s_delay_alu instid0(VALU_DEP_2) | instskip(NEXT) | instid1(VALU_DEP_1)
	v_cndmask_b32_e32 v25, v21, v25, vcc_lo
	v_cmp_ge_i32_e32 vcc_lo, v25, v17
	s_or_b32 s1, vcc_lo, s1
	s_delay_alu instid0(SALU_CYCLE_1)
	s_and_not1_b32 exec_lo, exec_lo, s1
	s_cbranch_execnz .LBB165_122
; %bb.123:
	s_or_b32 exec_lo, exec_lo, s1
.LBB165_124:
	s_delay_alu instid0(SALU_CYCLE_1) | instskip(SKIP_4) | instid1(VALU_DEP_4)
	s_or_b32 exec_lo, exec_lo, s0
	v_add_nc_u32_e32 v17, v24, v20
	v_lshl_add_u32 v22, v25, 3, v16
	v_add_nc_u32_e32 v20, v54, v20
	v_cmp_lt_i32_e64 s0, 31, v25
	v_sub_nc_u32_e32 v17, v17, v25
	s_delay_alu instid0(VALU_DEP_3) | instskip(NEXT) | instid1(VALU_DEP_2)
	v_sub_nc_u32_e32 v53, v20, v25
                                        ; implicit-def: $vgpr20_vgpr21
	v_lshl_add_u32 v26, v17, 3, v51
	ds_load_b64 v[16:17], v22
	ds_load_b64 v[18:19], v26 offset:256
	v_cmp_gt_i32_e64 s1, v48, v53
	s_waitcnt lgkmcnt(0)
	v_cmp_lt_i64_e32 vcc_lo, v[18:19], v[16:17]
	s_or_b32 s0, s0, vcc_lo
	s_delay_alu instid0(VALU_DEP_2) | instid1(SALU_CYCLE_1)
	s_and_b32 vcc_lo, s1, s0
	s_delay_alu instid0(SALU_CYCLE_1) | instskip(NEXT) | instid1(SALU_CYCLE_1)
	s_xor_b32 s0, vcc_lo, -1
	s_and_saveexec_b32 s1, s0
	s_delay_alu instid0(SALU_CYCLE_1)
	s_xor_b32 s0, exec_lo, s1
	s_cbranch_execz .LBB165_126
; %bb.125:
	ds_load_b64 v[20:21], v22 offset:8
                                        ; implicit-def: $vgpr26
.LBB165_126:
	s_or_saveexec_b32 s0, s0
	v_dual_mov_b32 v23, v19 :: v_dual_mov_b32 v22, v18
	s_xor_b32 exec_lo, exec_lo, s0
	s_cbranch_execz .LBB165_128
; %bb.127:
	ds_load_b64 v[22:23], v26 offset:264
	s_waitcnt lgkmcnt(1)
	v_dual_mov_b32 v21, v17 :: v_dual_mov_b32 v20, v16
.LBB165_128:
	s_or_b32 exec_lo, exec_lo, s0
	v_add_nc_u32_e32 v55, v25, v24
	v_add_nc_u32_e32 v25, 1, v53
	s_waitcnt lgkmcnt(0)
	v_cmp_lt_i64_e64 s0, v[22:23], v[20:21]
	s_delay_alu instid0(VALU_DEP_2) | instskip(NEXT) | instid1(VALU_DEP_1)
	v_dual_cndmask_b32 v57, v53, v25 :: v_dual_add_nc_u32 v24, 1, v55
	v_cndmask_b32_e32 v56, v24, v55, vcc_lo
	s_delay_alu instid0(VALU_DEP_2) | instskip(NEXT) | instid1(VALU_DEP_2)
	v_cmp_lt_i32_e64 s2, v57, v48
                                        ; implicit-def: $vgpr24_vgpr25
	v_cmp_ge_i32_e64 s1, v56, v54
	s_delay_alu instid0(VALU_DEP_1)
	s_or_b32 s0, s1, s0
	s_delay_alu instid0(VALU_DEP_2) | instid1(SALU_CYCLE_1)
	s_and_b32 s0, s2, s0
	s_delay_alu instid0(SALU_CYCLE_1) | instskip(NEXT) | instid1(SALU_CYCLE_1)
	s_xor_b32 s1, s0, -1
	s_and_saveexec_b32 s2, s1
	s_delay_alu instid0(SALU_CYCLE_1)
	s_xor_b32 s1, exec_lo, s2
	s_cbranch_execz .LBB165_130
; %bb.129:
	v_lshl_add_u32 v24, v56, 3, v51
	ds_load_b64 v[24:25], v24 offset:8
.LBB165_130:
	s_or_saveexec_b32 s1, s1
	v_dual_mov_b32 v27, v23 :: v_dual_mov_b32 v26, v22
	s_xor_b32 exec_lo, exec_lo, s1
	s_cbranch_execz .LBB165_132
; %bb.131:
	s_waitcnt lgkmcnt(0)
	v_lshl_add_u32 v24, v57, 3, v51
	ds_load_b64 v[26:27], v24 offset:8
	v_dual_mov_b32 v25, v21 :: v_dual_mov_b32 v24, v20
.LBB165_132:
	s_or_b32 exec_lo, exec_lo, s1
	v_add_nc_u32_e32 v28, 1, v56
	v_add_nc_u32_e32 v29, 1, v57
	s_waitcnt lgkmcnt(0)
	v_cmp_lt_i64_e64 s1, v[26:27], v[24:25]
	s_delay_alu instid0(VALU_DEP_3) | instskip(NEXT) | instid1(VALU_DEP_3)
	v_cndmask_b32_e64 v58, v28, v56, s0
	v_cndmask_b32_e64 v59, v57, v29, s0
                                        ; implicit-def: $vgpr28_vgpr29
	s_delay_alu instid0(VALU_DEP_2) | instskip(NEXT) | instid1(VALU_DEP_2)
	v_cmp_ge_i32_e64 s2, v58, v54
	v_cmp_lt_i32_e64 s3, v59, v48
	s_delay_alu instid0(VALU_DEP_2)
	s_or_b32 s1, s2, s1
	s_delay_alu instid0(VALU_DEP_1) | instid1(SALU_CYCLE_1)
	s_and_b32 s1, s3, s1
	s_delay_alu instid0(SALU_CYCLE_1) | instskip(NEXT) | instid1(SALU_CYCLE_1)
	s_xor_b32 s2, s1, -1
	s_and_saveexec_b32 s3, s2
	s_delay_alu instid0(SALU_CYCLE_1)
	s_xor_b32 s2, exec_lo, s3
	s_cbranch_execz .LBB165_134
; %bb.133:
	v_lshl_add_u32 v28, v58, 3, v51
	ds_load_b64 v[28:29], v28 offset:8
.LBB165_134:
	s_or_saveexec_b32 s2, s2
	v_dual_mov_b32 v31, v27 :: v_dual_mov_b32 v30, v26
	s_xor_b32 exec_lo, exec_lo, s2
	s_cbranch_execz .LBB165_136
; %bb.135:
	s_waitcnt lgkmcnt(0)
	v_lshl_add_u32 v28, v59, 3, v51
	ds_load_b64 v[30:31], v28 offset:8
	v_dual_mov_b32 v29, v25 :: v_dual_mov_b32 v28, v24
.LBB165_136:
	s_or_b32 exec_lo, exec_lo, s2
	v_add_nc_u32_e32 v32, 1, v58
	v_add_nc_u32_e32 v33, 1, v59
	s_waitcnt lgkmcnt(0)
	v_cmp_lt_i64_e64 s2, v[30:31], v[28:29]
	s_delay_alu instid0(VALU_DEP_3) | instskip(NEXT) | instid1(VALU_DEP_3)
	v_cndmask_b32_e64 v60, v32, v58, s1
	v_cndmask_b32_e64 v61, v59, v33, s1
                                        ; implicit-def: $vgpr32_vgpr33
	s_delay_alu instid0(VALU_DEP_2) | instskip(NEXT) | instid1(VALU_DEP_2)
	v_cmp_ge_i32_e64 s3, v60, v54
	v_cmp_lt_i32_e64 s4, v61, v48
	s_delay_alu instid0(VALU_DEP_2)
	s_or_b32 s2, s3, s2
	s_delay_alu instid0(VALU_DEP_1) | instid1(SALU_CYCLE_1)
	s_and_b32 s2, s4, s2
	s_delay_alu instid0(SALU_CYCLE_1) | instskip(NEXT) | instid1(SALU_CYCLE_1)
	s_xor_b32 s3, s2, -1
	s_and_saveexec_b32 s4, s3
	s_delay_alu instid0(SALU_CYCLE_1)
	s_xor_b32 s3, exec_lo, s4
	s_cbranch_execz .LBB165_138
; %bb.137:
	v_lshl_add_u32 v32, v60, 3, v51
	ds_load_b64 v[32:33], v32 offset:8
.LBB165_138:
	s_or_saveexec_b32 s3, s3
	v_dual_mov_b32 v35, v31 :: v_dual_mov_b32 v34, v30
	s_xor_b32 exec_lo, exec_lo, s3
	s_cbranch_execz .LBB165_140
; %bb.139:
	s_waitcnt lgkmcnt(0)
	v_lshl_add_u32 v32, v61, 3, v51
	ds_load_b64 v[34:35], v32 offset:8
	v_dual_mov_b32 v33, v29 :: v_dual_mov_b32 v32, v28
.LBB165_140:
	s_or_b32 exec_lo, exec_lo, s3
	v_add_nc_u32_e32 v36, 1, v60
	v_add_nc_u32_e32 v37, 1, v61
	s_waitcnt lgkmcnt(0)
	v_cmp_lt_i64_e64 s3, v[34:35], v[32:33]
                                        ; implicit-def: $vgpr38_vgpr39
	s_delay_alu instid0(VALU_DEP_3) | instskip(NEXT) | instid1(VALU_DEP_3)
	v_cndmask_b32_e64 v62, v36, v60, s2
	v_cndmask_b32_e64 v63, v61, v37, s2
	s_delay_alu instid0(VALU_DEP_2) | instskip(NEXT) | instid1(VALU_DEP_2)
	v_cmp_ge_i32_e64 s4, v62, v54
	v_cmp_lt_i32_e64 s5, v63, v48
	s_delay_alu instid0(VALU_DEP_2)
	s_or_b32 s3, s4, s3
	s_delay_alu instid0(VALU_DEP_1) | instid1(SALU_CYCLE_1)
	s_and_b32 s3, s5, s3
	s_delay_alu instid0(SALU_CYCLE_1) | instskip(NEXT) | instid1(SALU_CYCLE_1)
	s_xor_b32 s4, s3, -1
	s_and_saveexec_b32 s5, s4
	s_delay_alu instid0(SALU_CYCLE_1)
	s_xor_b32 s4, exec_lo, s5
	s_cbranch_execz .LBB165_142
; %bb.141:
	v_lshl_add_u32 v36, v62, 3, v51
	ds_load_b64 v[38:39], v36 offset:8
.LBB165_142:
	s_or_saveexec_b32 s4, s4
	v_dual_mov_b32 v43, v35 :: v_dual_mov_b32 v42, v34
	s_xor_b32 exec_lo, exec_lo, s4
	s_cbranch_execz .LBB165_144
; %bb.143:
	v_lshl_add_u32 v36, v63, 3, v51
	s_waitcnt lgkmcnt(0)
	v_dual_mov_b32 v39, v33 :: v_dual_mov_b32 v38, v32
	ds_load_b64 v[42:43], v36 offset:8
.LBB165_144:
	s_or_b32 exec_lo, exec_lo, s4
	v_add_nc_u32_e32 v36, 1, v62
	v_add_nc_u32_e32 v37, 1, v63
	s_waitcnt lgkmcnt(0)
	v_cmp_lt_i64_e64 s4, v[42:43], v[38:39]
                                        ; implicit-def: $vgpr44_vgpr45
	s_delay_alu instid0(VALU_DEP_3) | instskip(NEXT) | instid1(VALU_DEP_3)
	v_cndmask_b32_e64 v64, v36, v62, s3
	v_cndmask_b32_e64 v65, v63, v37, s3
	s_delay_alu instid0(VALU_DEP_2) | instskip(NEXT) | instid1(VALU_DEP_2)
	v_cmp_ge_i32_e64 s5, v64, v54
	v_cmp_lt_i32_e64 s6, v65, v48
	s_delay_alu instid0(VALU_DEP_2)
	s_or_b32 s4, s5, s4
	s_delay_alu instid0(VALU_DEP_1) | instid1(SALU_CYCLE_1)
	s_and_b32 s4, s6, s4
	s_delay_alu instid0(SALU_CYCLE_1) | instskip(NEXT) | instid1(SALU_CYCLE_1)
	s_xor_b32 s5, s4, -1
	s_and_saveexec_b32 s6, s5
	s_delay_alu instid0(SALU_CYCLE_1)
	s_xor_b32 s5, exec_lo, s6
	s_cbranch_execz .LBB165_146
; %bb.145:
	v_lshl_add_u32 v36, v64, 3, v51
	ds_load_b64 v[44:45], v36 offset:8
.LBB165_146:
	s_or_saveexec_b32 s5, s5
	v_dual_mov_b32 v47, v43 :: v_dual_mov_b32 v46, v42
	s_xor_b32 exec_lo, exec_lo, s5
	s_cbranch_execz .LBB165_148
; %bb.147:
	v_lshl_add_u32 v36, v65, 3, v51
	s_waitcnt lgkmcnt(0)
	v_dual_mov_b32 v45, v39 :: v_dual_mov_b32 v44, v38
	ds_load_b64 v[46:47], v36 offset:8
.LBB165_148:
	s_or_b32 exec_lo, exec_lo, s5
	v_add_nc_u32_e32 v36, 1, v64
	v_add_nc_u32_e32 v37, 1, v65
	s_waitcnt lgkmcnt(0)
	v_cmp_lt_i64_e64 s5, v[46:47], v[44:45]
	s_delay_alu instid0(VALU_DEP_3) | instskip(NEXT) | instid1(VALU_DEP_3)
	v_cndmask_b32_e64 v66, v36, v64, s4
	v_cndmask_b32_e64 v67, v65, v37, s4
                                        ; implicit-def: $vgpr36_vgpr37
	s_delay_alu instid0(VALU_DEP_2) | instskip(NEXT) | instid1(VALU_DEP_2)
	v_cmp_ge_i32_e64 s6, v66, v54
	v_cmp_lt_i32_e64 s7, v67, v48
	s_delay_alu instid0(VALU_DEP_2)
	s_or_b32 s5, s6, s5
	s_delay_alu instid0(VALU_DEP_1) | instid1(SALU_CYCLE_1)
	s_and_b32 s5, s7, s5
	s_delay_alu instid0(SALU_CYCLE_1) | instskip(NEXT) | instid1(SALU_CYCLE_1)
	s_xor_b32 s6, s5, -1
	s_and_saveexec_b32 s7, s6
	s_delay_alu instid0(SALU_CYCLE_1)
	s_xor_b32 s6, exec_lo, s7
	s_cbranch_execz .LBB165_150
; %bb.149:
	v_lshl_add_u32 v36, v66, 3, v51
	ds_load_b64 v[36:37], v36 offset:8
.LBB165_150:
	s_or_saveexec_b32 s6, s6
	v_dual_mov_b32 v40, v46 :: v_dual_mov_b32 v41, v47
	s_xor_b32 exec_lo, exec_lo, s6
	s_cbranch_execz .LBB165_152
; %bb.151:
	s_waitcnt lgkmcnt(0)
	v_lshl_add_u32 v36, v67, 3, v51
	ds_load_b64 v[40:41], v36 offset:8
	v_dual_mov_b32 v36, v44 :: v_dual_mov_b32 v37, v45
.LBB165_152:
	s_or_b32 exec_lo, exec_lo, s6
	v_add_nc_u32_e32 v69, 1, v66
	v_dual_cndmask_b32 v53, v55, v53 :: v_dual_add_nc_u32 v68, 1, v67
	v_cndmask_b32_e64 v45, v45, v47, s5
	v_cndmask_b32_e64 v44, v44, v46, s5
	s_delay_alu instid0(VALU_DEP_4) | instskip(NEXT) | instid1(VALU_DEP_4)
	v_cndmask_b32_e64 v47, v69, v66, s5
	v_cndmask_b32_e64 v46, v67, v68, s5
	;; [unrolled: 1-line block ×5, first 2 shown]
	s_waitcnt lgkmcnt(0)
	v_cmp_lt_i64_e64 s3, v[40:41], v[36:37]
	v_cndmask_b32_e64 v39, v39, v43, s4
	v_cndmask_b32_e64 v38, v38, v42, s4
	;; [unrolled: 1-line block ×3, first 2 shown]
	v_cmp_ge_i32_e64 s4, v47, v54
	v_cndmask_b32_e64 v66, v66, v67, s5
	v_cmp_lt_i32_e64 s5, v46, v48
	v_cndmask_b32_e64 v48, v56, v57, s0
	v_cndmask_b32_e64 v43, v58, v59, s1
	s_or_b32 s3, s4, s3
	v_cndmask_b32_e64 v35, v60, v61, s2
	s_and_b32 s3, s5, s3
	v_cndmask_b32_e64 v29, v29, v31, s2
	v_cndmask_b32_e64 v31, v37, v41, s3
	;; [unrolled: 1-line block ×3, first 2 shown]
	; wave barrier
	ds_store_2addr_b64 v50, v[12:13], v[14:15] offset1:1
	ds_store_2addr_b64 v50, v[4:5], v[6:7] offset0:2 offset1:3
	ds_store_2addr_b64 v50, v[8:9], v[10:11] offset0:4 offset1:5
	;; [unrolled: 1-line block ×3, first 2 shown]
	v_lshl_add_u32 v0, v53, 3, v51
	v_lshl_add_u32 v1, v48, 3, v51
	;; [unrolled: 1-line block ×8, first 2 shown]
	; wave barrier
	ds_load_b64 v[12:13], v0
	ds_load_b64 v[14:15], v1
	;; [unrolled: 1-line block ×8, first 2 shown]
	v_cndmask_b32_e64 v21, v21, v23, s0
	v_cndmask_b32_e64 v20, v20, v22, s0
	v_dual_cndmask_b32 v19, v17, v19 :: v_dual_cndmask_b32 v18, v16, v18
	v_sub_nc_u32_e64 v48, v52, 64 clamp
	v_min_i32_e32 v16, 64, v52
	v_cndmask_b32_e64 v28, v28, v30, s2
	v_cndmask_b32_e64 v25, v25, v27, s1
	;; [unrolled: 1-line block ×4, first 2 shown]
	s_mov_b32 s0, exec_lo
	; wave barrier
	ds_store_2addr_b64 v50, v[18:19], v[20:21] offset1:1
	ds_store_2addr_b64 v50, v[24:25], v[28:29] offset0:2 offset1:3
	ds_store_2addr_b64 v50, v[32:33], v[38:39] offset0:4 offset1:5
	;; [unrolled: 1-line block ×3, first 2 shown]
	; wave barrier
	v_cmpx_lt_u32_e64 v48, v16
	s_cbranch_execz .LBB165_156
; %bb.153:
	v_add_nc_u32_e32 v17, 0x200, v50
	s_mov_b32 s1, 0
	.p2align	6
.LBB165_154:                            ; =>This Inner Loop Header: Depth=1
	v_sub_nc_u32_e32 v18, v16, v48
	s_delay_alu instid0(VALU_DEP_1) | instskip(NEXT) | instid1(VALU_DEP_1)
	v_lshrrev_b32_e32 v19, 31, v18
	v_add_nc_u32_e32 v18, v18, v19
	s_delay_alu instid0(VALU_DEP_1) | instskip(NEXT) | instid1(VALU_DEP_1)
	v_ashrrev_i32_e32 v18, 1, v18
	v_add_nc_u32_e32 v22, v18, v48
	s_delay_alu instid0(VALU_DEP_1) | instskip(SKIP_1) | instid1(VALU_DEP_2)
	v_not_b32_e32 v18, v22
	v_lshl_add_u32 v19, v22, 3, v51
	v_lshl_add_u32 v20, v18, 3, v17
	ds_load_b64 v[18:19], v19
	ds_load_b64 v[20:21], v20
	s_waitcnt lgkmcnt(0)
	v_cmp_lt_i64_e32 vcc_lo, v[20:21], v[18:19]
	v_add_nc_u32_e32 v18, 1, v22
	v_cndmask_b32_e32 v16, v16, v22, vcc_lo
	s_delay_alu instid0(VALU_DEP_2) | instskip(NEXT) | instid1(VALU_DEP_1)
	v_cndmask_b32_e32 v48, v18, v48, vcc_lo
	v_cmp_ge_i32_e32 vcc_lo, v48, v16
	s_or_b32 s1, vcc_lo, s1
	s_delay_alu instid0(SALU_CYCLE_1)
	s_and_not1_b32 exec_lo, exec_lo, s1
	s_cbranch_execnz .LBB165_154
; %bb.155:
	s_or_b32 exec_lo, exec_lo, s1
.LBB165_156:
	s_delay_alu instid0(SALU_CYCLE_1) | instskip(SKIP_3) | instid1(VALU_DEP_3)
	s_or_b32 exec_lo, exec_lo, s0
	v_sub_nc_u32_e32 v20, v52, v48
	v_lshl_add_u32 v22, v48, 3, v51
	v_cmp_lt_i32_e64 s0, 63, v48
	v_lshl_add_u32 v24, v20, 3, v51
	v_add_nc_u32_e32 v52, 64, v20
                                        ; implicit-def: $vgpr20_vgpr21
	ds_load_b64 v[16:17], v22
	ds_load_b64 v[18:19], v24 offset:512
	v_cmp_gt_i32_e64 s1, 0x80, v52
	s_waitcnt lgkmcnt(0)
	v_cmp_lt_i64_e32 vcc_lo, v[18:19], v[16:17]
	s_or_b32 s0, s0, vcc_lo
	s_delay_alu instid0(VALU_DEP_2) | instid1(SALU_CYCLE_1)
	s_and_b32 vcc_lo, s1, s0
	s_delay_alu instid0(SALU_CYCLE_1) | instskip(NEXT) | instid1(SALU_CYCLE_1)
	s_xor_b32 s0, vcc_lo, -1
	s_and_saveexec_b32 s1, s0
	s_delay_alu instid0(SALU_CYCLE_1)
	s_xor_b32 s0, exec_lo, s1
	s_cbranch_execz .LBB165_158
; %bb.157:
	ds_load_b64 v[20:21], v22 offset:8
                                        ; implicit-def: $vgpr24
.LBB165_158:
	s_or_saveexec_b32 s0, s0
	v_dual_mov_b32 v23, v19 :: v_dual_mov_b32 v22, v18
	s_xor_b32 exec_lo, exec_lo, s0
	s_cbranch_execz .LBB165_160
; %bb.159:
	ds_load_b64 v[22:23], v24 offset:520
	s_waitcnt lgkmcnt(1)
	v_dual_mov_b32 v21, v17 :: v_dual_mov_b32 v20, v16
.LBB165_160:
	s_or_b32 exec_lo, exec_lo, s0
	v_add_nc_u32_e32 v24, 1, v48
	v_add_nc_u32_e32 v25, 1, v52
	s_waitcnt lgkmcnt(0)
	v_cmp_lt_i64_e64 s0, v[22:23], v[20:21]
	s_delay_alu instid0(VALU_DEP_3) | instskip(NEXT) | instid1(VALU_DEP_3)
	v_cndmask_b32_e32 v53, v24, v48, vcc_lo
	v_cndmask_b32_e32 v54, v52, v25, vcc_lo
                                        ; implicit-def: $vgpr24_vgpr25
	s_delay_alu instid0(VALU_DEP_2) | instskip(NEXT) | instid1(VALU_DEP_2)
	v_cmp_lt_i32_e64 s1, 63, v53
	v_cmp_gt_i32_e64 s2, 0x80, v54
	s_delay_alu instid0(VALU_DEP_2)
	s_or_b32 s0, s1, s0
	s_delay_alu instid0(VALU_DEP_1) | instid1(SALU_CYCLE_1)
	s_and_b32 s0, s2, s0
	s_delay_alu instid0(SALU_CYCLE_1) | instskip(NEXT) | instid1(SALU_CYCLE_1)
	s_xor_b32 s1, s0, -1
	s_and_saveexec_b32 s2, s1
	s_delay_alu instid0(SALU_CYCLE_1)
	s_xor_b32 s1, exec_lo, s2
	s_cbranch_execz .LBB165_162
; %bb.161:
	v_lshl_add_u32 v24, v53, 3, v51
	ds_load_b64 v[24:25], v24 offset:8
.LBB165_162:
	s_or_saveexec_b32 s1, s1
	v_dual_mov_b32 v27, v23 :: v_dual_mov_b32 v26, v22
	s_xor_b32 exec_lo, exec_lo, s1
	s_cbranch_execz .LBB165_164
; %bb.163:
	s_waitcnt lgkmcnt(0)
	v_lshl_add_u32 v24, v54, 3, v51
	ds_load_b64 v[26:27], v24 offset:8
	v_dual_mov_b32 v25, v21 :: v_dual_mov_b32 v24, v20
.LBB165_164:
	s_or_b32 exec_lo, exec_lo, s1
	v_add_nc_u32_e32 v28, 1, v53
	v_add_nc_u32_e32 v29, 1, v54
	s_waitcnt lgkmcnt(0)
	v_cmp_lt_i64_e64 s1, v[26:27], v[24:25]
	s_delay_alu instid0(VALU_DEP_3) | instskip(NEXT) | instid1(VALU_DEP_3)
	v_cndmask_b32_e64 v55, v28, v53, s0
	v_cndmask_b32_e64 v56, v54, v29, s0
                                        ; implicit-def: $vgpr28_vgpr29
	s_delay_alu instid0(VALU_DEP_2) | instskip(NEXT) | instid1(VALU_DEP_2)
	v_cmp_lt_i32_e64 s2, 63, v55
	v_cmp_gt_i32_e64 s3, 0x80, v56
	s_delay_alu instid0(VALU_DEP_2)
	s_or_b32 s1, s2, s1
	s_delay_alu instid0(VALU_DEP_1) | instid1(SALU_CYCLE_1)
	s_and_b32 s1, s3, s1
	s_delay_alu instid0(SALU_CYCLE_1) | instskip(NEXT) | instid1(SALU_CYCLE_1)
	s_xor_b32 s2, s1, -1
	s_and_saveexec_b32 s3, s2
	s_delay_alu instid0(SALU_CYCLE_1)
	s_xor_b32 s2, exec_lo, s3
	s_cbranch_execz .LBB165_166
; %bb.165:
	v_lshl_add_u32 v28, v55, 3, v51
	ds_load_b64 v[28:29], v28 offset:8
.LBB165_166:
	s_or_saveexec_b32 s2, s2
	v_dual_mov_b32 v31, v27 :: v_dual_mov_b32 v30, v26
	s_xor_b32 exec_lo, exec_lo, s2
	s_cbranch_execz .LBB165_168
; %bb.167:
	s_waitcnt lgkmcnt(0)
	v_lshl_add_u32 v28, v56, 3, v51
	ds_load_b64 v[30:31], v28 offset:8
	v_dual_mov_b32 v29, v25 :: v_dual_mov_b32 v28, v24
.LBB165_168:
	s_or_b32 exec_lo, exec_lo, s2
	v_add_nc_u32_e32 v32, 1, v55
	v_add_nc_u32_e32 v33, 1, v56
	s_waitcnt lgkmcnt(0)
	v_cmp_lt_i64_e64 s2, v[30:31], v[28:29]
	s_delay_alu instid0(VALU_DEP_3) | instskip(NEXT) | instid1(VALU_DEP_3)
	v_cndmask_b32_e64 v57, v32, v55, s1
	v_cndmask_b32_e64 v58, v56, v33, s1
                                        ; implicit-def: $vgpr32_vgpr33
	s_delay_alu instid0(VALU_DEP_2) | instskip(NEXT) | instid1(VALU_DEP_2)
	v_cmp_lt_i32_e64 s3, 63, v57
	v_cmp_gt_i32_e64 s4, 0x80, v58
	s_delay_alu instid0(VALU_DEP_2)
	s_or_b32 s2, s3, s2
	s_delay_alu instid0(VALU_DEP_1) | instid1(SALU_CYCLE_1)
	s_and_b32 s2, s4, s2
	s_delay_alu instid0(SALU_CYCLE_1) | instskip(NEXT) | instid1(SALU_CYCLE_1)
	s_xor_b32 s3, s2, -1
	s_and_saveexec_b32 s4, s3
	s_delay_alu instid0(SALU_CYCLE_1)
	s_xor_b32 s3, exec_lo, s4
	s_cbranch_execz .LBB165_170
; %bb.169:
	v_lshl_add_u32 v32, v57, 3, v51
	ds_load_b64 v[32:33], v32 offset:8
.LBB165_170:
	s_or_saveexec_b32 s3, s3
	v_dual_mov_b32 v35, v31 :: v_dual_mov_b32 v34, v30
	s_xor_b32 exec_lo, exec_lo, s3
	s_cbranch_execz .LBB165_172
; %bb.171:
	s_waitcnt lgkmcnt(0)
	v_lshl_add_u32 v32, v58, 3, v51
	ds_load_b64 v[34:35], v32 offset:8
	v_dual_mov_b32 v33, v29 :: v_dual_mov_b32 v32, v28
.LBB165_172:
	s_or_b32 exec_lo, exec_lo, s3
	v_add_nc_u32_e32 v36, 1, v57
	v_add_nc_u32_e32 v37, 1, v58
	s_waitcnt lgkmcnt(0)
	v_cmp_lt_i64_e64 s3, v[34:35], v[32:33]
                                        ; implicit-def: $vgpr38_vgpr39
	s_delay_alu instid0(VALU_DEP_3) | instskip(NEXT) | instid1(VALU_DEP_3)
	v_cndmask_b32_e64 v59, v36, v57, s2
	v_cndmask_b32_e64 v60, v58, v37, s2
	s_delay_alu instid0(VALU_DEP_2) | instskip(NEXT) | instid1(VALU_DEP_2)
	v_cmp_lt_i32_e64 s4, 63, v59
	v_cmp_gt_i32_e64 s5, 0x80, v60
	s_delay_alu instid0(VALU_DEP_2)
	s_or_b32 s3, s4, s3
	s_delay_alu instid0(VALU_DEP_1) | instid1(SALU_CYCLE_1)
	s_and_b32 s3, s5, s3
	s_delay_alu instid0(SALU_CYCLE_1) | instskip(NEXT) | instid1(SALU_CYCLE_1)
	s_xor_b32 s4, s3, -1
	s_and_saveexec_b32 s5, s4
	s_delay_alu instid0(SALU_CYCLE_1)
	s_xor_b32 s4, exec_lo, s5
	s_cbranch_execz .LBB165_174
; %bb.173:
	v_lshl_add_u32 v36, v59, 3, v51
	ds_load_b64 v[38:39], v36 offset:8
.LBB165_174:
	s_or_saveexec_b32 s4, s4
	v_dual_mov_b32 v45, v35 :: v_dual_mov_b32 v44, v34
	s_xor_b32 exec_lo, exec_lo, s4
	s_cbranch_execz .LBB165_176
; %bb.175:
	v_lshl_add_u32 v36, v60, 3, v51
	s_waitcnt lgkmcnt(0)
	v_dual_mov_b32 v39, v33 :: v_dual_mov_b32 v38, v32
	ds_load_b64 v[44:45], v36 offset:8
.LBB165_176:
	s_or_b32 exec_lo, exec_lo, s4
	v_add_nc_u32_e32 v36, 1, v59
	v_add_nc_u32_e32 v37, 1, v60
	s_waitcnt lgkmcnt(0)
	v_cmp_lt_i64_e64 s4, v[44:45], v[38:39]
                                        ; implicit-def: $vgpr46_vgpr47
	s_delay_alu instid0(VALU_DEP_3) | instskip(NEXT) | instid1(VALU_DEP_3)
	v_cndmask_b32_e64 v63, v36, v59, s3
	v_cndmask_b32_e64 v64, v60, v37, s3
	s_delay_alu instid0(VALU_DEP_2) | instskip(NEXT) | instid1(VALU_DEP_2)
	v_cmp_lt_i32_e64 s5, 63, v63
	v_cmp_gt_i32_e64 s6, 0x80, v64
	s_delay_alu instid0(VALU_DEP_2)
	s_or_b32 s4, s5, s4
	s_delay_alu instid0(VALU_DEP_1) | instid1(SALU_CYCLE_1)
	s_and_b32 s4, s6, s4
	s_delay_alu instid0(SALU_CYCLE_1) | instskip(NEXT) | instid1(SALU_CYCLE_1)
	s_xor_b32 s5, s4, -1
	s_and_saveexec_b32 s6, s5
	s_delay_alu instid0(SALU_CYCLE_1)
	s_xor_b32 s5, exec_lo, s6
	s_cbranch_execz .LBB165_178
; %bb.177:
	v_lshl_add_u32 v36, v63, 3, v51
	ds_load_b64 v[46:47], v36 offset:8
.LBB165_178:
	s_or_saveexec_b32 s5, s5
	v_dual_mov_b32 v36, v44 :: v_dual_mov_b32 v37, v45
	s_xor_b32 exec_lo, exec_lo, s5
	s_cbranch_execz .LBB165_180
; %bb.179:
	v_lshl_add_u32 v36, v64, 3, v51
	s_waitcnt lgkmcnt(0)
	v_dual_mov_b32 v47, v39 :: v_dual_mov_b32 v46, v38
	ds_load_b64 v[36:37], v36 offset:8
.LBB165_180:
	s_or_b32 exec_lo, exec_lo, s5
	v_add_nc_u32_e32 v40, 1, v63
	v_add_nc_u32_e32 v41, 1, v64
	s_waitcnt lgkmcnt(0)
	v_cmp_ge_i64_e64 s5, v[36:37], v[46:47]
                                        ; implicit-def: $vgpr62
	s_delay_alu instid0(VALU_DEP_3) | instskip(NEXT) | instid1(VALU_DEP_3)
	v_cndmask_b32_e64 v66, v40, v63, s4
	v_cndmask_b32_e64 v61, v64, v41, s4
                                        ; implicit-def: $vgpr40_vgpr41
	s_delay_alu instid0(VALU_DEP_2) | instskip(NEXT) | instid1(VALU_DEP_2)
	v_cmp_gt_i32_e64 s6, 64, v66
	v_cmp_lt_i32_e64 s7, 0x7f, v61
	s_delay_alu instid0(VALU_DEP_2)
	s_and_b32 s5, s6, s5
	s_delay_alu instid0(VALU_DEP_1) | instid1(SALU_CYCLE_1)
	s_or_b32 s5, s7, s5
	s_delay_alu instid0(SALU_CYCLE_1) | instskip(NEXT) | instid1(SALU_CYCLE_1)
	s_and_saveexec_b32 s6, s5
	s_xor_b32 s5, exec_lo, s6
	s_cbranch_execz .LBB165_182
; %bb.181:
	v_lshl_add_u32 v40, v66, 3, v51
	v_add_nc_u32_e32 v62, 1, v66
	ds_load_b64 v[40:41], v40 offset:8
.LBB165_182:
	s_or_saveexec_b32 s5, s5
	v_dual_mov_b32 v42, v46 :: v_dual_mov_b32 v43, v47
	v_mov_b32_e32 v65, v66
	s_xor_b32 exec_lo, exec_lo, s5
	s_cbranch_execz .LBB165_184
; %bb.183:
	s_waitcnt lgkmcnt(0)
	v_lshl_add_u32 v40, v61, 3, v51
	v_dual_mov_b32 v43, v37 :: v_dual_mov_b32 v42, v36
	v_mov_b32_e32 v65, v61
	ds_load_b64 v[67:68], v40 offset:8
	v_add_nc_u32_e32 v40, 1, v61
	s_delay_alu instid0(VALU_DEP_1)
	v_dual_mov_b32 v62, v66 :: v_dual_mov_b32 v61, v40
	v_dual_mov_b32 v40, v46 :: v_dual_mov_b32 v41, v47
	s_waitcnt lgkmcnt(0)
	v_dual_mov_b32 v36, v67 :: v_dual_mov_b32 v37, v68
.LBB165_184:
	s_or_b32 exec_lo, exec_lo, s5
	v_cndmask_b32_e64 v25, v25, v27, s1
	v_cndmask_b32_e64 v24, v24, v26, s1
	;; [unrolled: 1-line block ×4, first 2 shown]
	s_waitcnt lgkmcnt(0)
	v_cmp_lt_i64_e64 s1, v[36:37], v[40:41]
	v_cndmask_b32_e64 v20, v20, v22, s0
	v_cndmask_b32_e64 v26, v53, v54, s0
	v_cmp_lt_i32_e64 s0, 63, v62
	v_dual_cndmask_b32 v17, v17, v19 :: v_dual_cndmask_b32 v16, v16, v18
	v_cndmask_b32_e32 v27, v48, v52, vcc_lo
	v_cmp_gt_i32_e32 vcc_lo, 0x80, v61
	v_cndmask_b32_e64 v22, v57, v58, s2
	s_or_b32 s0, s0, s1
	; wave barrier
	s_delay_alu instid0(SALU_CYCLE_1)
	s_and_b32 vcc_lo, vcc_lo, s0
	ds_store_2addr_b64 v50, v[12:13], v[14:15] offset1:1
	ds_store_2addr_b64 v50, v[8:9], v[10:11] offset0:2 offset1:3
	ds_store_2addr_b64 v50, v[0:1], v[4:5] offset0:4 offset1:5
	;; [unrolled: 1-line block ×3, first 2 shown]
	v_lshl_add_u32 v6, v22, 3, v51
	v_cndmask_b32_e32 v22, v41, v37, vcc_lo
	v_lshl_add_u32 v8, v27, 3, v51
	v_lshl_add_u32 v2, v26, 3, v51
	; wave barrier
	v_lshl_add_u32 v4, v23, 3, v51
	ds_load_b64 v[0:1], v8
	ds_load_b64 v[2:3], v2
	v_cndmask_b32_e64 v19, v59, v60, s3
	v_cndmask_b32_e64 v18, v63, v64, s4
	ds_load_b64 v[4:5], v4
	ds_load_b64 v[6:7], v6
	v_cndmask_b32_e32 v8, v62, v61, vcc_lo
	v_lshl_add_u32 v12, v65, 3, v51
	v_lshl_add_u32 v9, v19, 3, v51
	;; [unrolled: 1-line block ×3, first 2 shown]
	v_cndmask_b32_e32 v18, v40, v36, vcc_lo
	v_lshl_add_u32 v14, v8, 3, v51
	ds_load_b64 v[8:9], v9
	ds_load_b64 v[10:11], v10
	;; [unrolled: 1-line block ×4, first 2 shown]
	v_cndmask_b32_e64 v28, v28, v30, s2
	v_cndmask_b32_e64 v29, v29, v31, s2
	;; [unrolled: 1-line block ×6, first 2 shown]
	s_add_u32 s0, s10, s12
	s_waitcnt lgkmcnt(7)
	v_add_co_u32 v0, vcc_lo, v0, v16
	v_add_co_ci_u32_e32 v1, vcc_lo, v1, v17, vcc_lo
	s_waitcnt lgkmcnt(6)
	v_add_co_u32 v2, vcc_lo, v2, v20
	v_add_co_ci_u32_e32 v3, vcc_lo, v3, v21, vcc_lo
	;; [unrolled: 3-line block ×7, first 2 shown]
	v_lshlrev_b32_e32 v16, 3, v49
	s_waitcnt lgkmcnt(0)
	v_add_co_u32 v14, vcc_lo, v14, v18
	v_add_co_ci_u32_e32 v15, vcc_lo, v15, v22, vcc_lo
	s_addc_u32 s1, s11, s13
	s_clause 0x3
	global_store_b128 v16, v[0:3], s[0:1]
	global_store_b128 v16, v[4:7], s[0:1] offset:16
	global_store_b128 v16, v[8:11], s[0:1] offset:32
	;; [unrolled: 1-line block ×3, first 2 shown]
	s_nop 0
	s_sendmsg sendmsg(MSG_DEALLOC_VGPRS)
	s_endpgm
	.section	.rodata,"a",@progbits
	.p2align	6, 0x0
	.amdhsa_kernel _Z10sort_pairsILj256ELj16ELj8ExN10test_utils4lessEEvPKT2_PS2_T3_
		.amdhsa_group_segment_fixed_size 16512
		.amdhsa_private_segment_fixed_size 0
		.amdhsa_kernarg_size 20
		.amdhsa_user_sgpr_count 15
		.amdhsa_user_sgpr_dispatch_ptr 0
		.amdhsa_user_sgpr_queue_ptr 0
		.amdhsa_user_sgpr_kernarg_segment_ptr 1
		.amdhsa_user_sgpr_dispatch_id 0
		.amdhsa_user_sgpr_private_segment_size 0
		.amdhsa_wavefront_size32 1
		.amdhsa_uses_dynamic_stack 0
		.amdhsa_enable_private_segment 0
		.amdhsa_system_sgpr_workgroup_id_x 1
		.amdhsa_system_sgpr_workgroup_id_y 0
		.amdhsa_system_sgpr_workgroup_id_z 0
		.amdhsa_system_sgpr_workgroup_info 0
		.amdhsa_system_vgpr_workitem_id 0
		.amdhsa_next_free_vgpr 71
		.amdhsa_next_free_sgpr 16
		.amdhsa_reserve_vcc 1
		.amdhsa_float_round_mode_32 0
		.amdhsa_float_round_mode_16_64 0
		.amdhsa_float_denorm_mode_32 3
		.amdhsa_float_denorm_mode_16_64 3
		.amdhsa_dx10_clamp 1
		.amdhsa_ieee_mode 1
		.amdhsa_fp16_overflow 0
		.amdhsa_workgroup_processor_mode 1
		.amdhsa_memory_ordered 1
		.amdhsa_forward_progress 0
		.amdhsa_shared_vgpr_count 0
		.amdhsa_exception_fp_ieee_invalid_op 0
		.amdhsa_exception_fp_denorm_src 0
		.amdhsa_exception_fp_ieee_div_zero 0
		.amdhsa_exception_fp_ieee_overflow 0
		.amdhsa_exception_fp_ieee_underflow 0
		.amdhsa_exception_fp_ieee_inexact 0
		.amdhsa_exception_int_div_zero 0
	.end_amdhsa_kernel
	.section	.text._Z10sort_pairsILj256ELj16ELj8ExN10test_utils4lessEEvPKT2_PS2_T3_,"axG",@progbits,_Z10sort_pairsILj256ELj16ELj8ExN10test_utils4lessEEvPKT2_PS2_T3_,comdat
.Lfunc_end165:
	.size	_Z10sort_pairsILj256ELj16ELj8ExN10test_utils4lessEEvPKT2_PS2_T3_, .Lfunc_end165-_Z10sort_pairsILj256ELj16ELj8ExN10test_utils4lessEEvPKT2_PS2_T3_
                                        ; -- End function
	.section	.AMDGPU.csdata,"",@progbits
; Kernel info:
; codeLenInByte = 9476
; NumSgprs: 18
; NumVgprs: 71
; ScratchSize: 0
; MemoryBound: 1
; FloatMode: 240
; IeeeMode: 1
; LDSByteSize: 16512 bytes/workgroup (compile time only)
; SGPRBlocks: 2
; VGPRBlocks: 8
; NumSGPRsForWavesPerEU: 18
; NumVGPRsForWavesPerEU: 71
; Occupancy: 14
; WaveLimiterHint : 0
; COMPUTE_PGM_RSRC2:SCRATCH_EN: 0
; COMPUTE_PGM_RSRC2:USER_SGPR: 15
; COMPUTE_PGM_RSRC2:TRAP_HANDLER: 0
; COMPUTE_PGM_RSRC2:TGID_X_EN: 1
; COMPUTE_PGM_RSRC2:TGID_Y_EN: 0
; COMPUTE_PGM_RSRC2:TGID_Z_EN: 0
; COMPUTE_PGM_RSRC2:TIDIG_COMP_CNT: 0
	.section	.text._Z19sort_keys_segmentedILj256ELj16ELj8ExN10test_utils4lessEEvPKT2_PS2_PKjT3_,"axG",@progbits,_Z19sort_keys_segmentedILj256ELj16ELj8ExN10test_utils4lessEEvPKT2_PS2_PKjT3_,comdat
	.protected	_Z19sort_keys_segmentedILj256ELj16ELj8ExN10test_utils4lessEEvPKT2_PS2_PKjT3_ ; -- Begin function _Z19sort_keys_segmentedILj256ELj16ELj8ExN10test_utils4lessEEvPKT2_PS2_PKjT3_
	.globl	_Z19sort_keys_segmentedILj256ELj16ELj8ExN10test_utils4lessEEvPKT2_PS2_PKjT3_
	.p2align	8
	.type	_Z19sort_keys_segmentedILj256ELj16ELj8ExN10test_utils4lessEEvPKT2_PS2_PKjT3_,@function
_Z19sort_keys_segmentedILj256ELj16ELj8ExN10test_utils4lessEEvPKT2_PS2_PKjT3_: ; @_Z19sort_keys_segmentedILj256ELj16ELj8ExN10test_utils4lessEEvPKT2_PS2_PKjT3_
; %bb.0:
	s_clause 0x1
	s_load_b64 s[2:3], s[0:1], 0x10
	s_load_b128 s[16:19], s[0:1], 0x0
	v_lshrrev_b32_e32 v24, 4, v0
	v_mov_b32_e32 v1, 0
	s_delay_alu instid0(VALU_DEP_2) | instskip(NEXT) | instid1(VALU_DEP_1)
	v_lshl_or_b32 v0, s15, 4, v24
	v_lshlrev_b64 v[2:3], 2, v[0:1]
	v_lshlrev_b32_e32 v0, 7, v0
	s_waitcnt lgkmcnt(0)
	s_delay_alu instid0(VALU_DEP_2) | instskip(NEXT) | instid1(VALU_DEP_3)
	v_add_co_u32 v2, vcc_lo, s2, v2
	v_add_co_ci_u32_e32 v3, vcc_lo, s3, v3, vcc_lo
	global_load_b32 v35, v[2:3], off
	v_mbcnt_lo_u32_b32 v2, -1, 0
	s_delay_alu instid0(VALU_DEP_1) | instskip(SKIP_1) | instid1(VALU_DEP_2)
	v_lshlrev_b32_e32 v38, 3, v2
	v_lshlrev_b64 v[0:1], 3, v[0:1]
	v_and_b32_e32 v36, 0x78, v38
	s_delay_alu instid0(VALU_DEP_2) | instskip(NEXT) | instid1(VALU_DEP_3)
	v_add_co_u32 v2, vcc_lo, s16, v0
	v_add_co_ci_u32_e32 v3, vcc_lo, s17, v1, vcc_lo
	s_delay_alu instid0(VALU_DEP_3) | instskip(NEXT) | instid1(VALU_DEP_1)
	v_lshlrev_b32_e32 v34, 3, v36
	v_add_co_u32 v4, vcc_lo, v2, v34
	s_delay_alu instid0(VALU_DEP_3)
	v_add_co_ci_u32_e32 v5, vcc_lo, 0, v3, vcc_lo
                                        ; implicit-def: $vgpr2_vgpr3
	s_waitcnt vmcnt(0)
	v_cmp_lt_u32_e32 vcc_lo, v36, v35
	s_and_saveexec_b32 s0, vcc_lo
	s_cbranch_execz .LBB166_2
; %bb.1:
	global_load_b64 v[2:3], v[4:5], off
.LBB166_2:
	s_or_b32 exec_lo, exec_lo, s0
	v_or_b32_e32 v10, 1, v36
                                        ; implicit-def: $vgpr6_vgpr7
	s_delay_alu instid0(VALU_DEP_1) | instskip(NEXT) | instid1(VALU_DEP_1)
	v_cmp_lt_u32_e64 s0, v10, v35
	s_and_saveexec_b32 s1, s0
	s_cbranch_execz .LBB166_4
; %bb.3:
	global_load_b64 v[6:7], v[4:5], off offset:8
.LBB166_4:
	s_or_b32 exec_lo, exec_lo, s1
	v_or_b32_e32 v11, 2, v36
                                        ; implicit-def: $vgpr8_vgpr9
	s_delay_alu instid0(VALU_DEP_1) | instskip(NEXT) | instid1(VALU_DEP_1)
	v_cmp_lt_u32_e64 s1, v11, v35
	s_and_saveexec_b32 s2, s1
	s_cbranch_execz .LBB166_6
; %bb.5:
	global_load_b64 v[8:9], v[4:5], off offset:16
.LBB166_6:
	s_or_b32 exec_lo, exec_lo, s2
	v_or_b32_e32 v14, 3, v36
                                        ; implicit-def: $vgpr12_vgpr13
	s_delay_alu instid0(VALU_DEP_1) | instskip(NEXT) | instid1(VALU_DEP_1)
	v_cmp_lt_u32_e64 s2, v14, v35
	s_and_saveexec_b32 s3, s2
	s_cbranch_execz .LBB166_8
; %bb.7:
	global_load_b64 v[12:13], v[4:5], off offset:24
.LBB166_8:
	s_or_b32 exec_lo, exec_lo, s3
	v_or_b32_e32 v15, 4, v36
                                        ; implicit-def: $vgpr16_vgpr17
	s_delay_alu instid0(VALU_DEP_1) | instskip(NEXT) | instid1(VALU_DEP_1)
	v_cmp_lt_u32_e64 s3, v15, v35
	s_and_saveexec_b32 s4, s3
	s_cbranch_execz .LBB166_10
; %bb.9:
	global_load_b64 v[16:17], v[4:5], off offset:32
.LBB166_10:
	s_or_b32 exec_lo, exec_lo, s4
	v_or_b32_e32 v25, 5, v36
                                        ; implicit-def: $vgpr18_vgpr19
	s_delay_alu instid0(VALU_DEP_1) | instskip(NEXT) | instid1(VALU_DEP_1)
	v_cmp_lt_u32_e64 s4, v25, v35
	s_and_saveexec_b32 s5, s4
	s_cbranch_execz .LBB166_12
; %bb.11:
	global_load_b64 v[18:19], v[4:5], off offset:40
.LBB166_12:
	s_or_b32 exec_lo, exec_lo, s5
	v_or_b32_e32 v26, 6, v36
                                        ; implicit-def: $vgpr20_vgpr21
	s_delay_alu instid0(VALU_DEP_1) | instskip(NEXT) | instid1(VALU_DEP_1)
	v_cmp_lt_u32_e64 s5, v26, v35
	s_and_saveexec_b32 s6, s5
	s_cbranch_execz .LBB166_14
; %bb.13:
	global_load_b64 v[20:21], v[4:5], off offset:48
.LBB166_14:
	s_or_b32 exec_lo, exec_lo, s6
	v_or_b32_e32 v27, 7, v36
                                        ; implicit-def: $vgpr22_vgpr23
	s_delay_alu instid0(VALU_DEP_1) | instskip(NEXT) | instid1(VALU_DEP_1)
	v_cmp_lt_u32_e64 s6, v27, v35
	s_and_saveexec_b32 s7, s6
	s_cbranch_execz .LBB166_16
; %bb.15:
	global_load_b64 v[22:23], v[4:5], off offset:56
.LBB166_16:
	s_or_b32 exec_lo, exec_lo, s7
	v_cmp_lt_i32_e64 s7, v10, v35
	v_cmp_lt_i32_e64 s8, v11, v35
	;; [unrolled: 1-line block ×3, first 2 shown]
	s_mov_b32 s10, exec_lo
	s_waitcnt vmcnt(0)
	v_cndmask_b32_e64 v11, 0x7fffffff, v7, s7
	v_cndmask_b32_e64 v10, -1, v6, s7
	v_cmp_lt_i32_e64 s7, v15, v35
	v_cndmask_b32_e64 v7, 0x7fffffff, v9, s8
	v_cndmask_b32_e64 v6, -1, v8, s8
	v_cndmask_b32_e64 v15, 0x7fffffff, v13, s9
	v_cndmask_b32_e64 v14, -1, v12, s9
	v_cndmask_b32_e64 v9, 0x7fffffff, v17, s7
	v_cmp_lt_i32_e64 s8, v25, v35
	v_cndmask_b32_e64 v8, -1, v16, s7
	v_cmp_lt_i32_e64 s7, v26, v35
	v_cmp_lt_i32_e64 s9, v27, v35
	s_delay_alu instid0(VALU_DEP_4) | instskip(SKIP_1) | instid1(VALU_DEP_4)
	v_cndmask_b32_e64 v17, 0x7fffffff, v19, s8
	v_cndmask_b32_e64 v16, -1, v18, s8
	v_cndmask_b32_e64 v13, 0x7fffffff, v21, s7
	v_cndmask_b32_e64 v12, -1, v20, s7
	;; [unrolled: 2-line block ×3, first 2 shown]
	v_cmpx_lt_i32_e64 v36, v35
	s_cbranch_execz .LBB166_18
; %bb.17:
	v_cmp_gt_i64_e64 s7, v[10:11], v[2:3]
	v_cmp_lt_i64_e64 s8, v[10:11], v[2:3]
	v_cmp_gt_i64_e64 s9, v[14:15], v[6:7]
	s_delay_alu instid0(VALU_DEP_3)
	v_cndmask_b32_e64 v19, v3, v11, s7
	v_cndmask_b32_e64 v18, v2, v10, s7
	v_cmp_lt_i64_e64 s7, v[14:15], v[6:7]
	v_cndmask_b32_e64 v3, v3, v11, s8
	v_cndmask_b32_e64 v2, v2, v10, s8
	v_cmp_gt_i64_e64 s8, v[16:17], v[8:9]
	v_cndmask_b32_e64 v11, v7, v15, s9
	v_cndmask_b32_e64 v10, v6, v14, s9
	;; [unrolled: 1-line block ×3, first 2 shown]
	v_cmp_lt_i64_e64 s9, v[16:17], v[8:9]
	v_cndmask_b32_e64 v6, v6, v14, s7
	v_cmp_gt_i64_e64 s7, v[4:5], v[12:13]
	v_cndmask_b32_e64 v15, v9, v17, s8
	v_cndmask_b32_e64 v14, v8, v16, s8
	v_cmp_lt_i64_e64 s8, v[4:5], v[12:13]
	v_cndmask_b32_e64 v9, v9, v17, s9
	v_cndmask_b32_e64 v8, v8, v16, s9
	;; [unrolled: 1-line block ×4, first 2 shown]
	v_cmp_gt_i64_e64 s7, v[6:7], v[18:19]
	v_cndmask_b32_e64 v5, v13, v5, s8
	v_cmp_lt_i64_e64 s9, v[6:7], v[18:19]
	v_cndmask_b32_e64 v4, v12, v4, s8
	v_cmp_gt_i64_e64 s8, v[8:9], v[10:11]
	v_cndmask_b32_e64 v13, v19, v7, s7
	v_cndmask_b32_e64 v12, v18, v6, s7
	v_cmp_lt_i64_e64 s7, v[8:9], v[10:11]
	v_cndmask_b32_e64 v20, v18, v6, s9
	v_cndmask_b32_e64 v21, v19, v7, s9
	v_cndmask_b32_e64 v19, v11, v9, s8
	v_cndmask_b32_e64 v18, v10, v8, s8
	v_cmp_gt_i64_e64 s8, v[4:5], v[14:15]
	v_cndmask_b32_e64 v9, v11, v9, s7
	v_cmp_lt_i64_e64 s9, v[4:5], v[14:15]
	v_cndmask_b32_e64 v8, v10, v8, s7
	v_cmp_lt_i64_e64 s7, v[6:7], v[2:3]
	v_cndmask_b32_e64 v22, v14, v4, s8
	v_cndmask_b32_e64 v23, v15, v5, s8
	s_delay_alu instid0(VALU_DEP_4)
	v_cmp_gt_i64_e64 s8, v[8:9], v[12:13]
	v_cndmask_b32_e64 v5, v15, v5, s9
	v_cndmask_b32_e64 v4, v14, v4, s9
	;; [unrolled: 1-line block ×6, first 2 shown]
	v_cmp_lt_i64_e64 s7, v[8:9], v[12:13]
	v_cndmask_b32_e64 v11, v13, v9, s8
	v_cndmask_b32_e64 v10, v12, v8, s8
	v_cmp_gt_i64_e64 s8, v[4:5], v[18:19]
	v_cmp_lt_i64_e64 s9, v[4:5], v[18:19]
	v_cndmask_b32_e64 v9, v13, v9, s7
	v_cndmask_b32_e64 v8, v12, v8, s7
	v_cmp_gt_i64_e64 s7, v[14:15], v[16:17]
	v_cndmask_b32_e64 v13, v19, v5, s8
	v_cndmask_b32_e64 v12, v18, v4, s8
	;; [unrolled: 1-line block ×3, first 2 shown]
	v_cmp_gt_i64_e64 s8, v[8:9], v[6:7]
	v_cndmask_b32_e64 v4, v18, v4, s9
	v_cndmask_b32_e64 v15, v17, v23, s7
	;; [unrolled: 1-line block ×5, first 2 shown]
	v_cmp_lt_i64_e64 s7, v[8:9], v[6:7]
	v_cndmask_b32_e64 v19, v7, v9, s8
	v_cmp_gt_i64_e64 s9, v[4:5], v[10:11]
	v_cndmask_b32_e64 v18, v6, v8, s8
	v_cmp_lt_i64_e64 s8, v[4:5], v[10:11]
	v_cndmask_b32_e64 v7, v7, v9, s7
	v_cndmask_b32_e64 v6, v6, v8, s7
	v_cmp_gt_i64_e64 s7, v[16:17], v[12:13]
	v_cndmask_b32_e64 v9, v11, v5, s9
	v_cndmask_b32_e64 v8, v10, v4, s9
	v_cndmask_b32_e64 v5, v11, v5, s8
	v_cndmask_b32_e64 v4, v10, v4, s8
	v_cmp_lt_i64_e64 s8, v[16:17], v[12:13]
	v_cndmask_b32_e64 v11, v13, v17, s7
	v_cmp_gt_i64_e64 s9, v[6:7], v[2:3]
	v_cndmask_b32_e64 v10, v12, v16, s7
	v_cmp_lt_i64_e64 s7, v[6:7], v[2:3]
	v_cndmask_b32_e64 v13, v13, v17, s8
	v_cndmask_b32_e64 v12, v12, v16, s8
	v_cmp_gt_i64_e64 s8, v[4:5], v[18:19]
	v_cndmask_b32_e64 v17, v3, v7, s9
	v_cndmask_b32_e64 v16, v2, v6, s9
	v_cndmask_b32_e64 v7, v3, v7, s7
	v_cndmask_b32_e64 v6, v2, v6, s7
	;; [unrolled: 12-line block ×4, first 2 shown]
	v_cmp_lt_i64_e64 s7, v[8:9], v[2:3]
	v_cndmask_b32_e64 v21, v3, v9, s8
	v_cndmask_b32_e64 v20, v2, v8, s8
	v_cmp_lt_i64_e64 s8, v[10:11], v[18:19]
	v_cmp_gt_i64_e64 s9, v[10:11], v[18:19]
	v_cndmask_b32_e64 v9, v3, v9, s7
	v_cndmask_b32_e64 v8, v2, v8, s7
	v_cmp_lt_i64_e64 s7, v[4:5], v[6:7]
	v_cndmask_b32_e64 v5, v19, v11, s8
	v_cndmask_b32_e64 v4, v18, v10, s8
	v_cmp_lt_i64_e64 s8, v[16:17], v[6:7]
	v_cndmask_b32_e64 v25, v18, v10, s9
	v_cndmask_b32_e64 v26, v19, v11, s9
	;; [unrolled: 1-line block ×3, first 2 shown]
	v_cmp_gt_i64_e64 s9, v[16:17], v[6:7]
	v_cndmask_b32_e64 v11, v17, v7, s7
	v_cmp_gt_i64_e64 s7, v[8:9], v[14:15]
	v_cndmask_b32_e64 v3, v7, v17, s8
	v_cndmask_b32_e64 v2, v6, v16, s8
	v_cmp_lt_i64_e64 s8, v[8:9], v[14:15]
	v_cndmask_b32_e64 v7, v7, v17, s9
	v_cndmask_b32_e64 v6, v6, v16, s9
	;; [unrolled: 1-line block ×4, first 2 shown]
	v_cmp_gt_i64_e64 s7, v[4:5], v[20:21]
	v_cndmask_b32_e64 v9, v15, v9, s8
	v_cmp_lt_i64_e64 s9, v[4:5], v[20:21]
	v_cndmask_b32_e64 v8, v14, v8, s8
	v_cmp_gt_i64_e64 s8, v[18:19], v[12:13]
	v_cndmask_b32_e64 v23, v21, v5, s7
	v_cndmask_b32_e64 v22, v20, v4, s7
	s_delay_alu instid0(VALU_DEP_4)
	v_cmp_gt_i64_e64 s7, v[8:9], v[6:7]
	v_cndmask_b32_e64 v15, v21, v5, s9
	v_cndmask_b32_e64 v14, v20, v4, s9
	v_cmp_lt_i64_e64 s9, v[8:9], v[6:7]
	v_cndmask_b32_e64 v19, v26, v13, s8
	v_cndmask_b32_e64 v18, v25, v12, s8
	;; [unrolled: 1-line block ×4, first 2 shown]
	v_cmp_gt_i64_e64 s7, v[14:15], v[16:17]
	v_cndmask_b32_e64 v5, v13, v26, s8
	v_cndmask_b32_e64 v4, v12, v25, s8
	v_cndmask_b32_e64 v11, v11, v9, s9
	v_cndmask_b32_e64 v10, v10, v8, s9
	v_cmp_lt_i64_e64 s8, v[14:15], v[16:17]
	v_cndmask_b32_e64 v9, v17, v15, s7
	v_cmp_gt_i64_e64 s9, v[18:19], v[22:23]
	v_cndmask_b32_e64 v8, v16, v14, s7
	v_cmp_lt_i64_e64 s7, v[18:19], v[22:23]
	v_cndmask_b32_e64 v15, v17, v15, s8
	v_cndmask_b32_e64 v14, v16, v14, s8
	;; [unrolled: 1-line block ×6, first 2 shown]
.LBB166_18:
	s_or_b32 exec_lo, exec_lo, s10
	v_and_b32_e32 v18, 0x70, v38
	v_and_b32_e32 v20, 8, v38
	v_mad_u32_u24 v39, 0x408, v24, v34
	v_mul_u32_u24_e32 v37, 0x408, v24
	s_delay_alu instid0(VALU_DEP_4)
	v_min_i32_e32 v18, v35, v18
	; wave barrier
	ds_store_2addr_b64 v39, v[2:3], v[10:11] offset1:1
	ds_store_2addr_b64 v39, v[6:7], v[14:15] offset0:2 offset1:3
	s_mov_b32 s9, 0
	s_mov_b32 s8, exec_lo
	v_add_nc_u32_e32 v19, 8, v18
	v_lshlrev_b32_e32 v23, 3, v18
	ds_store_2addr_b64 v39, v[8:9], v[16:17] offset0:4 offset1:5
	ds_store_2addr_b64 v39, v[12:13], v[4:5] offset0:6 offset1:7
	; wave barrier
	v_min_i32_e32 v42, v35, v19
	v_mad_u32_u24 v2, 0x408, v24, v23
	s_delay_alu instid0(VALU_DEP_2) | instskip(SKIP_1) | instid1(VALU_DEP_2)
	v_add_nc_u32_e32 v19, 8, v42
	v_sub_nc_u32_e32 v21, v42, v18
	v_min_i32_e32 v43, v35, v19
	v_min_i32_e32 v19, v35, v20
	s_delay_alu instid0(VALU_DEP_2) | instskip(NEXT) | instid1(VALU_DEP_2)
	v_sub_nc_u32_e32 v20, v43, v42
	v_min_i32_e32 v21, v19, v21
	s_delay_alu instid0(VALU_DEP_2) | instskip(SKIP_1) | instid1(VALU_DEP_1)
	v_sub_nc_u32_e32 v22, v19, v20
	v_cmp_ge_i32_e64 s7, v19, v20
	v_cndmask_b32_e64 v20, 0, v22, s7
	s_delay_alu instid0(VALU_DEP_1)
	v_cmpx_lt_i32_e64 v20, v21
	s_cbranch_execz .LBB166_22
; %bb.19:
	v_lshlrev_b32_e32 v3, 3, v42
	v_lshlrev_b32_e32 v4, 3, v19
	s_delay_alu instid0(VALU_DEP_1)
	v_add3_u32 v3, v37, v3, v4
	.p2align	6
.LBB166_20:                             ; =>This Inner Loop Header: Depth=1
	v_sub_nc_u32_e32 v4, v21, v20
	s_delay_alu instid0(VALU_DEP_1) | instskip(NEXT) | instid1(VALU_DEP_1)
	v_lshrrev_b32_e32 v5, 31, v4
	v_add_nc_u32_e32 v4, v4, v5
	s_delay_alu instid0(VALU_DEP_1) | instskip(NEXT) | instid1(VALU_DEP_1)
	v_ashrrev_i32_e32 v4, 1, v4
	v_add_nc_u32_e32 v8, v4, v20
	s_delay_alu instid0(VALU_DEP_1) | instskip(SKIP_1) | instid1(VALU_DEP_2)
	v_not_b32_e32 v4, v8
	v_lshl_add_u32 v5, v8, 3, v2
	v_lshl_add_u32 v6, v4, 3, v3
	ds_load_b64 v[4:5], v5
	ds_load_b64 v[6:7], v6
	s_waitcnt lgkmcnt(0)
	v_cmp_lt_i64_e64 s7, v[6:7], v[4:5]
	v_add_nc_u32_e32 v4, 1, v8
	s_delay_alu instid0(VALU_DEP_2) | instskip(NEXT) | instid1(VALU_DEP_2)
	v_cndmask_b32_e64 v21, v21, v8, s7
	v_cndmask_b32_e64 v20, v4, v20, s7
	s_delay_alu instid0(VALU_DEP_1) | instskip(NEXT) | instid1(VALU_DEP_1)
	v_cmp_ge_i32_e64 s7, v20, v21
	s_or_b32 s9, s7, s9
	s_delay_alu instid0(SALU_CYCLE_1)
	s_and_not1_b32 exec_lo, exec_lo, s9
	s_cbranch_execnz .LBB166_20
; %bb.21:
	s_or_b32 exec_lo, exec_lo, s9
.LBB166_22:
	s_delay_alu instid0(SALU_CYCLE_1) | instskip(SKIP_3) | instid1(VALU_DEP_3)
	s_or_b32 exec_lo, exec_lo, s8
	v_add_nc_u32_e32 v3, v42, v19
	v_lshl_add_u32 v8, v20, 3, v2
	v_add_nc_u32_e32 v11, v20, v18
                                        ; implicit-def: $vgpr6_vgpr7
	v_sub_nc_u32_e32 v10, v3, v20
	s_delay_alu instid0(VALU_DEP_2) | instskip(NEXT) | instid1(VALU_DEP_2)
	v_cmp_le_i32_e64 s8, v42, v11
	v_lshl_add_u32 v12, v10, 3, v37
	v_cmp_gt_i32_e64 s9, v43, v10
	ds_load_b64 v[2:3], v8
	ds_load_b64 v[4:5], v12
	s_waitcnt lgkmcnt(0)
	v_cmp_lt_i64_e64 s7, v[4:5], v[2:3]
	s_delay_alu instid0(VALU_DEP_1) | instskip(NEXT) | instid1(SALU_CYCLE_1)
	s_or_b32 s7, s8, s7
	s_and_b32 s7, s9, s7
	s_delay_alu instid0(SALU_CYCLE_1) | instskip(NEXT) | instid1(SALU_CYCLE_1)
	s_xor_b32 s8, s7, -1
	s_and_saveexec_b32 s9, s8
	s_delay_alu instid0(SALU_CYCLE_1)
	s_xor_b32 s8, exec_lo, s9
	s_cbranch_execz .LBB166_24
; %bb.23:
	ds_load_b64 v[6:7], v8 offset:8
                                        ; implicit-def: $vgpr12
.LBB166_24:
	s_or_saveexec_b32 s8, s8
	v_dual_mov_b32 v9, v5 :: v_dual_mov_b32 v8, v4
	s_xor_b32 exec_lo, exec_lo, s8
	s_cbranch_execz .LBB166_26
; %bb.25:
	ds_load_b64 v[8:9], v12 offset:8
	s_waitcnt lgkmcnt(1)
	v_dual_mov_b32 v7, v3 :: v_dual_mov_b32 v6, v2
.LBB166_26:
	s_or_b32 exec_lo, exec_lo, s8
	v_add_nc_u32_e32 v12, 1, v11
	v_add_nc_u32_e32 v13, 1, v10
	s_waitcnt lgkmcnt(0)
	v_cmp_lt_i64_e64 s8, v[8:9], v[6:7]
	s_delay_alu instid0(VALU_DEP_3) | instskip(NEXT) | instid1(VALU_DEP_3)
	v_cndmask_b32_e64 v15, v12, v11, s7
	v_cndmask_b32_e64 v14, v10, v13, s7
                                        ; implicit-def: $vgpr10_vgpr11
	s_delay_alu instid0(VALU_DEP_2) | instskip(NEXT) | instid1(VALU_DEP_2)
	v_cmp_ge_i32_e64 s9, v15, v42
	v_cmp_lt_i32_e64 s10, v14, v43
	s_delay_alu instid0(VALU_DEP_2)
	s_or_b32 s8, s9, s8
	s_delay_alu instid0(VALU_DEP_1) | instid1(SALU_CYCLE_1)
	s_and_b32 s8, s10, s8
	s_delay_alu instid0(SALU_CYCLE_1) | instskip(NEXT) | instid1(SALU_CYCLE_1)
	s_xor_b32 s9, s8, -1
	s_and_saveexec_b32 s10, s9
	s_delay_alu instid0(SALU_CYCLE_1)
	s_xor_b32 s9, exec_lo, s10
	s_cbranch_execz .LBB166_28
; %bb.27:
	v_lshl_add_u32 v10, v15, 3, v37
	ds_load_b64 v[10:11], v10 offset:8
.LBB166_28:
	s_or_saveexec_b32 s9, s9
	v_dual_mov_b32 v13, v9 :: v_dual_mov_b32 v12, v8
	s_xor_b32 exec_lo, exec_lo, s9
	s_cbranch_execz .LBB166_30
; %bb.29:
	s_waitcnt lgkmcnt(0)
	v_lshl_add_u32 v10, v14, 3, v37
	ds_load_b64 v[12:13], v10 offset:8
	v_dual_mov_b32 v11, v7 :: v_dual_mov_b32 v10, v6
.LBB166_30:
	s_or_b32 exec_lo, exec_lo, s9
	v_add_nc_u32_e32 v16, 1, v15
	v_add_nc_u32_e32 v17, 1, v14
	s_waitcnt lgkmcnt(0)
	v_cmp_lt_i64_e64 s9, v[12:13], v[10:11]
	s_delay_alu instid0(VALU_DEP_3) | instskip(NEXT) | instid1(VALU_DEP_3)
	v_cndmask_b32_e64 v19, v16, v15, s8
	v_cndmask_b32_e64 v18, v14, v17, s8
                                        ; implicit-def: $vgpr14_vgpr15
	s_delay_alu instid0(VALU_DEP_2) | instskip(NEXT) | instid1(VALU_DEP_2)
	v_cmp_ge_i32_e64 s10, v19, v42
	v_cmp_lt_i32_e64 s11, v18, v43
	s_delay_alu instid0(VALU_DEP_2)
	s_or_b32 s9, s10, s9
	s_delay_alu instid0(VALU_DEP_1) | instid1(SALU_CYCLE_1)
	s_and_b32 s9, s11, s9
	s_delay_alu instid0(SALU_CYCLE_1) | instskip(NEXT) | instid1(SALU_CYCLE_1)
	s_xor_b32 s10, s9, -1
	s_and_saveexec_b32 s11, s10
	s_delay_alu instid0(SALU_CYCLE_1)
	s_xor_b32 s10, exec_lo, s11
	s_cbranch_execz .LBB166_32
; %bb.31:
	v_lshl_add_u32 v14, v19, 3, v37
	ds_load_b64 v[14:15], v14 offset:8
.LBB166_32:
	s_or_saveexec_b32 s10, s10
	v_dual_mov_b32 v17, v13 :: v_dual_mov_b32 v16, v12
	s_xor_b32 exec_lo, exec_lo, s10
	s_cbranch_execz .LBB166_34
; %bb.33:
	s_waitcnt lgkmcnt(0)
	v_lshl_add_u32 v14, v18, 3, v37
	ds_load_b64 v[16:17], v14 offset:8
	v_dual_mov_b32 v15, v11 :: v_dual_mov_b32 v14, v10
.LBB166_34:
	s_or_b32 exec_lo, exec_lo, s10
	v_add_nc_u32_e32 v20, 1, v19
	v_add_nc_u32_e32 v21, 1, v18
	s_waitcnt lgkmcnt(0)
	v_cmp_lt_i64_e64 s10, v[16:17], v[14:15]
	s_delay_alu instid0(VALU_DEP_3) | instskip(NEXT) | instid1(VALU_DEP_3)
	v_cndmask_b32_e64 v23, v20, v19, s9
	v_cndmask_b32_e64 v22, v18, v21, s9
                                        ; implicit-def: $vgpr18_vgpr19
	s_delay_alu instid0(VALU_DEP_2) | instskip(NEXT) | instid1(VALU_DEP_2)
	v_cmp_ge_i32_e64 s11, v23, v42
	v_cmp_lt_i32_e64 s12, v22, v43
	s_delay_alu instid0(VALU_DEP_2)
	s_or_b32 s10, s11, s10
	s_delay_alu instid0(VALU_DEP_1) | instid1(SALU_CYCLE_1)
	s_and_b32 s10, s12, s10
	s_delay_alu instid0(SALU_CYCLE_1) | instskip(NEXT) | instid1(SALU_CYCLE_1)
	s_xor_b32 s11, s10, -1
	s_and_saveexec_b32 s12, s11
	s_delay_alu instid0(SALU_CYCLE_1)
	s_xor_b32 s11, exec_lo, s12
	s_cbranch_execz .LBB166_36
; %bb.35:
	v_lshl_add_u32 v18, v23, 3, v37
	ds_load_b64 v[18:19], v18 offset:8
.LBB166_36:
	s_or_saveexec_b32 s11, s11
	v_dual_mov_b32 v21, v17 :: v_dual_mov_b32 v20, v16
	s_xor_b32 exec_lo, exec_lo, s11
	s_cbranch_execz .LBB166_38
; %bb.37:
	s_waitcnt lgkmcnt(0)
	v_lshl_add_u32 v18, v22, 3, v37
	ds_load_b64 v[20:21], v18 offset:8
	v_dual_mov_b32 v19, v15 :: v_dual_mov_b32 v18, v14
.LBB166_38:
	s_or_b32 exec_lo, exec_lo, s11
	v_add_nc_u32_e32 v24, 1, v23
	v_add_nc_u32_e32 v25, 1, v22
	s_waitcnt lgkmcnt(0)
	v_cmp_lt_i64_e64 s11, v[20:21], v[18:19]
	s_delay_alu instid0(VALU_DEP_3) | instskip(NEXT) | instid1(VALU_DEP_3)
	v_cndmask_b32_e64 v27, v24, v23, s10
	v_cndmask_b32_e64 v26, v22, v25, s10
                                        ; implicit-def: $vgpr22_vgpr23
	s_delay_alu instid0(VALU_DEP_2) | instskip(NEXT) | instid1(VALU_DEP_2)
	v_cmp_ge_i32_e64 s12, v27, v42
	v_cmp_lt_i32_e64 s13, v26, v43
	s_delay_alu instid0(VALU_DEP_2)
	s_or_b32 s11, s12, s11
	s_delay_alu instid0(VALU_DEP_1) | instid1(SALU_CYCLE_1)
	s_and_b32 s11, s13, s11
	s_delay_alu instid0(SALU_CYCLE_1) | instskip(NEXT) | instid1(SALU_CYCLE_1)
	s_xor_b32 s12, s11, -1
	s_and_saveexec_b32 s13, s12
	s_delay_alu instid0(SALU_CYCLE_1)
	s_xor_b32 s12, exec_lo, s13
	s_cbranch_execz .LBB166_40
; %bb.39:
	v_lshl_add_u32 v22, v27, 3, v37
	ds_load_b64 v[22:23], v22 offset:8
.LBB166_40:
	s_or_saveexec_b32 s12, s12
	v_dual_mov_b32 v25, v21 :: v_dual_mov_b32 v24, v20
	s_xor_b32 exec_lo, exec_lo, s12
	s_cbranch_execz .LBB166_42
; %bb.41:
	s_waitcnt lgkmcnt(0)
	v_lshl_add_u32 v22, v26, 3, v37
	ds_load_b64 v[24:25], v22 offset:8
	v_dual_mov_b32 v23, v19 :: v_dual_mov_b32 v22, v18
.LBB166_42:
	s_or_b32 exec_lo, exec_lo, s12
	v_add_nc_u32_e32 v28, 1, v27
	v_add_nc_u32_e32 v30, 1, v26
	s_waitcnt lgkmcnt(0)
	v_cmp_lt_i64_e64 s12, v[24:25], v[22:23]
	s_delay_alu instid0(VALU_DEP_3) | instskip(NEXT) | instid1(VALU_DEP_3)
	v_cndmask_b32_e64 v29, v28, v27, s11
	v_cndmask_b32_e64 v28, v26, v30, s11
                                        ; implicit-def: $vgpr26_vgpr27
	s_delay_alu instid0(VALU_DEP_2) | instskip(NEXT) | instid1(VALU_DEP_2)
	v_cmp_ge_i32_e64 s13, v29, v42
	v_cmp_lt_i32_e64 s14, v28, v43
	s_delay_alu instid0(VALU_DEP_2)
	s_or_b32 s12, s13, s12
	s_delay_alu instid0(VALU_DEP_1) | instid1(SALU_CYCLE_1)
	s_and_b32 s12, s14, s12
	s_delay_alu instid0(SALU_CYCLE_1) | instskip(NEXT) | instid1(SALU_CYCLE_1)
	s_xor_b32 s13, s12, -1
	s_and_saveexec_b32 s14, s13
	s_delay_alu instid0(SALU_CYCLE_1)
	s_xor_b32 s13, exec_lo, s14
	s_cbranch_execz .LBB166_44
; %bb.43:
	v_lshl_add_u32 v26, v29, 3, v37
	ds_load_b64 v[26:27], v26 offset:8
.LBB166_44:
	s_or_saveexec_b32 s13, s13
	v_dual_mov_b32 v31, v25 :: v_dual_mov_b32 v30, v24
	s_xor_b32 exec_lo, exec_lo, s13
	s_cbranch_execz .LBB166_46
; %bb.45:
	s_waitcnt lgkmcnt(0)
	v_lshl_add_u32 v26, v28, 3, v37
	ds_load_b64 v[30:31], v26 offset:8
	v_dual_mov_b32 v27, v23 :: v_dual_mov_b32 v26, v22
.LBB166_46:
	s_or_b32 exec_lo, exec_lo, s13
	v_add_nc_u32_e32 v32, 1, v29
	v_add_nc_u32_e32 v33, 1, v28
	s_waitcnt lgkmcnt(0)
	v_cmp_lt_i64_e64 s13, v[30:31], v[26:27]
	s_delay_alu instid0(VALU_DEP_3) | instskip(NEXT) | instid1(VALU_DEP_3)
	v_cndmask_b32_e64 v41, v32, v29, s12
	v_cndmask_b32_e64 v44, v28, v33, s12
                                        ; implicit-def: $vgpr28_vgpr29
	s_delay_alu instid0(VALU_DEP_2) | instskip(NEXT) | instid1(VALU_DEP_2)
	v_cmp_ge_i32_e64 s14, v41, v42
	v_cmp_lt_i32_e64 s15, v44, v43
	s_delay_alu instid0(VALU_DEP_2)
	s_or_b32 s13, s14, s13
	s_delay_alu instid0(VALU_DEP_1) | instid1(SALU_CYCLE_1)
	s_and_b32 s13, s15, s13
	s_delay_alu instid0(SALU_CYCLE_1) | instskip(NEXT) | instid1(SALU_CYCLE_1)
	s_xor_b32 s14, s13, -1
	s_and_saveexec_b32 s15, s14
	s_delay_alu instid0(SALU_CYCLE_1)
	s_xor_b32 s14, exec_lo, s15
	s_cbranch_execz .LBB166_48
; %bb.47:
	v_lshl_add_u32 v28, v41, 3, v37
	ds_load_b64 v[28:29], v28 offset:8
.LBB166_48:
	s_or_saveexec_b32 s14, s14
	v_dual_mov_b32 v33, v31 :: v_dual_mov_b32 v32, v30
	s_xor_b32 exec_lo, exec_lo, s14
	s_cbranch_execz .LBB166_50
; %bb.49:
	s_waitcnt lgkmcnt(0)
	v_lshl_add_u32 v28, v44, 3, v37
	ds_load_b64 v[32:33], v28 offset:8
	v_dual_mov_b32 v29, v27 :: v_dual_mov_b32 v28, v26
.LBB166_50:
	s_or_b32 exec_lo, exec_lo, s14
	v_and_b32_e32 v40, 0x60, v38
	v_cndmask_b32_e64 v30, v26, v30, s13
	v_cndmask_b32_e64 v19, v19, v21, s11
	v_add_nc_u32_e32 v45, 1, v41
	v_cndmask_b32_e64 v11, v11, v13, s9
	v_min_i32_e32 v26, v35, v40
	v_cndmask_b32_e64 v13, v3, v5, s7
	v_cndmask_b32_e64 v31, v27, v31, s13
	v_add_nc_u32_e32 v27, 1, v44
	v_cndmask_b32_e64 v10, v10, v12, s9
	v_add_nc_u32_e32 v21, 16, v26
	v_cndmask_b32_e64 v12, v2, v4, s7
	v_and_b32_e32 v2, 24, v38
	v_cndmask_b32_e64 v4, v45, v41, s13
	s_waitcnt lgkmcnt(0)
	v_cmp_lt_i64_e64 s7, v[32:33], v[28:29]
	v_min_i32_e32 v40, v35, v21
	v_cndmask_b32_e64 v9, v7, v9, s8
	v_cndmask_b32_e64 v8, v6, v8, s8
	v_min_i32_e32 v2, v35, v2
	v_cmp_ge_i32_e64 s8, v4, v42
	v_add_nc_u32_e32 v3, 16, v40
	v_cndmask_b32_e64 v23, v23, v25, s12
	v_cndmask_b32_e64 v22, v22, v24, s12
	;; [unrolled: 1-line block ×3, first 2 shown]
	s_or_b32 s7, s8, s7
	v_min_i32_e32 v41, v35, v3
	v_cndmask_b32_e64 v3, v44, v27, s13
	v_cndmask_b32_e64 v15, v15, v17, s10
	;; [unrolled: 1-line block ×3, first 2 shown]
	s_delay_alu instid0(VALU_DEP_4) | instskip(NEXT) | instid1(VALU_DEP_4)
	v_sub_nc_u32_e32 v5, v41, v40
	v_cmp_lt_i32_e64 s9, v3, v43
	v_sub_nc_u32_e32 v3, v40, v26
	; wave barrier
	ds_store_2addr_b64 v39, v[12:13], v[8:9] offset1:1
	ds_store_2addr_b64 v39, v[10:11], v[14:15] offset0:2 offset1:3
	v_sub_nc_u32_e32 v6, v2, v5
	v_cmp_ge_i32_e64 s8, v2, v5
	s_and_b32 s7, s9, s7
	v_min_i32_e32 v4, v2, v3
	v_lshl_add_u32 v3, v26, 3, v37
	v_cndmask_b32_e64 v17, v29, v33, s7
	v_cndmask_b32_e64 v6, 0, v6, s8
	;; [unrolled: 1-line block ×3, first 2 shown]
	s_mov_b32 s9, 0
	s_mov_b32 s8, exec_lo
	ds_store_2addr_b64 v39, v[18:19], v[22:23] offset0:4 offset1:5
	ds_store_2addr_b64 v39, v[30:31], v[16:17] offset0:6 offset1:7
	; wave barrier
	v_cmpx_lt_i32_e64 v6, v4
	s_cbranch_execz .LBB166_54
; %bb.51:
	v_lshlrev_b32_e32 v5, 3, v40
	v_lshlrev_b32_e32 v7, 3, v2
	s_delay_alu instid0(VALU_DEP_1)
	v_add3_u32 v5, v37, v5, v7
	.p2align	6
.LBB166_52:                             ; =>This Inner Loop Header: Depth=1
	v_sub_nc_u32_e32 v7, v4, v6
	s_delay_alu instid0(VALU_DEP_1) | instskip(NEXT) | instid1(VALU_DEP_1)
	v_lshrrev_b32_e32 v8, 31, v7
	v_add_nc_u32_e32 v7, v7, v8
	s_delay_alu instid0(VALU_DEP_1) | instskip(NEXT) | instid1(VALU_DEP_1)
	v_ashrrev_i32_e32 v7, 1, v7
	v_add_nc_u32_e32 v11, v7, v6
	s_delay_alu instid0(VALU_DEP_1) | instskip(SKIP_1) | instid1(VALU_DEP_2)
	v_not_b32_e32 v7, v11
	v_lshl_add_u32 v8, v11, 3, v3
	v_lshl_add_u32 v9, v7, 3, v5
	ds_load_b64 v[7:8], v8
	ds_load_b64 v[9:10], v9
	s_waitcnt lgkmcnt(0)
	v_cmp_lt_i64_e64 s7, v[9:10], v[7:8]
	v_add_nc_u32_e32 v7, 1, v11
	s_delay_alu instid0(VALU_DEP_2) | instskip(NEXT) | instid1(VALU_DEP_2)
	v_cndmask_b32_e64 v4, v4, v11, s7
	v_cndmask_b32_e64 v6, v7, v6, s7
	s_delay_alu instid0(VALU_DEP_1) | instskip(NEXT) | instid1(VALU_DEP_1)
	v_cmp_ge_i32_e64 s7, v6, v4
	s_or_b32 s9, s7, s9
	s_delay_alu instid0(SALU_CYCLE_1)
	s_and_not1_b32 exec_lo, exec_lo, s9
	s_cbranch_execnz .LBB166_52
; %bb.53:
	s_or_b32 exec_lo, exec_lo, s9
.LBB166_54:
	s_delay_alu instid0(SALU_CYCLE_1) | instskip(SKIP_3) | instid1(VALU_DEP_3)
	s_or_b32 exec_lo, exec_lo, s8
	v_add_nc_u32_e32 v2, v40, v2
	v_lshl_add_u32 v8, v6, 3, v3
	v_add_nc_u32_e32 v11, v6, v26
	v_sub_nc_u32_e32 v10, v2, v6
                                        ; implicit-def: $vgpr6_vgpr7
	s_delay_alu instid0(VALU_DEP_2) | instskip(NEXT) | instid1(VALU_DEP_2)
	v_cmp_le_i32_e64 s8, v40, v11
	v_lshl_add_u32 v12, v10, 3, v37
	v_cmp_gt_i32_e64 s9, v41, v10
	ds_load_b64 v[2:3], v8
	ds_load_b64 v[4:5], v12
	s_waitcnt lgkmcnt(0)
	v_cmp_lt_i64_e64 s7, v[4:5], v[2:3]
	s_delay_alu instid0(VALU_DEP_1) | instskip(NEXT) | instid1(SALU_CYCLE_1)
	s_or_b32 s7, s8, s7
	s_and_b32 s7, s9, s7
	s_delay_alu instid0(SALU_CYCLE_1) | instskip(NEXT) | instid1(SALU_CYCLE_1)
	s_xor_b32 s8, s7, -1
	s_and_saveexec_b32 s9, s8
	s_delay_alu instid0(SALU_CYCLE_1)
	s_xor_b32 s8, exec_lo, s9
	s_cbranch_execz .LBB166_56
; %bb.55:
	ds_load_b64 v[6:7], v8 offset:8
                                        ; implicit-def: $vgpr12
.LBB166_56:
	s_or_saveexec_b32 s8, s8
	v_dual_mov_b32 v9, v5 :: v_dual_mov_b32 v8, v4
	s_xor_b32 exec_lo, exec_lo, s8
	s_cbranch_execz .LBB166_58
; %bb.57:
	ds_load_b64 v[8:9], v12 offset:8
	s_waitcnt lgkmcnt(1)
	v_dual_mov_b32 v7, v3 :: v_dual_mov_b32 v6, v2
.LBB166_58:
	s_or_b32 exec_lo, exec_lo, s8
	v_add_nc_u32_e32 v12, 1, v11
	v_add_nc_u32_e32 v13, 1, v10
	s_waitcnt lgkmcnt(0)
	v_cmp_lt_i64_e64 s8, v[8:9], v[6:7]
	s_delay_alu instid0(VALU_DEP_3) | instskip(NEXT) | instid1(VALU_DEP_3)
	v_cndmask_b32_e64 v15, v12, v11, s7
	v_cndmask_b32_e64 v14, v10, v13, s7
                                        ; implicit-def: $vgpr10_vgpr11
	s_delay_alu instid0(VALU_DEP_2) | instskip(NEXT) | instid1(VALU_DEP_2)
	v_cmp_ge_i32_e64 s9, v15, v40
	v_cmp_lt_i32_e64 s10, v14, v41
	s_delay_alu instid0(VALU_DEP_2)
	s_or_b32 s8, s9, s8
	s_delay_alu instid0(VALU_DEP_1) | instid1(SALU_CYCLE_1)
	s_and_b32 s8, s10, s8
	s_delay_alu instid0(SALU_CYCLE_1) | instskip(NEXT) | instid1(SALU_CYCLE_1)
	s_xor_b32 s9, s8, -1
	s_and_saveexec_b32 s10, s9
	s_delay_alu instid0(SALU_CYCLE_1)
	s_xor_b32 s9, exec_lo, s10
	s_cbranch_execz .LBB166_60
; %bb.59:
	v_lshl_add_u32 v10, v15, 3, v37
	ds_load_b64 v[10:11], v10 offset:8
.LBB166_60:
	s_or_saveexec_b32 s9, s9
	v_dual_mov_b32 v13, v9 :: v_dual_mov_b32 v12, v8
	s_xor_b32 exec_lo, exec_lo, s9
	s_cbranch_execz .LBB166_62
; %bb.61:
	s_waitcnt lgkmcnt(0)
	v_lshl_add_u32 v10, v14, 3, v37
	ds_load_b64 v[12:13], v10 offset:8
	v_dual_mov_b32 v11, v7 :: v_dual_mov_b32 v10, v6
.LBB166_62:
	s_or_b32 exec_lo, exec_lo, s9
	v_add_nc_u32_e32 v16, 1, v15
	v_add_nc_u32_e32 v17, 1, v14
	s_waitcnt lgkmcnt(0)
	v_cmp_lt_i64_e64 s9, v[12:13], v[10:11]
	s_delay_alu instid0(VALU_DEP_3) | instskip(NEXT) | instid1(VALU_DEP_3)
	v_cndmask_b32_e64 v19, v16, v15, s8
	v_cndmask_b32_e64 v18, v14, v17, s8
                                        ; implicit-def: $vgpr14_vgpr15
	s_delay_alu instid0(VALU_DEP_2) | instskip(NEXT) | instid1(VALU_DEP_2)
	v_cmp_ge_i32_e64 s10, v19, v40
	v_cmp_lt_i32_e64 s11, v18, v41
	s_delay_alu instid0(VALU_DEP_2)
	s_or_b32 s9, s10, s9
	s_delay_alu instid0(VALU_DEP_1) | instid1(SALU_CYCLE_1)
	s_and_b32 s9, s11, s9
	s_delay_alu instid0(SALU_CYCLE_1) | instskip(NEXT) | instid1(SALU_CYCLE_1)
	s_xor_b32 s10, s9, -1
	s_and_saveexec_b32 s11, s10
	s_delay_alu instid0(SALU_CYCLE_1)
	s_xor_b32 s10, exec_lo, s11
	s_cbranch_execz .LBB166_64
; %bb.63:
	v_lshl_add_u32 v14, v19, 3, v37
	ds_load_b64 v[14:15], v14 offset:8
.LBB166_64:
	s_or_saveexec_b32 s10, s10
	v_dual_mov_b32 v17, v13 :: v_dual_mov_b32 v16, v12
	s_xor_b32 exec_lo, exec_lo, s10
	s_cbranch_execz .LBB166_66
; %bb.65:
	s_waitcnt lgkmcnt(0)
	v_lshl_add_u32 v14, v18, 3, v37
	ds_load_b64 v[16:17], v14 offset:8
	v_dual_mov_b32 v15, v11 :: v_dual_mov_b32 v14, v10
.LBB166_66:
	s_or_b32 exec_lo, exec_lo, s10
	v_add_nc_u32_e32 v20, 1, v19
	v_add_nc_u32_e32 v21, 1, v18
	s_waitcnt lgkmcnt(0)
	v_cmp_lt_i64_e64 s10, v[16:17], v[14:15]
	s_delay_alu instid0(VALU_DEP_3) | instskip(NEXT) | instid1(VALU_DEP_3)
	v_cndmask_b32_e64 v23, v20, v19, s9
	v_cndmask_b32_e64 v22, v18, v21, s9
                                        ; implicit-def: $vgpr18_vgpr19
	s_delay_alu instid0(VALU_DEP_2) | instskip(NEXT) | instid1(VALU_DEP_2)
	v_cmp_ge_i32_e64 s11, v23, v40
	v_cmp_lt_i32_e64 s12, v22, v41
	s_delay_alu instid0(VALU_DEP_2)
	s_or_b32 s10, s11, s10
	s_delay_alu instid0(VALU_DEP_1) | instid1(SALU_CYCLE_1)
	s_and_b32 s10, s12, s10
	s_delay_alu instid0(SALU_CYCLE_1) | instskip(NEXT) | instid1(SALU_CYCLE_1)
	s_xor_b32 s11, s10, -1
	s_and_saveexec_b32 s12, s11
	s_delay_alu instid0(SALU_CYCLE_1)
	s_xor_b32 s11, exec_lo, s12
	s_cbranch_execz .LBB166_68
; %bb.67:
	v_lshl_add_u32 v18, v23, 3, v37
	ds_load_b64 v[18:19], v18 offset:8
.LBB166_68:
	s_or_saveexec_b32 s11, s11
	v_dual_mov_b32 v21, v17 :: v_dual_mov_b32 v20, v16
	s_xor_b32 exec_lo, exec_lo, s11
	s_cbranch_execz .LBB166_70
; %bb.69:
	s_waitcnt lgkmcnt(0)
	v_lshl_add_u32 v18, v22, 3, v37
	ds_load_b64 v[20:21], v18 offset:8
	v_dual_mov_b32 v19, v15 :: v_dual_mov_b32 v18, v14
.LBB166_70:
	s_or_b32 exec_lo, exec_lo, s11
	v_add_nc_u32_e32 v24, 1, v23
	v_add_nc_u32_e32 v25, 1, v22
	s_waitcnt lgkmcnt(0)
	v_cmp_lt_i64_e64 s11, v[20:21], v[18:19]
	s_delay_alu instid0(VALU_DEP_3) | instskip(NEXT) | instid1(VALU_DEP_3)
	v_cndmask_b32_e64 v27, v24, v23, s10
	v_cndmask_b32_e64 v26, v22, v25, s10
                                        ; implicit-def: $vgpr22_vgpr23
	s_delay_alu instid0(VALU_DEP_2) | instskip(NEXT) | instid1(VALU_DEP_2)
	v_cmp_ge_i32_e64 s12, v27, v40
	v_cmp_lt_i32_e64 s13, v26, v41
	s_delay_alu instid0(VALU_DEP_2)
	s_or_b32 s11, s12, s11
	s_delay_alu instid0(VALU_DEP_1) | instid1(SALU_CYCLE_1)
	s_and_b32 s11, s13, s11
	s_delay_alu instid0(SALU_CYCLE_1) | instskip(NEXT) | instid1(SALU_CYCLE_1)
	s_xor_b32 s12, s11, -1
	s_and_saveexec_b32 s13, s12
	s_delay_alu instid0(SALU_CYCLE_1)
	s_xor_b32 s12, exec_lo, s13
	s_cbranch_execz .LBB166_72
; %bb.71:
	v_lshl_add_u32 v22, v27, 3, v37
	ds_load_b64 v[22:23], v22 offset:8
.LBB166_72:
	s_or_saveexec_b32 s12, s12
	v_dual_mov_b32 v25, v21 :: v_dual_mov_b32 v24, v20
	s_xor_b32 exec_lo, exec_lo, s12
	s_cbranch_execz .LBB166_74
; %bb.73:
	s_waitcnt lgkmcnt(0)
	v_lshl_add_u32 v22, v26, 3, v37
	ds_load_b64 v[24:25], v22 offset:8
	v_dual_mov_b32 v23, v19 :: v_dual_mov_b32 v22, v18
.LBB166_74:
	s_or_b32 exec_lo, exec_lo, s12
	v_add_nc_u32_e32 v28, 1, v27
	v_add_nc_u32_e32 v30, 1, v26
	s_waitcnt lgkmcnt(0)
	v_cmp_lt_i64_e64 s12, v[24:25], v[22:23]
	s_delay_alu instid0(VALU_DEP_3) | instskip(NEXT) | instid1(VALU_DEP_3)
	v_cndmask_b32_e64 v29, v28, v27, s11
	v_cndmask_b32_e64 v28, v26, v30, s11
                                        ; implicit-def: $vgpr26_vgpr27
	s_delay_alu instid0(VALU_DEP_2) | instskip(NEXT) | instid1(VALU_DEP_2)
	v_cmp_ge_i32_e64 s13, v29, v40
	v_cmp_lt_i32_e64 s14, v28, v41
	s_delay_alu instid0(VALU_DEP_2)
	s_or_b32 s12, s13, s12
	s_delay_alu instid0(VALU_DEP_1) | instid1(SALU_CYCLE_1)
	s_and_b32 s12, s14, s12
	s_delay_alu instid0(SALU_CYCLE_1) | instskip(NEXT) | instid1(SALU_CYCLE_1)
	s_xor_b32 s13, s12, -1
	s_and_saveexec_b32 s14, s13
	s_delay_alu instid0(SALU_CYCLE_1)
	s_xor_b32 s13, exec_lo, s14
	s_cbranch_execz .LBB166_76
; %bb.75:
	v_lshl_add_u32 v26, v29, 3, v37
	ds_load_b64 v[26:27], v26 offset:8
.LBB166_76:
	s_or_saveexec_b32 s13, s13
	v_dual_mov_b32 v31, v25 :: v_dual_mov_b32 v30, v24
	s_xor_b32 exec_lo, exec_lo, s13
	s_cbranch_execz .LBB166_78
; %bb.77:
	s_waitcnt lgkmcnt(0)
	v_lshl_add_u32 v26, v28, 3, v37
	ds_load_b64 v[30:31], v26 offset:8
	v_dual_mov_b32 v27, v23 :: v_dual_mov_b32 v26, v22
.LBB166_78:
	s_or_b32 exec_lo, exec_lo, s13
	v_add_nc_u32_e32 v32, 1, v29
	v_add_nc_u32_e32 v33, 1, v28
	s_waitcnt lgkmcnt(0)
	v_cmp_lt_i64_e64 s13, v[30:31], v[26:27]
	s_delay_alu instid0(VALU_DEP_3) | instskip(NEXT) | instid1(VALU_DEP_3)
	v_cndmask_b32_e64 v43, v32, v29, s12
	v_cndmask_b32_e64 v44, v28, v33, s12
                                        ; implicit-def: $vgpr28_vgpr29
	s_delay_alu instid0(VALU_DEP_2) | instskip(NEXT) | instid1(VALU_DEP_2)
	v_cmp_ge_i32_e64 s14, v43, v40
	v_cmp_lt_i32_e64 s15, v44, v41
	s_delay_alu instid0(VALU_DEP_2)
	s_or_b32 s13, s14, s13
	s_delay_alu instid0(VALU_DEP_1) | instid1(SALU_CYCLE_1)
	s_and_b32 s13, s15, s13
	s_delay_alu instid0(SALU_CYCLE_1) | instskip(NEXT) | instid1(SALU_CYCLE_1)
	s_xor_b32 s14, s13, -1
	s_and_saveexec_b32 s15, s14
	s_delay_alu instid0(SALU_CYCLE_1)
	s_xor_b32 s14, exec_lo, s15
	s_cbranch_execz .LBB166_80
; %bb.79:
	v_lshl_add_u32 v28, v43, 3, v37
	ds_load_b64 v[28:29], v28 offset:8
.LBB166_80:
	s_or_saveexec_b32 s14, s14
	v_dual_mov_b32 v33, v31 :: v_dual_mov_b32 v32, v30
	s_xor_b32 exec_lo, exec_lo, s14
	s_cbranch_execz .LBB166_82
; %bb.81:
	s_waitcnt lgkmcnt(0)
	v_lshl_add_u32 v28, v44, 3, v37
	ds_load_b64 v[32:33], v28 offset:8
	v_dual_mov_b32 v29, v27 :: v_dual_mov_b32 v28, v26
.LBB166_82:
	s_or_b32 exec_lo, exec_lo, s14
	v_and_b32_e32 v42, 64, v38
	v_cndmask_b32_e64 v30, v26, v30, s13
	v_cndmask_b32_e64 v19, v19, v21, s11
	v_add_nc_u32_e32 v45, 1, v43
	v_cndmask_b32_e64 v11, v11, v13, s9
	v_min_i32_e32 v26, v35, v42
	v_cndmask_b32_e64 v13, v3, v5, s7
	v_cndmask_b32_e64 v31, v27, v31, s13
	v_add_nc_u32_e32 v27, 1, v44
	v_cndmask_b32_e64 v10, v10, v12, s9
	v_add_nc_u32_e32 v21, 32, v26
	v_cndmask_b32_e64 v12, v2, v4, s7
	v_and_b32_e32 v2, 56, v38
	v_cndmask_b32_e64 v4, v45, v43, s13
	s_waitcnt lgkmcnt(0)
	v_cmp_lt_i64_e64 s7, v[32:33], v[28:29]
	v_min_i32_e32 v42, v35, v21
	v_cndmask_b32_e64 v9, v7, v9, s8
	v_cndmask_b32_e64 v8, v6, v8, s8
	v_min_i32_e32 v2, v35, v2
	v_cmp_ge_i32_e64 s8, v4, v40
	v_add_nc_u32_e32 v3, 32, v42
	v_cndmask_b32_e64 v23, v23, v25, s12
	v_cndmask_b32_e64 v22, v22, v24, s12
	;; [unrolled: 1-line block ×3, first 2 shown]
	s_or_b32 s7, s8, s7
	v_min_i32_e32 v43, v35, v3
	v_cndmask_b32_e64 v3, v44, v27, s13
	v_cndmask_b32_e64 v15, v15, v17, s10
	;; [unrolled: 1-line block ×3, first 2 shown]
	s_delay_alu instid0(VALU_DEP_4) | instskip(NEXT) | instid1(VALU_DEP_4)
	v_sub_nc_u32_e32 v5, v43, v42
	v_cmp_lt_i32_e64 s9, v3, v41
	v_sub_nc_u32_e32 v3, v42, v26
	; wave barrier
	ds_store_2addr_b64 v39, v[12:13], v[8:9] offset1:1
	ds_store_2addr_b64 v39, v[10:11], v[14:15] offset0:2 offset1:3
	v_sub_nc_u32_e32 v6, v2, v5
	v_cmp_ge_i32_e64 s8, v2, v5
	s_and_b32 s7, s9, s7
	v_min_i32_e32 v4, v2, v3
	v_lshl_add_u32 v3, v26, 3, v37
	v_cndmask_b32_e64 v17, v29, v33, s7
	v_cndmask_b32_e64 v6, 0, v6, s8
	;; [unrolled: 1-line block ×3, first 2 shown]
	s_mov_b32 s9, 0
	s_mov_b32 s8, exec_lo
	ds_store_2addr_b64 v39, v[18:19], v[22:23] offset0:4 offset1:5
	ds_store_2addr_b64 v39, v[30:31], v[16:17] offset0:6 offset1:7
	; wave barrier
	v_cmpx_lt_i32_e64 v6, v4
	s_cbranch_execz .LBB166_86
; %bb.83:
	v_lshlrev_b32_e32 v5, 3, v42
	v_lshlrev_b32_e32 v7, 3, v2
	s_delay_alu instid0(VALU_DEP_1)
	v_add3_u32 v5, v37, v5, v7
	.p2align	6
.LBB166_84:                             ; =>This Inner Loop Header: Depth=1
	v_sub_nc_u32_e32 v7, v4, v6
	s_delay_alu instid0(VALU_DEP_1) | instskip(NEXT) | instid1(VALU_DEP_1)
	v_lshrrev_b32_e32 v8, 31, v7
	v_add_nc_u32_e32 v7, v7, v8
	s_delay_alu instid0(VALU_DEP_1) | instskip(NEXT) | instid1(VALU_DEP_1)
	v_ashrrev_i32_e32 v7, 1, v7
	v_add_nc_u32_e32 v11, v7, v6
	s_delay_alu instid0(VALU_DEP_1) | instskip(SKIP_1) | instid1(VALU_DEP_2)
	v_not_b32_e32 v7, v11
	v_lshl_add_u32 v8, v11, 3, v3
	v_lshl_add_u32 v9, v7, 3, v5
	ds_load_b64 v[7:8], v8
	ds_load_b64 v[9:10], v9
	s_waitcnt lgkmcnt(0)
	v_cmp_lt_i64_e64 s7, v[9:10], v[7:8]
	v_add_nc_u32_e32 v7, 1, v11
	s_delay_alu instid0(VALU_DEP_2) | instskip(NEXT) | instid1(VALU_DEP_2)
	v_cndmask_b32_e64 v4, v4, v11, s7
	v_cndmask_b32_e64 v6, v7, v6, s7
	s_delay_alu instid0(VALU_DEP_1) | instskip(NEXT) | instid1(VALU_DEP_1)
	v_cmp_ge_i32_e64 s7, v6, v4
	s_or_b32 s9, s7, s9
	s_delay_alu instid0(SALU_CYCLE_1)
	s_and_not1_b32 exec_lo, exec_lo, s9
	s_cbranch_execnz .LBB166_84
; %bb.85:
	s_or_b32 exec_lo, exec_lo, s9
.LBB166_86:
	s_delay_alu instid0(SALU_CYCLE_1) | instskip(SKIP_3) | instid1(VALU_DEP_3)
	s_or_b32 exec_lo, exec_lo, s8
	v_add_nc_u32_e32 v2, v42, v2
	v_lshl_add_u32 v8, v6, 3, v3
	v_add_nc_u32_e32 v11, v6, v26
	v_sub_nc_u32_e32 v10, v2, v6
                                        ; implicit-def: $vgpr6_vgpr7
	s_delay_alu instid0(VALU_DEP_2) | instskip(NEXT) | instid1(VALU_DEP_2)
	v_cmp_le_i32_e64 s8, v42, v11
	v_lshl_add_u32 v12, v10, 3, v37
	v_cmp_gt_i32_e64 s9, v43, v10
	ds_load_b64 v[2:3], v8
	ds_load_b64 v[4:5], v12
	s_waitcnt lgkmcnt(0)
	v_cmp_lt_i64_e64 s7, v[4:5], v[2:3]
	s_delay_alu instid0(VALU_DEP_1) | instskip(NEXT) | instid1(SALU_CYCLE_1)
	s_or_b32 s7, s8, s7
	s_and_b32 s7, s9, s7
	s_delay_alu instid0(SALU_CYCLE_1) | instskip(NEXT) | instid1(SALU_CYCLE_1)
	s_xor_b32 s8, s7, -1
	s_and_saveexec_b32 s9, s8
	s_delay_alu instid0(SALU_CYCLE_1)
	s_xor_b32 s8, exec_lo, s9
	s_cbranch_execz .LBB166_88
; %bb.87:
	ds_load_b64 v[6:7], v8 offset:8
                                        ; implicit-def: $vgpr12
.LBB166_88:
	s_or_saveexec_b32 s8, s8
	v_dual_mov_b32 v9, v5 :: v_dual_mov_b32 v8, v4
	s_xor_b32 exec_lo, exec_lo, s8
	s_cbranch_execz .LBB166_90
; %bb.89:
	ds_load_b64 v[8:9], v12 offset:8
	s_waitcnt lgkmcnt(1)
	v_dual_mov_b32 v7, v3 :: v_dual_mov_b32 v6, v2
.LBB166_90:
	s_or_b32 exec_lo, exec_lo, s8
	v_add_nc_u32_e32 v12, 1, v11
	v_add_nc_u32_e32 v13, 1, v10
	s_waitcnt lgkmcnt(0)
	v_cmp_lt_i64_e64 s8, v[8:9], v[6:7]
	s_delay_alu instid0(VALU_DEP_3) | instskip(NEXT) | instid1(VALU_DEP_3)
	v_cndmask_b32_e64 v15, v12, v11, s7
	v_cndmask_b32_e64 v14, v10, v13, s7
                                        ; implicit-def: $vgpr10_vgpr11
	s_delay_alu instid0(VALU_DEP_2) | instskip(NEXT) | instid1(VALU_DEP_2)
	v_cmp_ge_i32_e64 s9, v15, v42
	v_cmp_lt_i32_e64 s10, v14, v43
	s_delay_alu instid0(VALU_DEP_2)
	s_or_b32 s8, s9, s8
	s_delay_alu instid0(VALU_DEP_1) | instid1(SALU_CYCLE_1)
	s_and_b32 s8, s10, s8
	s_delay_alu instid0(SALU_CYCLE_1) | instskip(NEXT) | instid1(SALU_CYCLE_1)
	s_xor_b32 s9, s8, -1
	s_and_saveexec_b32 s10, s9
	s_delay_alu instid0(SALU_CYCLE_1)
	s_xor_b32 s9, exec_lo, s10
	s_cbranch_execz .LBB166_92
; %bb.91:
	v_lshl_add_u32 v10, v15, 3, v37
	ds_load_b64 v[10:11], v10 offset:8
.LBB166_92:
	s_or_saveexec_b32 s9, s9
	v_dual_mov_b32 v13, v9 :: v_dual_mov_b32 v12, v8
	s_xor_b32 exec_lo, exec_lo, s9
	s_cbranch_execz .LBB166_94
; %bb.93:
	s_waitcnt lgkmcnt(0)
	v_lshl_add_u32 v10, v14, 3, v37
	ds_load_b64 v[12:13], v10 offset:8
	v_dual_mov_b32 v11, v7 :: v_dual_mov_b32 v10, v6
.LBB166_94:
	s_or_b32 exec_lo, exec_lo, s9
	v_add_nc_u32_e32 v16, 1, v15
	v_add_nc_u32_e32 v17, 1, v14
	s_waitcnt lgkmcnt(0)
	v_cmp_lt_i64_e64 s9, v[12:13], v[10:11]
	s_delay_alu instid0(VALU_DEP_3) | instskip(NEXT) | instid1(VALU_DEP_3)
	v_cndmask_b32_e64 v19, v16, v15, s8
	v_cndmask_b32_e64 v18, v14, v17, s8
                                        ; implicit-def: $vgpr14_vgpr15
	s_delay_alu instid0(VALU_DEP_2) | instskip(NEXT) | instid1(VALU_DEP_2)
	v_cmp_ge_i32_e64 s10, v19, v42
	v_cmp_lt_i32_e64 s11, v18, v43
	s_delay_alu instid0(VALU_DEP_2)
	s_or_b32 s9, s10, s9
	s_delay_alu instid0(VALU_DEP_1) | instid1(SALU_CYCLE_1)
	s_and_b32 s9, s11, s9
	s_delay_alu instid0(SALU_CYCLE_1) | instskip(NEXT) | instid1(SALU_CYCLE_1)
	s_xor_b32 s10, s9, -1
	s_and_saveexec_b32 s11, s10
	s_delay_alu instid0(SALU_CYCLE_1)
	s_xor_b32 s10, exec_lo, s11
	s_cbranch_execz .LBB166_96
; %bb.95:
	v_lshl_add_u32 v14, v19, 3, v37
	ds_load_b64 v[14:15], v14 offset:8
.LBB166_96:
	s_or_saveexec_b32 s10, s10
	v_dual_mov_b32 v17, v13 :: v_dual_mov_b32 v16, v12
	s_xor_b32 exec_lo, exec_lo, s10
	s_cbranch_execz .LBB166_98
; %bb.97:
	s_waitcnt lgkmcnt(0)
	v_lshl_add_u32 v14, v18, 3, v37
	ds_load_b64 v[16:17], v14 offset:8
	v_dual_mov_b32 v15, v11 :: v_dual_mov_b32 v14, v10
.LBB166_98:
	s_or_b32 exec_lo, exec_lo, s10
	v_add_nc_u32_e32 v20, 1, v19
	v_add_nc_u32_e32 v21, 1, v18
	s_waitcnt lgkmcnt(0)
	v_cmp_lt_i64_e64 s10, v[16:17], v[14:15]
	s_delay_alu instid0(VALU_DEP_3) | instskip(NEXT) | instid1(VALU_DEP_3)
	v_cndmask_b32_e64 v23, v20, v19, s9
	v_cndmask_b32_e64 v22, v18, v21, s9
                                        ; implicit-def: $vgpr18_vgpr19
	s_delay_alu instid0(VALU_DEP_2) | instskip(NEXT) | instid1(VALU_DEP_2)
	v_cmp_ge_i32_e64 s11, v23, v42
	v_cmp_lt_i32_e64 s12, v22, v43
	s_delay_alu instid0(VALU_DEP_2)
	s_or_b32 s10, s11, s10
	s_delay_alu instid0(VALU_DEP_1) | instid1(SALU_CYCLE_1)
	s_and_b32 s10, s12, s10
	s_delay_alu instid0(SALU_CYCLE_1) | instskip(NEXT) | instid1(SALU_CYCLE_1)
	s_xor_b32 s11, s10, -1
	s_and_saveexec_b32 s12, s11
	s_delay_alu instid0(SALU_CYCLE_1)
	s_xor_b32 s11, exec_lo, s12
	s_cbranch_execz .LBB166_100
; %bb.99:
	v_lshl_add_u32 v18, v23, 3, v37
	ds_load_b64 v[18:19], v18 offset:8
.LBB166_100:
	s_or_saveexec_b32 s11, s11
	v_dual_mov_b32 v21, v17 :: v_dual_mov_b32 v20, v16
	s_xor_b32 exec_lo, exec_lo, s11
	s_cbranch_execz .LBB166_102
; %bb.101:
	s_waitcnt lgkmcnt(0)
	v_lshl_add_u32 v18, v22, 3, v37
	ds_load_b64 v[20:21], v18 offset:8
	v_dual_mov_b32 v19, v15 :: v_dual_mov_b32 v18, v14
.LBB166_102:
	s_or_b32 exec_lo, exec_lo, s11
	v_add_nc_u32_e32 v24, 1, v23
	v_add_nc_u32_e32 v25, 1, v22
	s_waitcnt lgkmcnt(0)
	v_cmp_lt_i64_e64 s11, v[20:21], v[18:19]
	s_delay_alu instid0(VALU_DEP_3) | instskip(NEXT) | instid1(VALU_DEP_3)
	v_cndmask_b32_e64 v27, v24, v23, s10
	v_cndmask_b32_e64 v26, v22, v25, s10
                                        ; implicit-def: $vgpr22_vgpr23
	s_delay_alu instid0(VALU_DEP_2) | instskip(NEXT) | instid1(VALU_DEP_2)
	v_cmp_ge_i32_e64 s12, v27, v42
	v_cmp_lt_i32_e64 s13, v26, v43
	s_delay_alu instid0(VALU_DEP_2)
	s_or_b32 s11, s12, s11
	s_delay_alu instid0(VALU_DEP_1) | instid1(SALU_CYCLE_1)
	s_and_b32 s11, s13, s11
	s_delay_alu instid0(SALU_CYCLE_1) | instskip(NEXT) | instid1(SALU_CYCLE_1)
	s_xor_b32 s12, s11, -1
	s_and_saveexec_b32 s13, s12
	s_delay_alu instid0(SALU_CYCLE_1)
	s_xor_b32 s12, exec_lo, s13
	s_cbranch_execz .LBB166_104
; %bb.103:
	v_lshl_add_u32 v22, v27, 3, v37
	ds_load_b64 v[22:23], v22 offset:8
.LBB166_104:
	s_or_saveexec_b32 s12, s12
	v_dual_mov_b32 v25, v21 :: v_dual_mov_b32 v24, v20
	s_xor_b32 exec_lo, exec_lo, s12
	s_cbranch_execz .LBB166_106
; %bb.105:
	s_waitcnt lgkmcnt(0)
	v_lshl_add_u32 v22, v26, 3, v37
	ds_load_b64 v[24:25], v22 offset:8
	v_dual_mov_b32 v23, v19 :: v_dual_mov_b32 v22, v18
.LBB166_106:
	s_or_b32 exec_lo, exec_lo, s12
	v_add_nc_u32_e32 v28, 1, v27
	v_add_nc_u32_e32 v29, 1, v26
	s_waitcnt lgkmcnt(0)
	v_cmp_lt_i64_e64 s12, v[24:25], v[22:23]
	s_delay_alu instid0(VALU_DEP_3) | instskip(NEXT) | instid1(VALU_DEP_3)
	v_cndmask_b32_e64 v31, v28, v27, s11
	v_cndmask_b32_e64 v30, v26, v29, s11
                                        ; implicit-def: $vgpr26_vgpr27
	s_delay_alu instid0(VALU_DEP_2) | instskip(NEXT) | instid1(VALU_DEP_2)
	v_cmp_ge_i32_e64 s13, v31, v42
	v_cmp_lt_i32_e64 s14, v30, v43
	s_delay_alu instid0(VALU_DEP_2)
	s_or_b32 s12, s13, s12
	s_delay_alu instid0(VALU_DEP_1) | instid1(SALU_CYCLE_1)
	s_and_b32 s12, s14, s12
	s_delay_alu instid0(SALU_CYCLE_1) | instskip(NEXT) | instid1(SALU_CYCLE_1)
	s_xor_b32 s13, s12, -1
	s_and_saveexec_b32 s14, s13
	s_delay_alu instid0(SALU_CYCLE_1)
	s_xor_b32 s13, exec_lo, s14
	s_cbranch_execz .LBB166_108
; %bb.107:
	v_lshl_add_u32 v26, v31, 3, v37
	ds_load_b64 v[26:27], v26 offset:8
.LBB166_108:
	s_or_saveexec_b32 s13, s13
	v_dual_mov_b32 v29, v25 :: v_dual_mov_b32 v28, v24
	s_xor_b32 exec_lo, exec_lo, s13
	s_cbranch_execz .LBB166_110
; %bb.109:
	s_waitcnt lgkmcnt(0)
	v_lshl_add_u32 v26, v30, 3, v37
	ds_load_b64 v[28:29], v26 offset:8
	v_dual_mov_b32 v27, v23 :: v_dual_mov_b32 v26, v22
.LBB166_110:
	s_or_b32 exec_lo, exec_lo, s13
	v_add_nc_u32_e32 v32, 1, v31
	v_add_nc_u32_e32 v33, 1, v30
	s_waitcnt lgkmcnt(0)
	v_cmp_lt_i64_e64 s13, v[28:29], v[26:27]
	s_delay_alu instid0(VALU_DEP_3) | instskip(NEXT) | instid1(VALU_DEP_3)
	v_cndmask_b32_e64 v38, v32, v31, s12
	v_cndmask_b32_e64 v40, v30, v33, s12
                                        ; implicit-def: $vgpr30_vgpr31
	s_delay_alu instid0(VALU_DEP_2) | instskip(NEXT) | instid1(VALU_DEP_2)
	v_cmp_ge_i32_e64 s14, v38, v42
	v_cmp_lt_i32_e64 s15, v40, v43
	s_delay_alu instid0(VALU_DEP_2)
	s_or_b32 s13, s14, s13
	s_delay_alu instid0(VALU_DEP_1) | instid1(SALU_CYCLE_1)
	s_and_b32 s13, s15, s13
	s_delay_alu instid0(SALU_CYCLE_1) | instskip(NEXT) | instid1(SALU_CYCLE_1)
	s_xor_b32 s14, s13, -1
	s_and_saveexec_b32 s15, s14
	s_delay_alu instid0(SALU_CYCLE_1)
	s_xor_b32 s14, exec_lo, s15
	s_cbranch_execz .LBB166_112
; %bb.111:
	v_lshl_add_u32 v30, v38, 3, v37
	ds_load_b64 v[30:31], v30 offset:8
.LBB166_112:
	s_or_saveexec_b32 s14, s14
	v_dual_mov_b32 v33, v29 :: v_dual_mov_b32 v32, v28
	s_xor_b32 exec_lo, exec_lo, s14
	s_cbranch_execz .LBB166_114
; %bb.113:
	s_waitcnt lgkmcnt(0)
	v_lshl_add_u32 v30, v40, 3, v37
	ds_load_b64 v[32:33], v30 offset:8
	v_dual_mov_b32 v31, v27 :: v_dual_mov_b32 v30, v26
.LBB166_114:
	s_or_b32 exec_lo, exec_lo, s14
	v_min_i32_e32 v41, 0, v35
	v_add_nc_u32_e32 v44, 1, v40
	v_add_nc_u32_e32 v45, 1, v38
	v_cndmask_b32_e64 v27, v27, v29, s13
	v_cndmask_b32_e64 v26, v26, v28, s13
	v_add_nc_u32_e32 v29, 64, v41
	v_cndmask_b32_e64 v28, v40, v44, s13
	v_cndmask_b32_e64 v44, v45, v38, s13
	v_cndmask_b32_e64 v11, v11, v13, s9
	v_cndmask_b32_e64 v9, v7, v9, s8
	v_min_i32_e32 v38, v35, v29
	v_cndmask_b32_e64 v8, v6, v8, s8
	s_waitcnt lgkmcnt(0)
	v_cmp_lt_i64_e64 s8, v[32:33], v[30:31]
	v_cndmask_b32_e64 v10, v10, v12, s9
	v_cmp_ge_i32_e64 s9, v44, v42
	v_add_nc_u32_e32 v13, 64, v38
	v_cndmask_b32_e64 v15, v15, v17, s10
	v_cndmask_b32_e64 v14, v14, v16, s10
	v_cmp_lt_i32_e64 s10, v28, v43
	s_or_b32 s8, s9, s8
	v_min_i32_e32 v40, v35, v13
	v_cndmask_b32_e64 v13, v3, v5, s7
	v_min_i32_e32 v3, v35, v36
	v_cndmask_b32_e64 v12, v2, v4, s7
	s_and_b32 s7, s10, s8
	v_sub_nc_u32_e32 v5, v40, v38
	v_cndmask_b32_e64 v17, v31, v33, s7
	v_sub_nc_u32_e32 v4, v38, v41
	v_cndmask_b32_e64 v16, v30, v32, s7
	v_cndmask_b32_e64 v23, v23, v25, s12
	v_sub_nc_u32_e32 v2, v3, v5
	v_cmp_ge_i32_e64 s7, v3, v5
	v_cndmask_b32_e64 v22, v22, v24, s12
	v_cndmask_b32_e64 v19, v19, v21, s11
	;; [unrolled: 1-line block ×3, first 2 shown]
	v_min_i32_e32 v4, v3, v4
	v_cndmask_b32_e64 v6, 0, v2, s7
	v_lshl_add_u32 v2, v41, 3, v37
	s_mov_b32 s9, 0
	s_mov_b32 s8, exec_lo
	; wave barrier
	ds_store_2addr_b64 v39, v[12:13], v[8:9] offset1:1
	ds_store_2addr_b64 v39, v[10:11], v[14:15] offset0:2 offset1:3
	ds_store_2addr_b64 v39, v[18:19], v[22:23] offset0:4 offset1:5
	;; [unrolled: 1-line block ×3, first 2 shown]
	; wave barrier
	v_cmpx_lt_i32_e64 v6, v4
	s_cbranch_execz .LBB166_118
; %bb.115:
	v_lshlrev_b32_e32 v5, 3, v38
	v_lshlrev_b32_e32 v7, 3, v3
	s_delay_alu instid0(VALU_DEP_1)
	v_add3_u32 v5, v37, v5, v7
	.p2align	6
.LBB166_116:                            ; =>This Inner Loop Header: Depth=1
	v_sub_nc_u32_e32 v7, v4, v6
	s_delay_alu instid0(VALU_DEP_1) | instskip(NEXT) | instid1(VALU_DEP_1)
	v_lshrrev_b32_e32 v8, 31, v7
	v_add_nc_u32_e32 v7, v7, v8
	s_delay_alu instid0(VALU_DEP_1) | instskip(NEXT) | instid1(VALU_DEP_1)
	v_ashrrev_i32_e32 v7, 1, v7
	v_add_nc_u32_e32 v11, v7, v6
	s_delay_alu instid0(VALU_DEP_1) | instskip(SKIP_1) | instid1(VALU_DEP_2)
	v_not_b32_e32 v7, v11
	v_lshl_add_u32 v8, v11, 3, v2
	v_lshl_add_u32 v9, v7, 3, v5
	ds_load_b64 v[7:8], v8
	ds_load_b64 v[9:10], v9
	s_waitcnt lgkmcnt(0)
	v_cmp_lt_i64_e64 s7, v[9:10], v[7:8]
	v_add_nc_u32_e32 v7, 1, v11
	s_delay_alu instid0(VALU_DEP_2) | instskip(NEXT) | instid1(VALU_DEP_2)
	v_cndmask_b32_e64 v4, v4, v11, s7
	v_cndmask_b32_e64 v6, v7, v6, s7
	s_delay_alu instid0(VALU_DEP_1) | instskip(NEXT) | instid1(VALU_DEP_1)
	v_cmp_ge_i32_e64 s7, v6, v4
	s_or_b32 s9, s7, s9
	s_delay_alu instid0(SALU_CYCLE_1)
	s_and_not1_b32 exec_lo, exec_lo, s9
	s_cbranch_execnz .LBB166_116
; %bb.117:
	s_or_b32 exec_lo, exec_lo, s9
.LBB166_118:
	s_delay_alu instid0(SALU_CYCLE_1) | instskip(SKIP_3) | instid1(VALU_DEP_3)
	s_or_b32 exec_lo, exec_lo, s8
	v_add_nc_u32_e32 v3, v38, v3
	v_lshl_add_u32 v8, v6, 3, v2
	v_add_nc_u32_e32 v11, v6, v41
	v_sub_nc_u32_e32 v10, v3, v6
                                        ; implicit-def: $vgpr6_vgpr7
	s_delay_alu instid0(VALU_DEP_2) | instskip(NEXT) | instid1(VALU_DEP_2)
	v_cmp_le_i32_e64 s8, v38, v11
	v_lshl_add_u32 v12, v10, 3, v37
	v_cmp_gt_i32_e64 s9, v40, v10
	ds_load_b64 v[2:3], v8
	ds_load_b64 v[4:5], v12
	s_waitcnt lgkmcnt(0)
	v_cmp_lt_i64_e64 s7, v[4:5], v[2:3]
	s_delay_alu instid0(VALU_DEP_1) | instskip(NEXT) | instid1(SALU_CYCLE_1)
	s_or_b32 s7, s8, s7
	s_and_b32 s7, s9, s7
	s_delay_alu instid0(SALU_CYCLE_1) | instskip(NEXT) | instid1(SALU_CYCLE_1)
	s_xor_b32 s8, s7, -1
	s_and_saveexec_b32 s9, s8
	s_delay_alu instid0(SALU_CYCLE_1)
	s_xor_b32 s8, exec_lo, s9
	s_cbranch_execz .LBB166_120
; %bb.119:
	ds_load_b64 v[6:7], v8 offset:8
                                        ; implicit-def: $vgpr12
.LBB166_120:
	s_or_saveexec_b32 s8, s8
	v_dual_mov_b32 v9, v5 :: v_dual_mov_b32 v8, v4
	s_xor_b32 exec_lo, exec_lo, s8
	s_cbranch_execz .LBB166_122
; %bb.121:
	ds_load_b64 v[8:9], v12 offset:8
	s_waitcnt lgkmcnt(1)
	v_dual_mov_b32 v7, v3 :: v_dual_mov_b32 v6, v2
.LBB166_122:
	s_or_b32 exec_lo, exec_lo, s8
	v_add_nc_u32_e32 v12, 1, v11
	v_add_nc_u32_e32 v13, 1, v10
	s_waitcnt lgkmcnt(0)
	v_cmp_lt_i64_e64 s8, v[8:9], v[6:7]
	s_delay_alu instid0(VALU_DEP_3) | instskip(NEXT) | instid1(VALU_DEP_3)
	v_cndmask_b32_e64 v15, v12, v11, s7
	v_cndmask_b32_e64 v14, v10, v13, s7
                                        ; implicit-def: $vgpr10_vgpr11
	s_delay_alu instid0(VALU_DEP_2) | instskip(NEXT) | instid1(VALU_DEP_2)
	v_cmp_ge_i32_e64 s9, v15, v38
	v_cmp_lt_i32_e64 s10, v14, v40
	s_delay_alu instid0(VALU_DEP_2)
	s_or_b32 s8, s9, s8
	s_delay_alu instid0(VALU_DEP_1) | instid1(SALU_CYCLE_1)
	s_and_b32 s8, s10, s8
	s_delay_alu instid0(SALU_CYCLE_1) | instskip(NEXT) | instid1(SALU_CYCLE_1)
	s_xor_b32 s9, s8, -1
	s_and_saveexec_b32 s10, s9
	s_delay_alu instid0(SALU_CYCLE_1)
	s_xor_b32 s9, exec_lo, s10
	s_cbranch_execz .LBB166_124
; %bb.123:
	v_lshl_add_u32 v10, v15, 3, v37
	ds_load_b64 v[10:11], v10 offset:8
.LBB166_124:
	s_or_saveexec_b32 s9, s9
	v_dual_mov_b32 v13, v9 :: v_dual_mov_b32 v12, v8
	s_xor_b32 exec_lo, exec_lo, s9
	s_cbranch_execz .LBB166_126
; %bb.125:
	s_waitcnt lgkmcnt(0)
	v_lshl_add_u32 v10, v14, 3, v37
	ds_load_b64 v[12:13], v10 offset:8
	v_dual_mov_b32 v11, v7 :: v_dual_mov_b32 v10, v6
.LBB166_126:
	s_or_b32 exec_lo, exec_lo, s9
	v_add_nc_u32_e32 v16, 1, v15
	v_add_nc_u32_e32 v17, 1, v14
	s_waitcnt lgkmcnt(0)
	v_cmp_lt_i64_e64 s9, v[12:13], v[10:11]
	s_delay_alu instid0(VALU_DEP_3) | instskip(NEXT) | instid1(VALU_DEP_3)
	v_cndmask_b32_e64 v19, v16, v15, s8
	v_cndmask_b32_e64 v18, v14, v17, s8
                                        ; implicit-def: $vgpr14_vgpr15
	s_delay_alu instid0(VALU_DEP_2) | instskip(NEXT) | instid1(VALU_DEP_2)
	v_cmp_ge_i32_e64 s10, v19, v38
	v_cmp_lt_i32_e64 s11, v18, v40
	s_delay_alu instid0(VALU_DEP_2)
	s_or_b32 s9, s10, s9
	s_delay_alu instid0(VALU_DEP_1) | instid1(SALU_CYCLE_1)
	s_and_b32 s9, s11, s9
	s_delay_alu instid0(SALU_CYCLE_1) | instskip(NEXT) | instid1(SALU_CYCLE_1)
	s_xor_b32 s10, s9, -1
	s_and_saveexec_b32 s11, s10
	s_delay_alu instid0(SALU_CYCLE_1)
	s_xor_b32 s10, exec_lo, s11
	s_cbranch_execz .LBB166_128
; %bb.127:
	v_lshl_add_u32 v14, v19, 3, v37
	ds_load_b64 v[14:15], v14 offset:8
.LBB166_128:
	s_or_saveexec_b32 s10, s10
	v_dual_mov_b32 v17, v13 :: v_dual_mov_b32 v16, v12
	s_xor_b32 exec_lo, exec_lo, s10
	s_cbranch_execz .LBB166_130
; %bb.129:
	s_waitcnt lgkmcnt(0)
	v_lshl_add_u32 v14, v18, 3, v37
	ds_load_b64 v[16:17], v14 offset:8
	v_dual_mov_b32 v15, v11 :: v_dual_mov_b32 v14, v10
.LBB166_130:
	s_or_b32 exec_lo, exec_lo, s10
	v_add_nc_u32_e32 v20, 1, v19
	v_add_nc_u32_e32 v21, 1, v18
	s_waitcnt lgkmcnt(0)
	v_cmp_lt_i64_e64 s10, v[16:17], v[14:15]
	s_delay_alu instid0(VALU_DEP_3) | instskip(NEXT) | instid1(VALU_DEP_3)
	v_cndmask_b32_e64 v23, v20, v19, s9
	v_cndmask_b32_e64 v22, v18, v21, s9
                                        ; implicit-def: $vgpr18_vgpr19
	s_delay_alu instid0(VALU_DEP_2) | instskip(NEXT) | instid1(VALU_DEP_2)
	v_cmp_ge_i32_e64 s11, v23, v38
	v_cmp_lt_i32_e64 s12, v22, v40
	s_delay_alu instid0(VALU_DEP_2)
	s_or_b32 s10, s11, s10
	s_delay_alu instid0(VALU_DEP_1) | instid1(SALU_CYCLE_1)
	s_and_b32 s10, s12, s10
	s_delay_alu instid0(SALU_CYCLE_1) | instskip(NEXT) | instid1(SALU_CYCLE_1)
	s_xor_b32 s11, s10, -1
	s_and_saveexec_b32 s12, s11
	s_delay_alu instid0(SALU_CYCLE_1)
	s_xor_b32 s11, exec_lo, s12
	s_cbranch_execz .LBB166_132
; %bb.131:
	v_lshl_add_u32 v18, v23, 3, v37
	ds_load_b64 v[18:19], v18 offset:8
.LBB166_132:
	s_or_saveexec_b32 s11, s11
	v_dual_mov_b32 v21, v17 :: v_dual_mov_b32 v20, v16
	s_xor_b32 exec_lo, exec_lo, s11
	s_cbranch_execz .LBB166_134
; %bb.133:
	s_waitcnt lgkmcnt(0)
	v_lshl_add_u32 v18, v22, 3, v37
	ds_load_b64 v[20:21], v18 offset:8
	v_dual_mov_b32 v19, v15 :: v_dual_mov_b32 v18, v14
.LBB166_134:
	s_or_b32 exec_lo, exec_lo, s11
	v_add_nc_u32_e32 v24, 1, v23
	v_add_nc_u32_e32 v25, 1, v22
	s_waitcnt lgkmcnt(0)
	v_cmp_lt_i64_e64 s11, v[20:21], v[18:19]
	s_delay_alu instid0(VALU_DEP_3) | instskip(NEXT) | instid1(VALU_DEP_3)
	v_cndmask_b32_e64 v27, v24, v23, s10
	v_cndmask_b32_e64 v26, v22, v25, s10
                                        ; implicit-def: $vgpr22_vgpr23
	s_delay_alu instid0(VALU_DEP_2) | instskip(NEXT) | instid1(VALU_DEP_2)
	v_cmp_ge_i32_e64 s12, v27, v38
	v_cmp_lt_i32_e64 s13, v26, v40
	s_delay_alu instid0(VALU_DEP_2)
	s_or_b32 s11, s12, s11
	s_delay_alu instid0(VALU_DEP_1) | instid1(SALU_CYCLE_1)
	s_and_b32 s11, s13, s11
	s_delay_alu instid0(SALU_CYCLE_1) | instskip(NEXT) | instid1(SALU_CYCLE_1)
	s_xor_b32 s12, s11, -1
	s_and_saveexec_b32 s13, s12
	s_delay_alu instid0(SALU_CYCLE_1)
	s_xor_b32 s12, exec_lo, s13
	s_cbranch_execz .LBB166_136
; %bb.135:
	v_lshl_add_u32 v22, v27, 3, v37
	ds_load_b64 v[22:23], v22 offset:8
.LBB166_136:
	s_or_saveexec_b32 s12, s12
	v_dual_mov_b32 v25, v21 :: v_dual_mov_b32 v24, v20
	s_xor_b32 exec_lo, exec_lo, s12
	s_cbranch_execz .LBB166_138
; %bb.137:
	s_waitcnt lgkmcnt(0)
	v_lshl_add_u32 v22, v26, 3, v37
	ds_load_b64 v[24:25], v22 offset:8
	v_dual_mov_b32 v23, v19 :: v_dual_mov_b32 v22, v18
.LBB166_138:
	s_or_b32 exec_lo, exec_lo, s12
	v_add_nc_u32_e32 v28, 1, v27
	v_add_nc_u32_e32 v29, 1, v26
	s_waitcnt lgkmcnt(0)
	v_cmp_lt_i64_e64 s12, v[24:25], v[22:23]
	s_delay_alu instid0(VALU_DEP_3) | instskip(NEXT) | instid1(VALU_DEP_3)
	v_cndmask_b32_e64 v31, v28, v27, s11
	v_cndmask_b32_e64 v30, v26, v29, s11
                                        ; implicit-def: $vgpr26_vgpr27
	s_delay_alu instid0(VALU_DEP_2) | instskip(NEXT) | instid1(VALU_DEP_2)
	v_cmp_ge_i32_e64 s13, v31, v38
	v_cmp_lt_i32_e64 s14, v30, v40
	s_delay_alu instid0(VALU_DEP_2)
	s_or_b32 s12, s13, s12
	s_delay_alu instid0(VALU_DEP_1) | instid1(SALU_CYCLE_1)
	s_and_b32 s12, s14, s12
	s_delay_alu instid0(SALU_CYCLE_1) | instskip(NEXT) | instid1(SALU_CYCLE_1)
	s_xor_b32 s13, s12, -1
	s_and_saveexec_b32 s14, s13
	s_delay_alu instid0(SALU_CYCLE_1)
	s_xor_b32 s13, exec_lo, s14
	s_cbranch_execz .LBB166_140
; %bb.139:
	v_lshl_add_u32 v26, v31, 3, v37
	ds_load_b64 v[26:27], v26 offset:8
.LBB166_140:
	s_or_saveexec_b32 s13, s13
	v_dual_mov_b32 v29, v25 :: v_dual_mov_b32 v28, v24
	s_xor_b32 exec_lo, exec_lo, s13
	s_cbranch_execz .LBB166_142
; %bb.141:
	s_waitcnt lgkmcnt(0)
	v_lshl_add_u32 v26, v30, 3, v37
	ds_load_b64 v[28:29], v26 offset:8
	v_dual_mov_b32 v27, v23 :: v_dual_mov_b32 v26, v22
.LBB166_142:
	s_or_b32 exec_lo, exec_lo, s13
	v_add_nc_u32_e32 v32, 1, v31
	v_add_nc_u32_e32 v33, 1, v30
	s_waitcnt lgkmcnt(0)
	v_cmp_lt_i64_e64 s13, v[28:29], v[26:27]
                                        ; implicit-def: $vgpr36
	s_delay_alu instid0(VALU_DEP_3) | instskip(NEXT) | instid1(VALU_DEP_3)
	v_cndmask_b32_e64 v39, v32, v31, s12
	v_cndmask_b32_e64 v35, v30, v33, s12
                                        ; implicit-def: $vgpr30_vgpr31
	s_delay_alu instid0(VALU_DEP_2) | instskip(NEXT) | instid1(VALU_DEP_2)
	v_cmp_ge_i32_e64 s14, v39, v38
	v_cmp_lt_i32_e64 s15, v35, v40
	s_delay_alu instid0(VALU_DEP_2)
	s_or_b32 s13, s14, s13
	s_delay_alu instid0(VALU_DEP_1) | instid1(SALU_CYCLE_1)
	s_and_b32 s13, s15, s13
	s_delay_alu instid0(SALU_CYCLE_1) | instskip(NEXT) | instid1(SALU_CYCLE_1)
	s_xor_b32 s14, s13, -1
	s_and_saveexec_b32 s15, s14
	s_delay_alu instid0(SALU_CYCLE_1)
	s_xor_b32 s14, exec_lo, s15
	s_cbranch_execz .LBB166_144
; %bb.143:
	v_lshl_add_u32 v30, v39, 3, v37
	v_add_nc_u32_e32 v36, 1, v39
                                        ; implicit-def: $vgpr39
                                        ; implicit-def: $vgpr37
	ds_load_b64 v[30:31], v30 offset:8
.LBB166_144:
	s_or_saveexec_b32 s14, s14
	v_dual_mov_b32 v33, v29 :: v_dual_mov_b32 v32, v28
	s_xor_b32 exec_lo, exec_lo, s14
	s_cbranch_execz .LBB166_146
; %bb.145:
	s_waitcnt lgkmcnt(0)
	v_lshl_add_u32 v30, v35, 3, v37
	v_dual_mov_b32 v36, v39 :: v_dual_add_nc_u32 v35, 1, v35
	ds_load_b64 v[32:33], v30 offset:8
	v_dual_mov_b32 v31, v27 :: v_dual_mov_b32 v30, v26
.LBB166_146:
	s_or_b32 exec_lo, exec_lo, s14
	v_add_co_u32 v0, s14, s18, v0
	s_delay_alu instid0(VALU_DEP_1) | instskip(NEXT) | instid1(VALU_DEP_2)
	v_add_co_ci_u32_e64 v1, s14, s19, v1, s14
	v_add_co_u32 v0, s14, v0, v34
	s_delay_alu instid0(VALU_DEP_1)
	v_add_co_ci_u32_e64 v1, s14, 0, v1, s14
	s_and_saveexec_b32 s14, vcc_lo
	s_cbranch_execnz .LBB166_155
; %bb.147:
	s_or_b32 exec_lo, exec_lo, s14
	s_and_saveexec_b32 s7, s0
	s_cbranch_execnz .LBB166_156
.LBB166_148:
	s_or_b32 exec_lo, exec_lo, s7
	s_and_saveexec_b32 s0, s1
	s_cbranch_execnz .LBB166_157
.LBB166_149:
	s_or_b32 exec_lo, exec_lo, s0
	s_and_saveexec_b32 s0, s2
	s_cbranch_execnz .LBB166_158
.LBB166_150:
	s_or_b32 exec_lo, exec_lo, s0
	s_and_saveexec_b32 s0, s3
	s_cbranch_execnz .LBB166_159
.LBB166_151:
	s_or_b32 exec_lo, exec_lo, s0
	s_and_saveexec_b32 s0, s4
	s_cbranch_execnz .LBB166_160
.LBB166_152:
	s_or_b32 exec_lo, exec_lo, s0
	s_and_saveexec_b32 s0, s5
	s_cbranch_execnz .LBB166_161
.LBB166_153:
	s_or_b32 exec_lo, exec_lo, s0
	s_and_saveexec_b32 s0, s6
	s_cbranch_execnz .LBB166_162
.LBB166_154:
	s_nop 0
	s_sendmsg sendmsg(MSG_DEALLOC_VGPRS)
	s_endpgm
.LBB166_155:
	v_cndmask_b32_e64 v3, v3, v5, s7
	v_cndmask_b32_e64 v2, v2, v4, s7
	global_store_b64 v[0:1], v[2:3], off
	s_or_b32 exec_lo, exec_lo, s14
	s_and_saveexec_b32 s7, s0
	s_cbranch_execz .LBB166_148
.LBB166_156:
	v_cndmask_b32_e64 v3, v7, v9, s8
	v_cndmask_b32_e64 v2, v6, v8, s8
	global_store_b64 v[0:1], v[2:3], off offset:8
	s_or_b32 exec_lo, exec_lo, s7
	s_and_saveexec_b32 s0, s1
	s_cbranch_execz .LBB166_149
.LBB166_157:
	v_cndmask_b32_e64 v3, v11, v13, s9
	v_cndmask_b32_e64 v2, v10, v12, s9
	global_store_b64 v[0:1], v[2:3], off offset:16
	s_or_b32 exec_lo, exec_lo, s0
	s_and_saveexec_b32 s0, s2
	s_cbranch_execz .LBB166_150
.LBB166_158:
	v_cndmask_b32_e64 v3, v15, v17, s10
	v_cndmask_b32_e64 v2, v14, v16, s10
	global_store_b64 v[0:1], v[2:3], off offset:24
	s_or_b32 exec_lo, exec_lo, s0
	s_and_saveexec_b32 s0, s3
	s_cbranch_execz .LBB166_151
.LBB166_159:
	v_cndmask_b32_e64 v3, v19, v21, s11
	v_cndmask_b32_e64 v2, v18, v20, s11
	global_store_b64 v[0:1], v[2:3], off offset:32
	s_or_b32 exec_lo, exec_lo, s0
	s_and_saveexec_b32 s0, s4
	s_cbranch_execz .LBB166_152
.LBB166_160:
	v_cndmask_b32_e64 v3, v23, v25, s12
	v_cndmask_b32_e64 v2, v22, v24, s12
	global_store_b64 v[0:1], v[2:3], off offset:40
	s_or_b32 exec_lo, exec_lo, s0
	s_and_saveexec_b32 s0, s5
	s_cbranch_execz .LBB166_153
.LBB166_161:
	v_cndmask_b32_e64 v3, v27, v29, s13
	v_cndmask_b32_e64 v2, v26, v28, s13
	global_store_b64 v[0:1], v[2:3], off offset:48
	s_or_b32 exec_lo, exec_lo, s0
	s_and_saveexec_b32 s0, s6
	s_cbranch_execz .LBB166_154
.LBB166_162:
	s_waitcnt lgkmcnt(0)
	v_cmp_lt_i64_e32 vcc_lo, v[32:33], v[30:31]
	v_cmp_ge_i32_e64 s0, v36, v38
	v_cmp_lt_i32_e64 s1, v35, v40
	s_delay_alu instid0(VALU_DEP_2)
	s_or_b32 s0, s0, vcc_lo
	s_delay_alu instid0(VALU_DEP_1) | instid1(SALU_CYCLE_1)
	s_and_b32 vcc_lo, s1, s0
	v_dual_cndmask_b32 v3, v31, v33 :: v_dual_cndmask_b32 v2, v30, v32
	global_store_b64 v[0:1], v[2:3], off offset:56
	s_nop 0
	s_sendmsg sendmsg(MSG_DEALLOC_VGPRS)
	s_endpgm
	.section	.rodata,"a",@progbits
	.p2align	6, 0x0
	.amdhsa_kernel _Z19sort_keys_segmentedILj256ELj16ELj8ExN10test_utils4lessEEvPKT2_PS2_PKjT3_
		.amdhsa_group_segment_fixed_size 16512
		.amdhsa_private_segment_fixed_size 0
		.amdhsa_kernarg_size 28
		.amdhsa_user_sgpr_count 15
		.amdhsa_user_sgpr_dispatch_ptr 0
		.amdhsa_user_sgpr_queue_ptr 0
		.amdhsa_user_sgpr_kernarg_segment_ptr 1
		.amdhsa_user_sgpr_dispatch_id 0
		.amdhsa_user_sgpr_private_segment_size 0
		.amdhsa_wavefront_size32 1
		.amdhsa_uses_dynamic_stack 0
		.amdhsa_enable_private_segment 0
		.amdhsa_system_sgpr_workgroup_id_x 1
		.amdhsa_system_sgpr_workgroup_id_y 0
		.amdhsa_system_sgpr_workgroup_id_z 0
		.amdhsa_system_sgpr_workgroup_info 0
		.amdhsa_system_vgpr_workitem_id 0
		.amdhsa_next_free_vgpr 46
		.amdhsa_next_free_sgpr 20
		.amdhsa_reserve_vcc 1
		.amdhsa_float_round_mode_32 0
		.amdhsa_float_round_mode_16_64 0
		.amdhsa_float_denorm_mode_32 3
		.amdhsa_float_denorm_mode_16_64 3
		.amdhsa_dx10_clamp 1
		.amdhsa_ieee_mode 1
		.amdhsa_fp16_overflow 0
		.amdhsa_workgroup_processor_mode 1
		.amdhsa_memory_ordered 1
		.amdhsa_forward_progress 0
		.amdhsa_shared_vgpr_count 0
		.amdhsa_exception_fp_ieee_invalid_op 0
		.amdhsa_exception_fp_denorm_src 0
		.amdhsa_exception_fp_ieee_div_zero 0
		.amdhsa_exception_fp_ieee_overflow 0
		.amdhsa_exception_fp_ieee_underflow 0
		.amdhsa_exception_fp_ieee_inexact 0
		.amdhsa_exception_int_div_zero 0
	.end_amdhsa_kernel
	.section	.text._Z19sort_keys_segmentedILj256ELj16ELj8ExN10test_utils4lessEEvPKT2_PS2_PKjT3_,"axG",@progbits,_Z19sort_keys_segmentedILj256ELj16ELj8ExN10test_utils4lessEEvPKT2_PS2_PKjT3_,comdat
.Lfunc_end166:
	.size	_Z19sort_keys_segmentedILj256ELj16ELj8ExN10test_utils4lessEEvPKT2_PS2_PKjT3_, .Lfunc_end166-_Z19sort_keys_segmentedILj256ELj16ELj8ExN10test_utils4lessEEvPKT2_PS2_PKjT3_
                                        ; -- End function
	.section	.AMDGPU.csdata,"",@progbits
; Kernel info:
; codeLenInByte = 8948
; NumSgprs: 22
; NumVgprs: 46
; ScratchSize: 0
; MemoryBound: 0
; FloatMode: 240
; IeeeMode: 1
; LDSByteSize: 16512 bytes/workgroup (compile time only)
; SGPRBlocks: 2
; VGPRBlocks: 5
; NumSGPRsForWavesPerEU: 22
; NumVGPRsForWavesPerEU: 46
; Occupancy: 14
; WaveLimiterHint : 0
; COMPUTE_PGM_RSRC2:SCRATCH_EN: 0
; COMPUTE_PGM_RSRC2:USER_SGPR: 15
; COMPUTE_PGM_RSRC2:TRAP_HANDLER: 0
; COMPUTE_PGM_RSRC2:TGID_X_EN: 1
; COMPUTE_PGM_RSRC2:TGID_Y_EN: 0
; COMPUTE_PGM_RSRC2:TGID_Z_EN: 0
; COMPUTE_PGM_RSRC2:TIDIG_COMP_CNT: 0
	.section	.text._Z20sort_pairs_segmentedILj256ELj16ELj8ExN10test_utils4lessEEvPKT2_PS2_PKjT3_,"axG",@progbits,_Z20sort_pairs_segmentedILj256ELj16ELj8ExN10test_utils4lessEEvPKT2_PS2_PKjT3_,comdat
	.protected	_Z20sort_pairs_segmentedILj256ELj16ELj8ExN10test_utils4lessEEvPKT2_PS2_PKjT3_ ; -- Begin function _Z20sort_pairs_segmentedILj256ELj16ELj8ExN10test_utils4lessEEvPKT2_PS2_PKjT3_
	.globl	_Z20sort_pairs_segmentedILj256ELj16ELj8ExN10test_utils4lessEEvPKT2_PS2_PKjT3_
	.p2align	8
	.type	_Z20sort_pairs_segmentedILj256ELj16ELj8ExN10test_utils4lessEEvPKT2_PS2_PKjT3_,@function
_Z20sort_pairs_segmentedILj256ELj16ELj8ExN10test_utils4lessEEvPKT2_PS2_PKjT3_: ; @_Z20sort_pairs_segmentedILj256ELj16ELj8ExN10test_utils4lessEEvPKT2_PS2_PKjT3_
; %bb.0:
	s_clause 0x1
	s_load_b64 s[2:3], s[0:1], 0x10
	s_load_b128 s[16:19], s[0:1], 0x0
	v_lshrrev_b32_e32 v46, 4, v0
                                        ; implicit-def: $vgpr6_vgpr7
	s_delay_alu instid0(VALU_DEP_1) | instskip(SKIP_1) | instid1(VALU_DEP_1)
	v_lshl_or_b32 v0, s15, 4, v46
	v_mov_b32_e32 v1, 0
	v_lshlrev_b64 v[2:3], 2, v[0:1]
	v_lshlrev_b32_e32 v0, 7, v0
	s_delay_alu instid0(VALU_DEP_1) | instskip(SKIP_1) | instid1(VALU_DEP_3)
	v_lshlrev_b64 v[0:1], 3, v[0:1]
	s_waitcnt lgkmcnt(0)
	v_add_co_u32 v2, vcc_lo, s2, v2
	s_delay_alu instid0(VALU_DEP_4) | instskip(SKIP_2) | instid1(VALU_DEP_1)
	v_add_co_ci_u32_e32 v3, vcc_lo, s3, v3, vcc_lo
	global_load_b32 v51, v[2:3], off
	v_mbcnt_lo_u32_b32 v2, -1, 0
	v_lshlrev_b32_e32 v55, 3, v2
	v_add_co_u32 v2, vcc_lo, s16, v0
	v_add_co_ci_u32_e32 v3, vcc_lo, s17, v1, vcc_lo
	s_delay_alu instid0(VALU_DEP_3) | instskip(NEXT) | instid1(VALU_DEP_1)
	v_and_b32_e32 v52, 0x78, v55
	v_lshlrev_b32_e32 v50, 3, v52
	s_delay_alu instid0(VALU_DEP_1) | instskip(NEXT) | instid1(VALU_DEP_4)
	v_add_co_u32 v2, vcc_lo, v2, v50
	v_add_co_ci_u32_e32 v3, vcc_lo, 0, v3, vcc_lo
	s_waitcnt vmcnt(0)
	v_cmp_lt_u32_e64 s6, v52, v51
	s_delay_alu instid0(VALU_DEP_1)
	s_and_saveexec_b32 s0, s6
	s_cbranch_execz .LBB167_2
; %bb.1:
	global_load_b64 v[6:7], v[2:3], off
.LBB167_2:
	s_or_b32 exec_lo, exec_lo, s0
	v_or_b32_e32 v16, 1, v52
                                        ; implicit-def: $vgpr34_vgpr35
	s_delay_alu instid0(VALU_DEP_1) | instskip(NEXT) | instid1(VALU_DEP_1)
	v_cmp_lt_u32_e64 s5, v16, v51
	s_and_saveexec_b32 s0, s5
	s_cbranch_execz .LBB167_4
; %bb.3:
	global_load_b64 v[34:35], v[2:3], off offset:8
.LBB167_4:
	s_or_b32 exec_lo, exec_lo, s0
	v_or_b32_e32 v20, 2, v52
                                        ; implicit-def: $vgpr22_vgpr23
	s_delay_alu instid0(VALU_DEP_1) | instskip(NEXT) | instid1(VALU_DEP_1)
	v_cmp_lt_u32_e64 s4, v20, v51
	s_and_saveexec_b32 s0, s4
	s_cbranch_execz .LBB167_6
; %bb.5:
	global_load_b64 v[22:23], v[2:3], off offset:16
.LBB167_6:
	s_or_b32 exec_lo, exec_lo, s0
	v_or_b32_e32 v28, 3, v52
                                        ; implicit-def: $vgpr36_vgpr37
	s_delay_alu instid0(VALU_DEP_1) | instskip(NEXT) | instid1(VALU_DEP_1)
	v_cmp_lt_u32_e64 s3, v28, v51
	s_and_saveexec_b32 s0, s3
	s_cbranch_execz .LBB167_8
; %bb.7:
	global_load_b64 v[36:37], v[2:3], off offset:24
.LBB167_8:
	s_or_b32 exec_lo, exec_lo, s0
	v_or_b32_e32 v29, 4, v52
                                        ; implicit-def: $vgpr24_vgpr25
	s_delay_alu instid0(VALU_DEP_1) | instskip(NEXT) | instid1(VALU_DEP_1)
	v_cmp_lt_u32_e64 s2, v29, v51
	s_and_saveexec_b32 s0, s2
	s_cbranch_execz .LBB167_10
; %bb.9:
	global_load_b64 v[24:25], v[2:3], off offset:32
.LBB167_10:
	s_or_b32 exec_lo, exec_lo, s0
	v_or_b32_e32 v32, 5, v52
                                        ; implicit-def: $vgpr38_vgpr39
	s_delay_alu instid0(VALU_DEP_1) | instskip(NEXT) | instid1(VALU_DEP_1)
	v_cmp_lt_u32_e64 s1, v32, v51
	s_and_saveexec_b32 s0, s1
	s_cbranch_execz .LBB167_12
; %bb.11:
	global_load_b64 v[38:39], v[2:3], off offset:40
.LBB167_12:
	s_or_b32 exec_lo, exec_lo, s0
	v_or_b32_e32 v42, 6, v52
                                        ; implicit-def: $vgpr26_vgpr27
	s_delay_alu instid0(VALU_DEP_1) | instskip(NEXT) | instid1(VALU_DEP_1)
	v_cmp_lt_u32_e64 s0, v42, v51
	s_and_saveexec_b32 s7, s0
	s_cbranch_execz .LBB167_14
; %bb.13:
	global_load_b64 v[26:27], v[2:3], off offset:48
.LBB167_14:
	s_or_b32 exec_lo, exec_lo, s7
	v_or_b32_e32 v43, 7, v52
                                        ; implicit-def: $vgpr40_vgpr41
	s_delay_alu instid0(VALU_DEP_1)
	v_cmp_lt_u32_e32 vcc_lo, v43, v51
	s_and_saveexec_b32 s7, vcc_lo
	s_cbranch_execz .LBB167_16
; %bb.15:
	global_load_b64 v[40:41], v[2:3], off offset:56
.LBB167_16:
	s_or_b32 exec_lo, exec_lo, s7
	s_waitcnt vmcnt(0)
	v_add_co_u32 v2, s7, v6, 1
	s_delay_alu instid0(VALU_DEP_1) | instskip(SKIP_1) | instid1(VALU_DEP_1)
	v_add_co_ci_u32_e64 v3, s7, 0, v7, s7
	v_add_co_u32 v8, s7, v34, 1
	v_add_co_ci_u32_e64 v9, s7, 0, v35, s7
	v_add_co_u32 v10, s7, v22, 1
	s_delay_alu instid0(VALU_DEP_1) | instskip(SKIP_1) | instid1(VALU_DEP_1)
	v_add_co_ci_u32_e64 v11, s7, 0, v23, s7
	v_add_co_u32 v12, s7, v36, 1
	v_add_co_ci_u32_e64 v13, s7, 0, v37, s7
	;; [unrolled: 5-line block ×3, first 2 shown]
	v_add_co_u32 v4, s7, v26, 1
	s_delay_alu instid0(VALU_DEP_1) | instskip(SKIP_2) | instid1(VALU_DEP_1)
	v_add_co_ci_u32_e64 v5, s7, 0, v27, s7
	v_cmp_lt_i32_e64 s7, v16, v51
	v_add_co_u32 v16, s8, v40, 1
	v_add_co_ci_u32_e64 v17, s8, 0, v41, s8
	v_cmp_lt_i32_e64 s8, v20, v51
	s_delay_alu instid0(VALU_DEP_4)
	v_cndmask_b32_e64 v21, 0x7fffffff, v35, s7
	v_cndmask_b32_e64 v20, -1, v34, s7
	v_cmp_lt_i32_e64 s7, v28, v51
	v_cmp_lt_i32_e64 s9, v43, v51
	v_cndmask_b32_e64 v31, 0x7fffffff, v23, s8
	v_cndmask_b32_e64 v30, -1, v22, s8
	v_cmp_lt_i32_e64 s8, v29, v51
	v_cndmask_b32_e64 v23, 0x7fffffff, v37, s7
	v_cndmask_b32_e64 v22, -1, v36, s7
	v_cmp_lt_i32_e64 s7, v32, v51
	s_delay_alu instid0(VALU_DEP_4) | instskip(SKIP_2) | instid1(VALU_DEP_4)
	v_cndmask_b32_e64 v33, 0x7fffffff, v25, s8
	v_cndmask_b32_e64 v32, -1, v24, s8
	v_cmp_lt_i32_e64 s8, v42, v51
	v_cndmask_b32_e64 v29, 0x7fffffff, v39, s7
	v_cndmask_b32_e64 v28, -1, v38, s7
	s_delay_alu instid0(VALU_DEP_3)
	v_cndmask_b32_e64 v25, 0x7fffffff, v27, s8
	v_cndmask_b32_e64 v24, -1, v26, s8
	v_cndmask_b32_e64 v27, 0x7fffffff, v41, s9
	v_cndmask_b32_e64 v26, -1, v40, s9
	s_mov_b32 s8, exec_lo
	v_cmpx_lt_i32_e64 v52, v51
	s_cbranch_execz .LBB167_74
; %bb.17:
	v_dual_mov_b32 v43, v9 :: v_dual_mov_b32 v42, v8
	s_mov_b32 s9, exec_lo
	v_cmpx_lt_i64_e64 v[20:21], v[6:7]
; %bb.18:
	v_dual_mov_b32 v21, v7 :: v_dual_mov_b32 v20, v6
	v_dual_mov_b32 v6, v34 :: v_dual_mov_b32 v7, v35
	v_dual_mov_b32 v43, v3 :: v_dual_mov_b32 v42, v2
	v_dual_mov_b32 v2, v8 :: v_dual_mov_b32 v3, v9
; %bb.19:
	s_or_b32 exec_lo, exec_lo, s9
	v_dual_mov_b32 v45, v13 :: v_dual_mov_b32 v44, v12
	s_mov_b32 s9, exec_lo
	v_cmpx_lt_i64_e64 v[22:23], v[30:31]
; %bb.20:
	v_dual_mov_b32 v22, v30 :: v_dual_mov_b32 v23, v31
	v_dual_mov_b32 v30, v36 :: v_dual_mov_b32 v31, v37
	v_dual_mov_b32 v45, v11 :: v_dual_mov_b32 v44, v10
	v_dual_mov_b32 v10, v12 :: v_dual_mov_b32 v11, v13
; %bb.21:
	s_or_b32 exec_lo, exec_lo, s9
	;; [unrolled: 10-line block ×4, first 2 shown]
	v_cmp_lt_i64_e64 s7, v[30:31], v[20:21]
	v_dual_mov_b32 v8, v30 :: v_dual_mov_b32 v9, v31
	v_dual_mov_b32 v39, v11 :: v_dual_mov_b32 v38, v10
	s_delay_alu instid0(VALU_DEP_3) | instskip(NEXT) | instid1(SALU_CYCLE_1)
	s_and_saveexec_b32 s9, s7
	s_xor_b32 s7, exec_lo, s9
; %bb.26:
	v_dual_mov_b32 v8, v20 :: v_dual_mov_b32 v9, v21
	v_dual_mov_b32 v20, v30 :: v_dual_mov_b32 v21, v31
	v_dual_mov_b32 v38, v42 :: v_dual_mov_b32 v39, v43
	v_dual_mov_b32 v43, v11 :: v_dual_mov_b32 v42, v10
; %bb.27:
	s_or_b32 exec_lo, exec_lo, s7
	v_dual_mov_b32 v10, v32 :: v_dual_mov_b32 v11, v33
	v_dual_mov_b32 v31, v15 :: v_dual_mov_b32 v30, v14
	s_mov_b32 s9, exec_lo
	v_cmpx_lt_i64_e64 v[32:33], v[22:23]
; %bb.28:
	v_dual_mov_b32 v10, v22 :: v_dual_mov_b32 v11, v23
	v_dual_mov_b32 v22, v32 :: v_dual_mov_b32 v23, v33
	v_dual_mov_b32 v30, v44 :: v_dual_mov_b32 v31, v45
	v_dual_mov_b32 v45, v15 :: v_dual_mov_b32 v44, v14
; %bb.29:
	s_or_b32 exec_lo, exec_lo, s9
	v_dual_mov_b32 v12, v24 :: v_dual_mov_b32 v13, v25
	v_dual_mov_b32 v33, v5 :: v_dual_mov_b32 v32, v4
	s_mov_b32 s9, exec_lo
	v_cmpx_lt_i64_e64 v[24:25], v[28:29]
	;; [unrolled: 11-line block ×23, first 2 shown]
; %bb.72:
	v_dual_mov_b32 v19, v5 :: v_dual_mov_b32 v18, v4
	v_dual_mov_b32 v4, v36 :: v_dual_mov_b32 v5, v37
	;; [unrolled: 1-line block ×4, first 2 shown]
; %bb.73:
	s_or_b32 exec_lo, exec_lo, s9
.LBB167_74:
	s_delay_alu instid0(SALU_CYCLE_1) | instskip(SKIP_4) | instid1(VALU_DEP_4)
	s_or_b32 exec_lo, exec_lo, s8
	v_and_b32_e32 v34, 0x70, v55
	v_and_b32_e32 v36, 8, v55
	v_mad_u32_u24 v54, 0x408, v46, v50
	v_mul_u32_u24_e32 v53, 0x408, v46
	v_min_i32_e32 v34, v51, v34
	; wave barrier
	ds_store_2addr_b64 v54, v[6:7], v[20:21] offset1:1
	ds_store_2addr_b64 v54, v[30:31], v[22:23] offset0:2 offset1:3
	s_mov_b32 s9, 0
	s_mov_b32 s8, exec_lo
	v_add_nc_u32_e32 v35, 8, v34
	v_lshlrev_b32_e32 v39, 3, v34
	ds_store_2addr_b64 v54, v[32:33], v[28:29] offset0:4 offset1:5
	ds_store_2addr_b64 v54, v[24:25], v[26:27] offset0:6 offset1:7
	; wave barrier
	v_min_i32_e32 v58, v51, v35
	v_mad_u32_u24 v6, 0x408, v46, v39
	s_delay_alu instid0(VALU_DEP_2) | instskip(SKIP_1) | instid1(VALU_DEP_2)
	v_add_nc_u32_e32 v35, 8, v58
	v_sub_nc_u32_e32 v37, v58, v34
	v_min_i32_e32 v59, v51, v35
	v_min_i32_e32 v35, v51, v36
	s_delay_alu instid0(VALU_DEP_2) | instskip(NEXT) | instid1(VALU_DEP_2)
	v_sub_nc_u32_e32 v36, v59, v58
	v_min_i32_e32 v37, v35, v37
	s_delay_alu instid0(VALU_DEP_2) | instskip(SKIP_1) | instid1(VALU_DEP_1)
	v_sub_nc_u32_e32 v38, v35, v36
	v_cmp_ge_i32_e64 s7, v35, v36
	v_cndmask_b32_e64 v36, 0, v38, s7
	s_delay_alu instid0(VALU_DEP_1)
	v_cmpx_lt_i32_e64 v36, v37
	s_cbranch_execz .LBB167_78
; %bb.75:
	v_lshlrev_b32_e32 v7, 3, v58
	v_lshlrev_b32_e32 v20, 3, v35
	s_delay_alu instid0(VALU_DEP_1)
	v_add3_u32 v7, v53, v7, v20
	.p2align	6
.LBB167_76:                             ; =>This Inner Loop Header: Depth=1
	v_sub_nc_u32_e32 v20, v37, v36
	s_delay_alu instid0(VALU_DEP_1) | instskip(NEXT) | instid1(VALU_DEP_1)
	v_lshrrev_b32_e32 v21, 31, v20
	v_add_nc_u32_e32 v20, v20, v21
	s_delay_alu instid0(VALU_DEP_1) | instskip(NEXT) | instid1(VALU_DEP_1)
	v_ashrrev_i32_e32 v20, 1, v20
	v_add_nc_u32_e32 v24, v20, v36
	s_delay_alu instid0(VALU_DEP_1) | instskip(SKIP_1) | instid1(VALU_DEP_2)
	v_not_b32_e32 v20, v24
	v_lshl_add_u32 v21, v24, 3, v6
	v_lshl_add_u32 v22, v20, 3, v7
	ds_load_b64 v[20:21], v21
	ds_load_b64 v[22:23], v22
	s_waitcnt lgkmcnt(0)
	v_cmp_lt_i64_e64 s7, v[22:23], v[20:21]
	v_add_nc_u32_e32 v20, 1, v24
	s_delay_alu instid0(VALU_DEP_2) | instskip(NEXT) | instid1(VALU_DEP_2)
	v_cndmask_b32_e64 v37, v37, v24, s7
	v_cndmask_b32_e64 v36, v20, v36, s7
	s_delay_alu instid0(VALU_DEP_1) | instskip(NEXT) | instid1(VALU_DEP_1)
	v_cmp_ge_i32_e64 s7, v36, v37
	s_or_b32 s9, s7, s9
	s_delay_alu instid0(SALU_CYCLE_1)
	s_and_not1_b32 exec_lo, exec_lo, s9
	s_cbranch_execnz .LBB167_76
; %bb.77:
	s_or_b32 exec_lo, exec_lo, s9
.LBB167_78:
	s_delay_alu instid0(SALU_CYCLE_1) | instskip(SKIP_3) | instid1(VALU_DEP_3)
	s_or_b32 exec_lo, exec_lo, s8
	v_add_nc_u32_e32 v7, v58, v35
	v_lshl_add_u32 v24, v36, 3, v6
	v_add_nc_u32_e32 v57, v36, v34
	v_sub_nc_u32_e32 v56, v7, v36
                                        ; implicit-def: $vgpr6_vgpr7
	s_delay_alu instid0(VALU_DEP_2) | instskip(NEXT) | instid1(VALU_DEP_2)
	v_cmp_le_i32_e64 s8, v58, v57
	v_lshl_add_u32 v26, v56, 3, v53
	v_cmp_gt_i32_e64 s9, v59, v56
	ds_load_b64 v[20:21], v24
	ds_load_b64 v[22:23], v26
	s_waitcnt lgkmcnt(0)
	v_cmp_lt_i64_e64 s7, v[22:23], v[20:21]
	s_delay_alu instid0(VALU_DEP_1) | instskip(NEXT) | instid1(SALU_CYCLE_1)
	s_or_b32 s7, s8, s7
	s_and_b32 s7, s9, s7
	s_delay_alu instid0(SALU_CYCLE_1) | instskip(NEXT) | instid1(SALU_CYCLE_1)
	s_xor_b32 s8, s7, -1
	s_and_saveexec_b32 s9, s8
	s_delay_alu instid0(SALU_CYCLE_1)
	s_xor_b32 s8, exec_lo, s9
	s_cbranch_execz .LBB167_80
; %bb.79:
	ds_load_b64 v[6:7], v24 offset:8
                                        ; implicit-def: $vgpr26
.LBB167_80:
	s_or_saveexec_b32 s8, s8
	v_dual_mov_b32 v25, v23 :: v_dual_mov_b32 v24, v22
	s_xor_b32 exec_lo, exec_lo, s8
	s_cbranch_execz .LBB167_82
; %bb.81:
	ds_load_b64 v[24:25], v26 offset:8
	s_waitcnt lgkmcnt(1)
	v_dual_mov_b32 v6, v20 :: v_dual_mov_b32 v7, v21
.LBB167_82:
	s_or_b32 exec_lo, exec_lo, s8
	v_add_nc_u32_e32 v26, 1, v57
	v_add_nc_u32_e32 v27, 1, v56
	s_waitcnt lgkmcnt(0)
	v_cmp_lt_i64_e64 s8, v[24:25], v[6:7]
	s_delay_alu instid0(VALU_DEP_3) | instskip(NEXT) | instid1(VALU_DEP_3)
	v_cndmask_b32_e64 v60, v26, v57, s7
	v_cndmask_b32_e64 v61, v56, v27, s7
                                        ; implicit-def: $vgpr26_vgpr27
	s_delay_alu instid0(VALU_DEP_2) | instskip(NEXT) | instid1(VALU_DEP_2)
	v_cmp_ge_i32_e64 s9, v60, v58
	v_cmp_lt_i32_e64 s10, v61, v59
	s_delay_alu instid0(VALU_DEP_2)
	s_or_b32 s8, s9, s8
	s_delay_alu instid0(VALU_DEP_1) | instid1(SALU_CYCLE_1)
	s_and_b32 s8, s10, s8
	s_delay_alu instid0(SALU_CYCLE_1) | instskip(NEXT) | instid1(SALU_CYCLE_1)
	s_xor_b32 s9, s8, -1
	s_and_saveexec_b32 s10, s9
	s_delay_alu instid0(SALU_CYCLE_1)
	s_xor_b32 s9, exec_lo, s10
	s_cbranch_execz .LBB167_84
; %bb.83:
	v_lshl_add_u32 v26, v60, 3, v53
	ds_load_b64 v[26:27], v26 offset:8
.LBB167_84:
	s_or_saveexec_b32 s9, s9
	v_dual_mov_b32 v29, v25 :: v_dual_mov_b32 v28, v24
	s_xor_b32 exec_lo, exec_lo, s9
	s_cbranch_execz .LBB167_86
; %bb.85:
	s_waitcnt lgkmcnt(0)
	v_lshl_add_u32 v26, v61, 3, v53
	ds_load_b64 v[28:29], v26 offset:8
	v_dual_mov_b32 v27, v7 :: v_dual_mov_b32 v26, v6
.LBB167_86:
	s_or_b32 exec_lo, exec_lo, s9
	v_add_nc_u32_e32 v30, 1, v60
	v_add_nc_u32_e32 v31, 1, v61
	s_waitcnt lgkmcnt(0)
	v_cmp_lt_i64_e64 s9, v[28:29], v[26:27]
	s_delay_alu instid0(VALU_DEP_3) | instskip(NEXT) | instid1(VALU_DEP_3)
	v_cndmask_b32_e64 v62, v30, v60, s8
	v_cndmask_b32_e64 v63, v61, v31, s8
                                        ; implicit-def: $vgpr30_vgpr31
	s_delay_alu instid0(VALU_DEP_2) | instskip(NEXT) | instid1(VALU_DEP_2)
	v_cmp_ge_i32_e64 s10, v62, v58
	v_cmp_lt_i32_e64 s11, v63, v59
	s_delay_alu instid0(VALU_DEP_2)
	s_or_b32 s9, s10, s9
	s_delay_alu instid0(VALU_DEP_1) | instid1(SALU_CYCLE_1)
	s_and_b32 s9, s11, s9
	s_delay_alu instid0(SALU_CYCLE_1) | instskip(NEXT) | instid1(SALU_CYCLE_1)
	s_xor_b32 s10, s9, -1
	s_and_saveexec_b32 s11, s10
	s_delay_alu instid0(SALU_CYCLE_1)
	s_xor_b32 s10, exec_lo, s11
	s_cbranch_execz .LBB167_88
; %bb.87:
	v_lshl_add_u32 v30, v62, 3, v53
	ds_load_b64 v[30:31], v30 offset:8
.LBB167_88:
	s_or_saveexec_b32 s10, s10
	v_dual_mov_b32 v33, v29 :: v_dual_mov_b32 v32, v28
	s_xor_b32 exec_lo, exec_lo, s10
	s_cbranch_execz .LBB167_90
; %bb.89:
	s_waitcnt lgkmcnt(0)
	v_lshl_add_u32 v30, v63, 3, v53
	ds_load_b64 v[32:33], v30 offset:8
	v_dual_mov_b32 v31, v27 :: v_dual_mov_b32 v30, v26
.LBB167_90:
	s_or_b32 exec_lo, exec_lo, s10
	v_add_nc_u32_e32 v34, 1, v62
	v_add_nc_u32_e32 v35, 1, v63
	s_waitcnt lgkmcnt(0)
	v_cmp_lt_i64_e64 s10, v[32:33], v[30:31]
                                        ; implicit-def: $vgpr38_vgpr39
	s_delay_alu instid0(VALU_DEP_3) | instskip(NEXT) | instid1(VALU_DEP_3)
	v_cndmask_b32_e64 v64, v34, v62, s9
	v_cndmask_b32_e64 v65, v63, v35, s9
	s_delay_alu instid0(VALU_DEP_2) | instskip(NEXT) | instid1(VALU_DEP_2)
	v_cmp_ge_i32_e64 s11, v64, v58
	v_cmp_lt_i32_e64 s12, v65, v59
	s_delay_alu instid0(VALU_DEP_2)
	s_or_b32 s10, s11, s10
	s_delay_alu instid0(VALU_DEP_1) | instid1(SALU_CYCLE_1)
	s_and_b32 s10, s12, s10
	s_delay_alu instid0(SALU_CYCLE_1) | instskip(NEXT) | instid1(SALU_CYCLE_1)
	s_xor_b32 s11, s10, -1
	s_and_saveexec_b32 s12, s11
	s_delay_alu instid0(SALU_CYCLE_1)
	s_xor_b32 s11, exec_lo, s12
	s_cbranch_execz .LBB167_92
; %bb.91:
	v_lshl_add_u32 v34, v64, 3, v53
	ds_load_b64 v[38:39], v34 offset:8
.LBB167_92:
	s_or_saveexec_b32 s11, s11
	v_dual_mov_b32 v41, v33 :: v_dual_mov_b32 v40, v32
	s_xor_b32 exec_lo, exec_lo, s11
	s_cbranch_execz .LBB167_94
; %bb.93:
	v_lshl_add_u32 v34, v65, 3, v53
	s_waitcnt lgkmcnt(0)
	v_dual_mov_b32 v39, v31 :: v_dual_mov_b32 v38, v30
	ds_load_b64 v[40:41], v34 offset:8
.LBB167_94:
	s_or_b32 exec_lo, exec_lo, s11
	v_add_nc_u32_e32 v34, 1, v64
	v_add_nc_u32_e32 v35, 1, v65
	s_waitcnt lgkmcnt(0)
	v_cmp_lt_i64_e64 s11, v[40:41], v[38:39]
                                        ; implicit-def: $vgpr42_vgpr43
	s_delay_alu instid0(VALU_DEP_3) | instskip(NEXT) | instid1(VALU_DEP_3)
	v_cndmask_b32_e64 v66, v34, v64, s10
	v_cndmask_b32_e64 v67, v65, v35, s10
	s_delay_alu instid0(VALU_DEP_2) | instskip(NEXT) | instid1(VALU_DEP_2)
	v_cmp_ge_i32_e64 s12, v66, v58
	v_cmp_lt_i32_e64 s13, v67, v59
	s_delay_alu instid0(VALU_DEP_2)
	s_or_b32 s11, s12, s11
	s_delay_alu instid0(VALU_DEP_1) | instid1(SALU_CYCLE_1)
	s_and_b32 s11, s13, s11
	s_delay_alu instid0(SALU_CYCLE_1) | instskip(NEXT) | instid1(SALU_CYCLE_1)
	s_xor_b32 s12, s11, -1
	s_and_saveexec_b32 s13, s12
	s_delay_alu instid0(SALU_CYCLE_1)
	s_xor_b32 s12, exec_lo, s13
	s_cbranch_execz .LBB167_96
; %bb.95:
	v_lshl_add_u32 v34, v66, 3, v53
	ds_load_b64 v[42:43], v34 offset:8
.LBB167_96:
	s_or_saveexec_b32 s12, s12
	v_dual_mov_b32 v45, v41 :: v_dual_mov_b32 v44, v40
	s_xor_b32 exec_lo, exec_lo, s12
	s_cbranch_execz .LBB167_98
; %bb.97:
	v_lshl_add_u32 v34, v67, 3, v53
	s_waitcnt lgkmcnt(0)
	v_dual_mov_b32 v43, v39 :: v_dual_mov_b32 v42, v38
	ds_load_b64 v[44:45], v34 offset:8
.LBB167_98:
	s_or_b32 exec_lo, exec_lo, s12
	v_add_nc_u32_e32 v34, 1, v66
	v_add_nc_u32_e32 v35, 1, v67
	s_waitcnt lgkmcnt(0)
	v_cmp_lt_i64_e64 s12, v[44:45], v[42:43]
                                        ; implicit-def: $vgpr46_vgpr47
	s_delay_alu instid0(VALU_DEP_3) | instskip(NEXT) | instid1(VALU_DEP_3)
	v_cndmask_b32_e64 v68, v34, v66, s11
	v_cndmask_b32_e64 v69, v67, v35, s11
	s_delay_alu instid0(VALU_DEP_2) | instskip(NEXT) | instid1(VALU_DEP_2)
	v_cmp_ge_i32_e64 s13, v68, v58
	v_cmp_lt_i32_e64 s14, v69, v59
	s_delay_alu instid0(VALU_DEP_2)
	s_or_b32 s12, s13, s12
	s_delay_alu instid0(VALU_DEP_1) | instid1(SALU_CYCLE_1)
	s_and_b32 s12, s14, s12
	s_delay_alu instid0(SALU_CYCLE_1) | instskip(NEXT) | instid1(SALU_CYCLE_1)
	s_xor_b32 s13, s12, -1
	s_and_saveexec_b32 s14, s13
	s_delay_alu instid0(SALU_CYCLE_1)
	s_xor_b32 s13, exec_lo, s14
	s_cbranch_execz .LBB167_100
; %bb.99:
	v_lshl_add_u32 v34, v68, 3, v53
	ds_load_b64 v[46:47], v34 offset:8
.LBB167_100:
	s_or_saveexec_b32 s13, s13
	v_dual_mov_b32 v49, v45 :: v_dual_mov_b32 v48, v44
	s_xor_b32 exec_lo, exec_lo, s13
	s_cbranch_execz .LBB167_102
; %bb.101:
	v_lshl_add_u32 v34, v69, 3, v53
	s_waitcnt lgkmcnt(0)
	v_dual_mov_b32 v47, v43 :: v_dual_mov_b32 v46, v42
	ds_load_b64 v[48:49], v34 offset:8
.LBB167_102:
	s_or_b32 exec_lo, exec_lo, s13
	v_add_nc_u32_e32 v34, 1, v68
	v_add_nc_u32_e32 v35, 1, v69
	s_waitcnt lgkmcnt(0)
	v_cmp_lt_i64_e64 s13, v[48:49], v[46:47]
	s_delay_alu instid0(VALU_DEP_3) | instskip(NEXT) | instid1(VALU_DEP_3)
	v_cndmask_b32_e64 v70, v34, v68, s12
	v_cndmask_b32_e64 v71, v69, v35, s12
                                        ; implicit-def: $vgpr34_vgpr35
	s_delay_alu instid0(VALU_DEP_2) | instskip(NEXT) | instid1(VALU_DEP_2)
	v_cmp_ge_i32_e64 s14, v70, v58
	v_cmp_lt_i32_e64 s15, v71, v59
	s_delay_alu instid0(VALU_DEP_2)
	s_or_b32 s13, s14, s13
	s_delay_alu instid0(VALU_DEP_1) | instid1(SALU_CYCLE_1)
	s_and_b32 s13, s15, s13
	s_delay_alu instid0(SALU_CYCLE_1) | instskip(NEXT) | instid1(SALU_CYCLE_1)
	s_xor_b32 s14, s13, -1
	s_and_saveexec_b32 s15, s14
	s_delay_alu instid0(SALU_CYCLE_1)
	s_xor_b32 s14, exec_lo, s15
	s_cbranch_execz .LBB167_104
; %bb.103:
	v_lshl_add_u32 v34, v70, 3, v53
	ds_load_b64 v[34:35], v34 offset:8
.LBB167_104:
	s_or_saveexec_b32 s14, s14
	v_dual_mov_b32 v36, v48 :: v_dual_mov_b32 v37, v49
	s_xor_b32 exec_lo, exec_lo, s14
	s_cbranch_execz .LBB167_106
; %bb.105:
	s_waitcnt lgkmcnt(0)
	v_lshl_add_u32 v34, v71, 3, v53
	ds_load_b64 v[36:37], v34 offset:8
	v_dual_mov_b32 v34, v46 :: v_dual_mov_b32 v35, v47
.LBB167_106:
	s_or_b32 exec_lo, exec_lo, s14
	v_add_nc_u32_e32 v73, 1, v70
	v_cndmask_b32_e64 v27, v27, v29, s9
	v_cndmask_b32_e64 v29, v7, v25, s8
	v_and_b32_e32 v7, 0x60, v55
	v_add_nc_u32_e32 v72, 1, v71
	v_cndmask_b32_e64 v47, v47, v49, s13
	v_cndmask_b32_e64 v49, v73, v70, s13
	;; [unrolled: 1-line block ×4, first 2 shown]
	v_min_i32_e32 v24, v51, v7
	v_cndmask_b32_e64 v46, v46, v48, s13
	v_cndmask_b32_e64 v48, v71, v72, s13
	;; [unrolled: 1-line block ×4, first 2 shown]
	s_waitcnt lgkmcnt(0)
	v_cmp_lt_i64_e64 s9, v[36:37], v[34:35]
	v_cndmask_b32_e64 v31, v31, v33, s10
	v_cndmask_b32_e64 v30, v30, v32, s10
	;; [unrolled: 1-line block ×3, first 2 shown]
	v_cmp_ge_i32_e64 s10, v49, v58
	; wave barrier
	ds_store_2addr_b64 v54, v[2:3], v[8:9] offset1:1
	ds_store_2addr_b64 v54, v[10:11], v[12:13] offset0:2 offset1:3
	v_add_nc_u32_e32 v2, 16, v24
	v_cndmask_b32_e64 v38, v38, v40, s11
	v_cndmask_b32_e64 v40, v66, v67, s11
	v_cmp_lt_i32_e64 s11, v48, v59
	v_cndmask_b32_e64 v6, v60, v61, s8
	s_or_b32 s8, s10, s9
	v_cndmask_b32_e64 v25, v57, v56, s7
	v_min_i32_e32 v56, v51, v2
	v_cndmask_b32_e64 v42, v42, v44, s12
	v_cndmask_b32_e64 v44, v68, v69, s12
	s_and_b32 s8, s11, s8
	v_cndmask_b32_e64 v70, v70, v71, s13
	v_cndmask_b32_e64 v33, v35, v37, s8
	;; [unrolled: 1-line block ×3, first 2 shown]
	v_lshl_add_u32 v2, v25, 3, v53
	v_add_nc_u32_e32 v10, 16, v56
	v_lshl_add_u32 v11, v40, 3, v53
	v_and_b32_e32 v12, 24, v55
	ds_store_2addr_b64 v54, v[14:15], v[18:19] offset0:4 offset1:5
	ds_store_2addr_b64 v54, v[4:5], v[16:17] offset0:6 offset1:7
	v_lshl_add_u32 v4, v6, 3, v53
	v_lshl_add_u32 v13, v44, 3, v53
	v_lshl_add_u32 v5, v41, 3, v53
	v_lshl_add_u32 v16, v70, 3, v53
	v_lshl_add_u32 v8, v32, 3, v53
	v_lshl_add_u32 v17, v35, 3, v53
	; wave barrier
	ds_load_b64 v[2:3], v2
	ds_load_b64 v[6:7], v4
	;; [unrolled: 1-line block ×4, first 2 shown]
	v_min_i32_e32 v58, v51, v10
	v_min_i32_e32 v18, v51, v12
	ds_load_b64 v[10:11], v11
	ds_load_b64 v[14:15], v13
	;; [unrolled: 1-line block ×4, first 2 shown]
	v_cndmask_b32_e64 v41, v21, v23, s7
	v_cndmask_b32_e64 v40, v20, v22, s7
	v_sub_nc_u32_e32 v19, v58, v56
	v_sub_nc_u32_e32 v21, v56, v24
	v_cndmask_b32_e64 v43, v43, v45, s12
	v_cndmask_b32_e64 v32, v34, v36, s8
	s_mov_b32 s9, 0
	v_sub_nc_u32_e32 v20, v18, v19
	v_cmp_ge_i32_e64 s7, v18, v19
	v_lshl_add_u32 v19, v24, 3, v53
	s_mov_b32 s8, exec_lo
	; wave barrier
	s_delay_alu instid0(VALU_DEP_2)
	v_cndmask_b32_e64 v22, 0, v20, s7
	v_min_i32_e32 v20, v18, v21
	ds_store_2addr_b64 v54, v[40:41], v[28:29] offset1:1
	ds_store_2addr_b64 v54, v[26:27], v[30:31] offset0:2 offset1:3
	ds_store_2addr_b64 v54, v[38:39], v[42:43] offset0:4 offset1:5
	;; [unrolled: 1-line block ×3, first 2 shown]
	; wave barrier
	v_cmpx_lt_i32_e64 v22, v20
	s_cbranch_execz .LBB167_110
; %bb.107:
	v_lshlrev_b32_e32 v21, 3, v56
	v_lshlrev_b32_e32 v23, 3, v18
	s_delay_alu instid0(VALU_DEP_1)
	v_add3_u32 v21, v53, v21, v23
	.p2align	6
.LBB167_108:                            ; =>This Inner Loop Header: Depth=1
	v_sub_nc_u32_e32 v23, v20, v22
	s_delay_alu instid0(VALU_DEP_1) | instskip(NEXT) | instid1(VALU_DEP_1)
	v_lshrrev_b32_e32 v25, 31, v23
	v_add_nc_u32_e32 v23, v23, v25
	s_delay_alu instid0(VALU_DEP_1) | instskip(NEXT) | instid1(VALU_DEP_1)
	v_ashrrev_i32_e32 v23, 1, v23
	v_add_nc_u32_e32 v23, v23, v22
	s_delay_alu instid0(VALU_DEP_1) | instskip(SKIP_1) | instid1(VALU_DEP_2)
	v_not_b32_e32 v25, v23
	v_lshl_add_u32 v26, v23, 3, v19
	v_lshl_add_u32 v27, v25, 3, v21
	ds_load_b64 v[25:26], v26
	ds_load_b64 v[27:28], v27
	s_waitcnt lgkmcnt(0)
	v_cmp_lt_i64_e64 s7, v[27:28], v[25:26]
	v_add_nc_u32_e32 v25, 1, v23
	s_delay_alu instid0(VALU_DEP_2) | instskip(NEXT) | instid1(VALU_DEP_2)
	v_cndmask_b32_e64 v20, v20, v23, s7
	v_cndmask_b32_e64 v22, v25, v22, s7
	s_delay_alu instid0(VALU_DEP_1) | instskip(NEXT) | instid1(VALU_DEP_1)
	v_cmp_ge_i32_e64 s7, v22, v20
	s_or_b32 s9, s7, s9
	s_delay_alu instid0(SALU_CYCLE_1)
	s_and_not1_b32 exec_lo, exec_lo, s9
	s_cbranch_execnz .LBB167_108
; %bb.109:
	s_or_b32 exec_lo, exec_lo, s9
.LBB167_110:
	s_delay_alu instid0(SALU_CYCLE_1) | instskip(SKIP_3) | instid1(VALU_DEP_3)
	s_or_b32 exec_lo, exec_lo, s8
	v_add_nc_u32_e32 v18, v56, v18
	v_lshl_add_u32 v25, v22, 3, v19
	v_add_nc_u32_e32 v59, v22, v24
	v_sub_nc_u32_e32 v57, v18, v22
                                        ; implicit-def: $vgpr22_vgpr23
	s_delay_alu instid0(VALU_DEP_2) | instskip(NEXT) | instid1(VALU_DEP_2)
	v_cmp_le_i32_e64 s8, v56, v59
	v_lshl_add_u32 v26, v57, 3, v53
	v_cmp_gt_i32_e64 s9, v58, v57
	ds_load_b64 v[18:19], v25
	ds_load_b64 v[20:21], v26
	s_waitcnt lgkmcnt(0)
	v_cmp_lt_i64_e64 s7, v[20:21], v[18:19]
	s_delay_alu instid0(VALU_DEP_1) | instskip(NEXT) | instid1(SALU_CYCLE_1)
	s_or_b32 s7, s8, s7
	s_and_b32 s7, s9, s7
	s_delay_alu instid0(SALU_CYCLE_1) | instskip(NEXT) | instid1(SALU_CYCLE_1)
	s_xor_b32 s8, s7, -1
	s_and_saveexec_b32 s9, s8
	s_delay_alu instid0(SALU_CYCLE_1)
	s_xor_b32 s8, exec_lo, s9
	s_cbranch_execz .LBB167_112
; %bb.111:
	ds_load_b64 v[22:23], v25 offset:8
                                        ; implicit-def: $vgpr26
.LBB167_112:
	s_or_saveexec_b32 s8, s8
	v_dual_mov_b32 v25, v21 :: v_dual_mov_b32 v24, v20
	s_xor_b32 exec_lo, exec_lo, s8
	s_cbranch_execz .LBB167_114
; %bb.113:
	ds_load_b64 v[24:25], v26 offset:8
	s_waitcnt lgkmcnt(1)
	v_dual_mov_b32 v23, v19 :: v_dual_mov_b32 v22, v18
.LBB167_114:
	s_or_b32 exec_lo, exec_lo, s8
	v_add_nc_u32_e32 v26, 1, v59
	v_add_nc_u32_e32 v27, 1, v57
	s_waitcnt lgkmcnt(0)
	v_cmp_lt_i64_e64 s8, v[24:25], v[22:23]
	s_delay_alu instid0(VALU_DEP_3) | instskip(NEXT) | instid1(VALU_DEP_3)
	v_cndmask_b32_e64 v60, v26, v59, s7
	v_cndmask_b32_e64 v61, v57, v27, s7
                                        ; implicit-def: $vgpr26_vgpr27
	s_delay_alu instid0(VALU_DEP_2) | instskip(NEXT) | instid1(VALU_DEP_2)
	v_cmp_ge_i32_e64 s9, v60, v56
	v_cmp_lt_i32_e64 s10, v61, v58
	s_delay_alu instid0(VALU_DEP_2)
	s_or_b32 s8, s9, s8
	s_delay_alu instid0(VALU_DEP_1) | instid1(SALU_CYCLE_1)
	s_and_b32 s8, s10, s8
	s_delay_alu instid0(SALU_CYCLE_1) | instskip(NEXT) | instid1(SALU_CYCLE_1)
	s_xor_b32 s9, s8, -1
	s_and_saveexec_b32 s10, s9
	s_delay_alu instid0(SALU_CYCLE_1)
	s_xor_b32 s9, exec_lo, s10
	s_cbranch_execz .LBB167_116
; %bb.115:
	v_lshl_add_u32 v26, v60, 3, v53
	ds_load_b64 v[26:27], v26 offset:8
.LBB167_116:
	s_or_saveexec_b32 s9, s9
	v_dual_mov_b32 v29, v25 :: v_dual_mov_b32 v28, v24
	s_xor_b32 exec_lo, exec_lo, s9
	s_cbranch_execz .LBB167_118
; %bb.117:
	s_waitcnt lgkmcnt(0)
	v_lshl_add_u32 v26, v61, 3, v53
	ds_load_b64 v[28:29], v26 offset:8
	v_dual_mov_b32 v27, v23 :: v_dual_mov_b32 v26, v22
.LBB167_118:
	s_or_b32 exec_lo, exec_lo, s9
	v_add_nc_u32_e32 v30, 1, v60
	v_add_nc_u32_e32 v31, 1, v61
	s_waitcnt lgkmcnt(0)
	v_cmp_lt_i64_e64 s9, v[28:29], v[26:27]
	s_delay_alu instid0(VALU_DEP_3) | instskip(NEXT) | instid1(VALU_DEP_3)
	v_cndmask_b32_e64 v62, v30, v60, s8
	v_cndmask_b32_e64 v63, v61, v31, s8
                                        ; implicit-def: $vgpr30_vgpr31
	s_delay_alu instid0(VALU_DEP_2) | instskip(NEXT) | instid1(VALU_DEP_2)
	v_cmp_ge_i32_e64 s10, v62, v56
	v_cmp_lt_i32_e64 s11, v63, v58
	s_delay_alu instid0(VALU_DEP_2)
	s_or_b32 s9, s10, s9
	s_delay_alu instid0(VALU_DEP_1) | instid1(SALU_CYCLE_1)
	s_and_b32 s9, s11, s9
	s_delay_alu instid0(SALU_CYCLE_1) | instskip(NEXT) | instid1(SALU_CYCLE_1)
	s_xor_b32 s10, s9, -1
	s_and_saveexec_b32 s11, s10
	s_delay_alu instid0(SALU_CYCLE_1)
	s_xor_b32 s10, exec_lo, s11
	s_cbranch_execz .LBB167_120
; %bb.119:
	v_lshl_add_u32 v30, v62, 3, v53
	ds_load_b64 v[30:31], v30 offset:8
.LBB167_120:
	s_or_saveexec_b32 s10, s10
	v_dual_mov_b32 v33, v29 :: v_dual_mov_b32 v32, v28
	s_xor_b32 exec_lo, exec_lo, s10
	s_cbranch_execz .LBB167_122
; %bb.121:
	s_waitcnt lgkmcnt(0)
	v_lshl_add_u32 v30, v63, 3, v53
	ds_load_b64 v[32:33], v30 offset:8
	v_dual_mov_b32 v31, v27 :: v_dual_mov_b32 v30, v26
.LBB167_122:
	s_or_b32 exec_lo, exec_lo, s10
	v_add_nc_u32_e32 v34, 1, v62
	v_add_nc_u32_e32 v35, 1, v63
	s_waitcnt lgkmcnt(0)
	v_cmp_lt_i64_e64 s10, v[32:33], v[30:31]
                                        ; implicit-def: $vgpr38_vgpr39
	s_delay_alu instid0(VALU_DEP_3) | instskip(NEXT) | instid1(VALU_DEP_3)
	v_cndmask_b32_e64 v64, v34, v62, s9
	v_cndmask_b32_e64 v65, v63, v35, s9
	s_delay_alu instid0(VALU_DEP_2) | instskip(NEXT) | instid1(VALU_DEP_2)
	v_cmp_ge_i32_e64 s11, v64, v56
	v_cmp_lt_i32_e64 s12, v65, v58
	s_delay_alu instid0(VALU_DEP_2)
	s_or_b32 s10, s11, s10
	s_delay_alu instid0(VALU_DEP_1) | instid1(SALU_CYCLE_1)
	s_and_b32 s10, s12, s10
	s_delay_alu instid0(SALU_CYCLE_1) | instskip(NEXT) | instid1(SALU_CYCLE_1)
	s_xor_b32 s11, s10, -1
	s_and_saveexec_b32 s12, s11
	s_delay_alu instid0(SALU_CYCLE_1)
	s_xor_b32 s11, exec_lo, s12
	s_cbranch_execz .LBB167_124
; %bb.123:
	v_lshl_add_u32 v34, v64, 3, v53
	ds_load_b64 v[38:39], v34 offset:8
.LBB167_124:
	s_or_saveexec_b32 s11, s11
	v_dual_mov_b32 v41, v33 :: v_dual_mov_b32 v40, v32
	s_xor_b32 exec_lo, exec_lo, s11
	s_cbranch_execz .LBB167_126
; %bb.125:
	v_lshl_add_u32 v34, v65, 3, v53
	s_waitcnt lgkmcnt(0)
	v_dual_mov_b32 v39, v31 :: v_dual_mov_b32 v38, v30
	ds_load_b64 v[40:41], v34 offset:8
.LBB167_126:
	s_or_b32 exec_lo, exec_lo, s11
	v_add_nc_u32_e32 v34, 1, v64
	v_add_nc_u32_e32 v35, 1, v65
	s_waitcnt lgkmcnt(0)
	v_cmp_lt_i64_e64 s11, v[40:41], v[38:39]
                                        ; implicit-def: $vgpr42_vgpr43
	s_delay_alu instid0(VALU_DEP_3) | instskip(NEXT) | instid1(VALU_DEP_3)
	v_cndmask_b32_e64 v66, v34, v64, s10
	v_cndmask_b32_e64 v67, v65, v35, s10
	s_delay_alu instid0(VALU_DEP_2) | instskip(NEXT) | instid1(VALU_DEP_2)
	v_cmp_ge_i32_e64 s12, v66, v56
	v_cmp_lt_i32_e64 s13, v67, v58
	s_delay_alu instid0(VALU_DEP_2)
	s_or_b32 s11, s12, s11
	s_delay_alu instid0(VALU_DEP_1) | instid1(SALU_CYCLE_1)
	s_and_b32 s11, s13, s11
	s_delay_alu instid0(SALU_CYCLE_1) | instskip(NEXT) | instid1(SALU_CYCLE_1)
	s_xor_b32 s12, s11, -1
	s_and_saveexec_b32 s13, s12
	s_delay_alu instid0(SALU_CYCLE_1)
	s_xor_b32 s12, exec_lo, s13
	s_cbranch_execz .LBB167_128
; %bb.127:
	v_lshl_add_u32 v34, v66, 3, v53
	ds_load_b64 v[42:43], v34 offset:8
.LBB167_128:
	s_or_saveexec_b32 s12, s12
	v_dual_mov_b32 v45, v41 :: v_dual_mov_b32 v44, v40
	s_xor_b32 exec_lo, exec_lo, s12
	s_cbranch_execz .LBB167_130
; %bb.129:
	v_lshl_add_u32 v34, v67, 3, v53
	s_waitcnt lgkmcnt(0)
	v_dual_mov_b32 v43, v39 :: v_dual_mov_b32 v42, v38
	ds_load_b64 v[44:45], v34 offset:8
.LBB167_130:
	s_or_b32 exec_lo, exec_lo, s12
	v_add_nc_u32_e32 v34, 1, v66
	v_add_nc_u32_e32 v35, 1, v67
	s_waitcnt lgkmcnt(0)
	v_cmp_lt_i64_e64 s12, v[44:45], v[42:43]
                                        ; implicit-def: $vgpr46_vgpr47
	s_delay_alu instid0(VALU_DEP_3) | instskip(NEXT) | instid1(VALU_DEP_3)
	v_cndmask_b32_e64 v68, v34, v66, s11
	v_cndmask_b32_e64 v69, v67, v35, s11
	s_delay_alu instid0(VALU_DEP_2) | instskip(NEXT) | instid1(VALU_DEP_2)
	v_cmp_ge_i32_e64 s13, v68, v56
	v_cmp_lt_i32_e64 s14, v69, v58
	s_delay_alu instid0(VALU_DEP_2)
	s_or_b32 s12, s13, s12
	s_delay_alu instid0(VALU_DEP_1) | instid1(SALU_CYCLE_1)
	s_and_b32 s12, s14, s12
	s_delay_alu instid0(SALU_CYCLE_1) | instskip(NEXT) | instid1(SALU_CYCLE_1)
	s_xor_b32 s13, s12, -1
	s_and_saveexec_b32 s14, s13
	s_delay_alu instid0(SALU_CYCLE_1)
	s_xor_b32 s13, exec_lo, s14
	s_cbranch_execz .LBB167_132
; %bb.131:
	v_lshl_add_u32 v34, v68, 3, v53
	ds_load_b64 v[46:47], v34 offset:8
.LBB167_132:
	s_or_saveexec_b32 s13, s13
	v_dual_mov_b32 v49, v45 :: v_dual_mov_b32 v48, v44
	s_xor_b32 exec_lo, exec_lo, s13
	s_cbranch_execz .LBB167_134
; %bb.133:
	v_lshl_add_u32 v34, v69, 3, v53
	s_waitcnt lgkmcnt(0)
	v_dual_mov_b32 v47, v43 :: v_dual_mov_b32 v46, v42
	ds_load_b64 v[48:49], v34 offset:8
.LBB167_134:
	s_or_b32 exec_lo, exec_lo, s13
	v_add_nc_u32_e32 v34, 1, v68
	v_add_nc_u32_e32 v35, 1, v69
	s_waitcnt lgkmcnt(0)
	v_cmp_lt_i64_e64 s13, v[48:49], v[46:47]
	s_delay_alu instid0(VALU_DEP_3) | instskip(NEXT) | instid1(VALU_DEP_3)
	v_cndmask_b32_e64 v70, v34, v68, s12
	v_cndmask_b32_e64 v71, v69, v35, s12
                                        ; implicit-def: $vgpr34_vgpr35
	s_delay_alu instid0(VALU_DEP_2) | instskip(NEXT) | instid1(VALU_DEP_2)
	v_cmp_ge_i32_e64 s14, v70, v56
	v_cmp_lt_i32_e64 s15, v71, v58
	s_delay_alu instid0(VALU_DEP_2)
	s_or_b32 s13, s14, s13
	s_delay_alu instid0(VALU_DEP_1) | instid1(SALU_CYCLE_1)
	s_and_b32 s13, s15, s13
	s_delay_alu instid0(SALU_CYCLE_1) | instskip(NEXT) | instid1(SALU_CYCLE_1)
	s_xor_b32 s14, s13, -1
	s_and_saveexec_b32 s15, s14
	s_delay_alu instid0(SALU_CYCLE_1)
	s_xor_b32 s14, exec_lo, s15
	s_cbranch_execz .LBB167_136
; %bb.135:
	v_lshl_add_u32 v34, v70, 3, v53
	ds_load_b64 v[34:35], v34 offset:8
.LBB167_136:
	s_or_saveexec_b32 s14, s14
	v_dual_mov_b32 v36, v48 :: v_dual_mov_b32 v37, v49
	s_xor_b32 exec_lo, exec_lo, s14
	s_cbranch_execz .LBB167_138
; %bb.137:
	s_waitcnt lgkmcnt(0)
	v_lshl_add_u32 v34, v71, 3, v53
	ds_load_b64 v[36:37], v34 offset:8
	v_dual_mov_b32 v34, v46 :: v_dual_mov_b32 v35, v47
.LBB167_138:
	s_or_b32 exec_lo, exec_lo, s14
	v_add_nc_u32_e32 v73, 1, v70
	v_cndmask_b32_e64 v26, v26, v28, s9
	v_cndmask_b32_e64 v28, v22, v24, s8
	v_and_b32_e32 v22, 64, v55
	v_add_nc_u32_e32 v72, 1, v71
	v_cndmask_b32_e64 v47, v47, v49, s13
	v_cndmask_b32_e64 v49, v73, v70, s13
	;; [unrolled: 1-line block ×3, first 2 shown]
	v_min_i32_e32 v22, v51, v22
	v_cndmask_b32_e64 v48, v71, v72, s13
	v_cndmask_b32_e64 v39, v39, v41, s11
	;; [unrolled: 1-line block ×4, first 2 shown]
	s_waitcnt lgkmcnt(0)
	v_cmp_lt_i64_e64 s9, v[36:37], v[34:35]
	v_cndmask_b32_e64 v31, v31, v33, s10
	v_cndmask_b32_e64 v30, v30, v32, s10
	;; [unrolled: 1-line block ×3, first 2 shown]
	v_cmp_ge_i32_e64 s10, v49, v56
	; wave barrier
	ds_store_2addr_b64 v54, v[2:3], v[6:7] offset1:1
	ds_store_2addr_b64 v54, v[4:5], v[8:9] offset0:2 offset1:3
	v_add_nc_u32_e32 v2, 32, v22
	v_cndmask_b32_e64 v38, v38, v40, s11
	v_cndmask_b32_e64 v40, v66, v67, s11
	v_cmp_lt_i32_e64 s11, v48, v58
	v_cndmask_b32_e64 v29, v23, v25, s8
	v_cndmask_b32_e64 v23, v60, v61, s8
	s_or_b32 s8, s10, s9
	v_cndmask_b32_e64 v24, v59, v57, s7
	v_min_i32_e32 v56, v51, v2
	v_cndmask_b32_e64 v42, v42, v44, s12
	v_cndmask_b32_e64 v44, v68, v69, s12
	s_and_b32 s8, s11, s8
	v_cndmask_b32_e64 v70, v70, v71, s13
	v_cndmask_b32_e64 v25, v49, v48, s8
	ds_store_2addr_b64 v54, v[10:11], v[14:15] offset0:4 offset1:5
	ds_store_2addr_b64 v54, v[12:13], v[16:17] offset0:6 offset1:7
	v_lshl_add_u32 v2, v24, 3, v53
	v_add_nc_u32_e32 v10, 32, v56
	v_lshl_add_u32 v11, v40, 3, v53
	v_and_b32_e32 v12, 56, v55
	v_lshl_add_u32 v4, v23, 3, v53
	v_lshl_add_u32 v13, v44, 3, v53
	;; [unrolled: 1-line block ×6, first 2 shown]
	; wave barrier
	ds_load_b64 v[2:3], v2
	ds_load_b64 v[6:7], v4
	ds_load_b64 v[4:5], v5
	ds_load_b64 v[8:9], v8
	v_min_i32_e32 v55, v51, v10
	v_min_i32_e32 v23, v51, v12
	ds_load_b64 v[10:11], v11
	ds_load_b64 v[14:15], v13
	;; [unrolled: 1-line block ×4, first 2 shown]
	v_cndmask_b32_e64 v21, v19, v21, s7
	v_cndmask_b32_e64 v20, v18, v20, s7
	v_sub_nc_u32_e32 v24, v55, v56
	v_sub_nc_u32_e32 v19, v56, v22
	v_cndmask_b32_e64 v43, v43, v45, s12
	v_cndmask_b32_e64 v33, v35, v37, s8
	;; [unrolled: 1-line block ×3, first 2 shown]
	v_sub_nc_u32_e32 v18, v23, v24
	v_cmp_ge_i32_e64 s7, v23, v24
	v_min_i32_e32 v19, v23, v19
	s_mov_b32 s9, 0
	s_mov_b32 s8, exec_lo
	s_delay_alu instid0(VALU_DEP_2)
	v_cndmask_b32_e64 v24, 0, v18, s7
	v_lshl_add_u32 v18, v22, 3, v53
	; wave barrier
	ds_store_2addr_b64 v54, v[20:21], v[28:29] offset1:1
	ds_store_2addr_b64 v54, v[26:27], v[30:31] offset0:2 offset1:3
	ds_store_2addr_b64 v54, v[38:39], v[42:43] offset0:4 offset1:5
	ds_store_2addr_b64 v54, v[46:47], v[32:33] offset0:6 offset1:7
	; wave barrier
	v_cmpx_lt_i32_e64 v24, v19
	s_cbranch_execz .LBB167_142
; %bb.139:
	v_lshlrev_b32_e32 v20, 3, v56
	v_lshlrev_b32_e32 v21, 3, v23
	s_delay_alu instid0(VALU_DEP_1)
	v_add3_u32 v20, v53, v20, v21
	.p2align	6
.LBB167_140:                            ; =>This Inner Loop Header: Depth=1
	v_sub_nc_u32_e32 v21, v19, v24
	s_delay_alu instid0(VALU_DEP_1) | instskip(NEXT) | instid1(VALU_DEP_1)
	v_lshrrev_b32_e32 v25, 31, v21
	v_add_nc_u32_e32 v21, v21, v25
	s_delay_alu instid0(VALU_DEP_1) | instskip(NEXT) | instid1(VALU_DEP_1)
	v_ashrrev_i32_e32 v21, 1, v21
	v_add_nc_u32_e32 v21, v21, v24
	s_delay_alu instid0(VALU_DEP_1) | instskip(SKIP_1) | instid1(VALU_DEP_2)
	v_not_b32_e32 v25, v21
	v_lshl_add_u32 v26, v21, 3, v18
	v_lshl_add_u32 v27, v25, 3, v20
	ds_load_b64 v[25:26], v26
	ds_load_b64 v[27:28], v27
	s_waitcnt lgkmcnt(0)
	v_cmp_lt_i64_e64 s7, v[27:28], v[25:26]
	v_add_nc_u32_e32 v25, 1, v21
	s_delay_alu instid0(VALU_DEP_2) | instskip(NEXT) | instid1(VALU_DEP_2)
	v_cndmask_b32_e64 v19, v19, v21, s7
	v_cndmask_b32_e64 v24, v25, v24, s7
	s_delay_alu instid0(VALU_DEP_1) | instskip(NEXT) | instid1(VALU_DEP_1)
	v_cmp_ge_i32_e64 s7, v24, v19
	s_or_b32 s9, s7, s9
	s_delay_alu instid0(SALU_CYCLE_1)
	s_and_not1_b32 exec_lo, exec_lo, s9
	s_cbranch_execnz .LBB167_140
; %bb.141:
	s_or_b32 exec_lo, exec_lo, s9
.LBB167_142:
	s_delay_alu instid0(SALU_CYCLE_1) | instskip(SKIP_3) | instid1(VALU_DEP_3)
	s_or_b32 exec_lo, exec_lo, s8
	v_add_nc_u32_e32 v19, v56, v23
	v_lshl_add_u32 v25, v24, 3, v18
	v_add_nc_u32_e32 v58, v24, v22
                                        ; implicit-def: $vgpr22_vgpr23
	v_sub_nc_u32_e32 v57, v19, v24
	s_delay_alu instid0(VALU_DEP_2) | instskip(NEXT) | instid1(VALU_DEP_2)
	v_cmp_le_i32_e64 s8, v56, v58
	v_lshl_add_u32 v26, v57, 3, v53
	v_cmp_gt_i32_e64 s9, v55, v57
	ds_load_b64 v[18:19], v25
	ds_load_b64 v[20:21], v26
	s_waitcnt lgkmcnt(0)
	v_cmp_lt_i64_e64 s7, v[20:21], v[18:19]
	s_delay_alu instid0(VALU_DEP_1) | instskip(NEXT) | instid1(SALU_CYCLE_1)
	s_or_b32 s7, s8, s7
	s_and_b32 s7, s9, s7
	s_delay_alu instid0(SALU_CYCLE_1) | instskip(NEXT) | instid1(SALU_CYCLE_1)
	s_xor_b32 s8, s7, -1
	s_and_saveexec_b32 s9, s8
	s_delay_alu instid0(SALU_CYCLE_1)
	s_xor_b32 s8, exec_lo, s9
	s_cbranch_execz .LBB167_144
; %bb.143:
	ds_load_b64 v[22:23], v25 offset:8
                                        ; implicit-def: $vgpr26
.LBB167_144:
	s_or_saveexec_b32 s8, s8
	v_dual_mov_b32 v25, v21 :: v_dual_mov_b32 v24, v20
	s_xor_b32 exec_lo, exec_lo, s8
	s_cbranch_execz .LBB167_146
; %bb.145:
	ds_load_b64 v[24:25], v26 offset:8
	s_waitcnt lgkmcnt(1)
	v_dual_mov_b32 v23, v19 :: v_dual_mov_b32 v22, v18
.LBB167_146:
	s_or_b32 exec_lo, exec_lo, s8
	v_add_nc_u32_e32 v26, 1, v58
	v_add_nc_u32_e32 v27, 1, v57
	s_waitcnt lgkmcnt(0)
	v_cmp_lt_i64_e64 s8, v[24:25], v[22:23]
	s_delay_alu instid0(VALU_DEP_3) | instskip(NEXT) | instid1(VALU_DEP_3)
	v_cndmask_b32_e64 v59, v26, v58, s7
	v_cndmask_b32_e64 v60, v57, v27, s7
                                        ; implicit-def: $vgpr26_vgpr27
	s_delay_alu instid0(VALU_DEP_2) | instskip(NEXT) | instid1(VALU_DEP_2)
	v_cmp_ge_i32_e64 s9, v59, v56
	v_cmp_lt_i32_e64 s10, v60, v55
	s_delay_alu instid0(VALU_DEP_2)
	s_or_b32 s8, s9, s8
	s_delay_alu instid0(VALU_DEP_1) | instid1(SALU_CYCLE_1)
	s_and_b32 s8, s10, s8
	s_delay_alu instid0(SALU_CYCLE_1) | instskip(NEXT) | instid1(SALU_CYCLE_1)
	s_xor_b32 s9, s8, -1
	s_and_saveexec_b32 s10, s9
	s_delay_alu instid0(SALU_CYCLE_1)
	s_xor_b32 s9, exec_lo, s10
	s_cbranch_execz .LBB167_148
; %bb.147:
	v_lshl_add_u32 v26, v59, 3, v53
	ds_load_b64 v[26:27], v26 offset:8
.LBB167_148:
	s_or_saveexec_b32 s9, s9
	v_dual_mov_b32 v29, v25 :: v_dual_mov_b32 v28, v24
	s_xor_b32 exec_lo, exec_lo, s9
	s_cbranch_execz .LBB167_150
; %bb.149:
	s_waitcnt lgkmcnt(0)
	v_lshl_add_u32 v26, v60, 3, v53
	ds_load_b64 v[28:29], v26 offset:8
	v_dual_mov_b32 v27, v23 :: v_dual_mov_b32 v26, v22
.LBB167_150:
	s_or_b32 exec_lo, exec_lo, s9
	v_add_nc_u32_e32 v30, 1, v59
	v_add_nc_u32_e32 v31, 1, v60
	s_waitcnt lgkmcnt(0)
	v_cmp_lt_i64_e64 s9, v[28:29], v[26:27]
	s_delay_alu instid0(VALU_DEP_3) | instskip(NEXT) | instid1(VALU_DEP_3)
	v_cndmask_b32_e64 v61, v30, v59, s8
	v_cndmask_b32_e64 v62, v60, v31, s8
                                        ; implicit-def: $vgpr30_vgpr31
	s_delay_alu instid0(VALU_DEP_2) | instskip(NEXT) | instid1(VALU_DEP_2)
	v_cmp_ge_i32_e64 s10, v61, v56
	v_cmp_lt_i32_e64 s11, v62, v55
	s_delay_alu instid0(VALU_DEP_2)
	s_or_b32 s9, s10, s9
	s_delay_alu instid0(VALU_DEP_1) | instid1(SALU_CYCLE_1)
	s_and_b32 s9, s11, s9
	s_delay_alu instid0(SALU_CYCLE_1) | instskip(NEXT) | instid1(SALU_CYCLE_1)
	s_xor_b32 s10, s9, -1
	s_and_saveexec_b32 s11, s10
	s_delay_alu instid0(SALU_CYCLE_1)
	s_xor_b32 s10, exec_lo, s11
	s_cbranch_execz .LBB167_152
; %bb.151:
	v_lshl_add_u32 v30, v61, 3, v53
	ds_load_b64 v[30:31], v30 offset:8
.LBB167_152:
	s_or_saveexec_b32 s10, s10
	v_dual_mov_b32 v33, v29 :: v_dual_mov_b32 v32, v28
	s_xor_b32 exec_lo, exec_lo, s10
	s_cbranch_execz .LBB167_154
; %bb.153:
	s_waitcnt lgkmcnt(0)
	v_lshl_add_u32 v30, v62, 3, v53
	ds_load_b64 v[32:33], v30 offset:8
	v_dual_mov_b32 v31, v27 :: v_dual_mov_b32 v30, v26
.LBB167_154:
	s_or_b32 exec_lo, exec_lo, s10
	v_add_nc_u32_e32 v34, 1, v61
	v_add_nc_u32_e32 v35, 1, v62
	s_waitcnt lgkmcnt(0)
	v_cmp_lt_i64_e64 s10, v[32:33], v[30:31]
                                        ; implicit-def: $vgpr38_vgpr39
	s_delay_alu instid0(VALU_DEP_3) | instskip(NEXT) | instid1(VALU_DEP_3)
	v_cndmask_b32_e64 v63, v34, v61, s9
	v_cndmask_b32_e64 v64, v62, v35, s9
	s_delay_alu instid0(VALU_DEP_2) | instskip(NEXT) | instid1(VALU_DEP_2)
	v_cmp_ge_i32_e64 s11, v63, v56
	v_cmp_lt_i32_e64 s12, v64, v55
	s_delay_alu instid0(VALU_DEP_2)
	s_or_b32 s10, s11, s10
	s_delay_alu instid0(VALU_DEP_1) | instid1(SALU_CYCLE_1)
	s_and_b32 s10, s12, s10
	s_delay_alu instid0(SALU_CYCLE_1) | instskip(NEXT) | instid1(SALU_CYCLE_1)
	s_xor_b32 s11, s10, -1
	s_and_saveexec_b32 s12, s11
	s_delay_alu instid0(SALU_CYCLE_1)
	s_xor_b32 s11, exec_lo, s12
	s_cbranch_execz .LBB167_156
; %bb.155:
	v_lshl_add_u32 v34, v63, 3, v53
	ds_load_b64 v[38:39], v34 offset:8
.LBB167_156:
	s_or_saveexec_b32 s11, s11
	v_dual_mov_b32 v41, v33 :: v_dual_mov_b32 v40, v32
	s_xor_b32 exec_lo, exec_lo, s11
	s_cbranch_execz .LBB167_158
; %bb.157:
	v_lshl_add_u32 v34, v64, 3, v53
	s_waitcnt lgkmcnt(0)
	v_dual_mov_b32 v39, v31 :: v_dual_mov_b32 v38, v30
	ds_load_b64 v[40:41], v34 offset:8
.LBB167_158:
	s_or_b32 exec_lo, exec_lo, s11
	v_add_nc_u32_e32 v34, 1, v63
	v_add_nc_u32_e32 v35, 1, v64
	s_waitcnt lgkmcnt(0)
	v_cmp_lt_i64_e64 s11, v[40:41], v[38:39]
                                        ; implicit-def: $vgpr42_vgpr43
	s_delay_alu instid0(VALU_DEP_3) | instskip(NEXT) | instid1(VALU_DEP_3)
	v_cndmask_b32_e64 v65, v34, v63, s10
	v_cndmask_b32_e64 v66, v64, v35, s10
	s_delay_alu instid0(VALU_DEP_2) | instskip(NEXT) | instid1(VALU_DEP_2)
	v_cmp_ge_i32_e64 s12, v65, v56
	v_cmp_lt_i32_e64 s13, v66, v55
	s_delay_alu instid0(VALU_DEP_2)
	s_or_b32 s11, s12, s11
	s_delay_alu instid0(VALU_DEP_1) | instid1(SALU_CYCLE_1)
	s_and_b32 s11, s13, s11
	s_delay_alu instid0(SALU_CYCLE_1) | instskip(NEXT) | instid1(SALU_CYCLE_1)
	s_xor_b32 s12, s11, -1
	s_and_saveexec_b32 s13, s12
	s_delay_alu instid0(SALU_CYCLE_1)
	s_xor_b32 s12, exec_lo, s13
	s_cbranch_execz .LBB167_160
; %bb.159:
	v_lshl_add_u32 v34, v65, 3, v53
	ds_load_b64 v[42:43], v34 offset:8
.LBB167_160:
	s_or_saveexec_b32 s12, s12
	v_dual_mov_b32 v45, v41 :: v_dual_mov_b32 v44, v40
	s_xor_b32 exec_lo, exec_lo, s12
	s_cbranch_execz .LBB167_162
; %bb.161:
	v_lshl_add_u32 v34, v66, 3, v53
	s_waitcnt lgkmcnt(0)
	v_dual_mov_b32 v43, v39 :: v_dual_mov_b32 v42, v38
	ds_load_b64 v[44:45], v34 offset:8
.LBB167_162:
	s_or_b32 exec_lo, exec_lo, s12
	v_add_nc_u32_e32 v34, 1, v65
	v_add_nc_u32_e32 v35, 1, v66
	s_waitcnt lgkmcnt(0)
	v_cmp_lt_i64_e64 s12, v[44:45], v[42:43]
                                        ; implicit-def: $vgpr46_vgpr47
	s_delay_alu instid0(VALU_DEP_3) | instskip(NEXT) | instid1(VALU_DEP_3)
	v_cndmask_b32_e64 v67, v34, v65, s11
	v_cndmask_b32_e64 v68, v66, v35, s11
	s_delay_alu instid0(VALU_DEP_2) | instskip(NEXT) | instid1(VALU_DEP_2)
	v_cmp_ge_i32_e64 s13, v67, v56
	v_cmp_lt_i32_e64 s14, v68, v55
	s_delay_alu instid0(VALU_DEP_2)
	s_or_b32 s12, s13, s12
	s_delay_alu instid0(VALU_DEP_1) | instid1(SALU_CYCLE_1)
	s_and_b32 s12, s14, s12
	s_delay_alu instid0(SALU_CYCLE_1) | instskip(NEXT) | instid1(SALU_CYCLE_1)
	s_xor_b32 s13, s12, -1
	s_and_saveexec_b32 s14, s13
	s_delay_alu instid0(SALU_CYCLE_1)
	s_xor_b32 s13, exec_lo, s14
	s_cbranch_execz .LBB167_164
; %bb.163:
	v_lshl_add_u32 v34, v67, 3, v53
	ds_load_b64 v[46:47], v34 offset:8
.LBB167_164:
	s_or_saveexec_b32 s13, s13
	v_dual_mov_b32 v49, v45 :: v_dual_mov_b32 v48, v44
	s_xor_b32 exec_lo, exec_lo, s13
	s_cbranch_execz .LBB167_166
; %bb.165:
	v_lshl_add_u32 v34, v68, 3, v53
	s_waitcnt lgkmcnt(0)
	v_dual_mov_b32 v47, v43 :: v_dual_mov_b32 v46, v42
	ds_load_b64 v[48:49], v34 offset:8
.LBB167_166:
	s_or_b32 exec_lo, exec_lo, s13
	v_add_nc_u32_e32 v34, 1, v67
	v_add_nc_u32_e32 v35, 1, v68
	s_waitcnt lgkmcnt(0)
	v_cmp_lt_i64_e64 s13, v[48:49], v[46:47]
	s_delay_alu instid0(VALU_DEP_3) | instskip(NEXT) | instid1(VALU_DEP_3)
	v_cndmask_b32_e64 v69, v34, v67, s12
	v_cndmask_b32_e64 v70, v68, v35, s12
                                        ; implicit-def: $vgpr34_vgpr35
	s_delay_alu instid0(VALU_DEP_2) | instskip(NEXT) | instid1(VALU_DEP_2)
	v_cmp_ge_i32_e64 s14, v69, v56
	v_cmp_lt_i32_e64 s15, v70, v55
	s_delay_alu instid0(VALU_DEP_2)
	s_or_b32 s13, s14, s13
	s_delay_alu instid0(VALU_DEP_1) | instid1(SALU_CYCLE_1)
	s_and_b32 s13, s15, s13
	s_delay_alu instid0(SALU_CYCLE_1) | instskip(NEXT) | instid1(SALU_CYCLE_1)
	s_xor_b32 s14, s13, -1
	s_and_saveexec_b32 s15, s14
	s_delay_alu instid0(SALU_CYCLE_1)
	s_xor_b32 s14, exec_lo, s15
	s_cbranch_execz .LBB167_168
; %bb.167:
	v_lshl_add_u32 v34, v69, 3, v53
	ds_load_b64 v[34:35], v34 offset:8
.LBB167_168:
	s_or_saveexec_b32 s14, s14
	v_dual_mov_b32 v36, v48 :: v_dual_mov_b32 v37, v49
	s_xor_b32 exec_lo, exec_lo, s14
	s_cbranch_execz .LBB167_170
; %bb.169:
	s_waitcnt lgkmcnt(0)
	v_lshl_add_u32 v34, v70, 3, v53
	ds_load_b64 v[36:37], v34 offset:8
	v_dual_mov_b32 v34, v46 :: v_dual_mov_b32 v35, v47
.LBB167_170:
	s_or_b32 exec_lo, exec_lo, s14
	v_add_nc_u32_e32 v72, 1, v69
	v_add_nc_u32_e32 v71, 1, v70
	v_cndmask_b32_e64 v47, v47, v49, s13
	v_cndmask_b32_e64 v28, v26, v28, s9
	v_min_i32_e32 v26, 0, v51
	v_cndmask_b32_e64 v49, v72, v69, s13
	v_cndmask_b32_e64 v46, v46, v48, s13
	;; [unrolled: 1-line block ×5, first 2 shown]
	s_waitcnt lgkmcnt(0)
	v_cmp_lt_i64_e64 s9, v[36:37], v[34:35]
	v_cndmask_b32_e64 v31, v31, v33, s10
	v_cndmask_b32_e64 v30, v30, v32, s10
	;; [unrolled: 1-line block ×3, first 2 shown]
	v_cmp_ge_i32_e64 s10, v49, v56
	v_cndmask_b32_e64 v25, v23, v25, s8
	v_cndmask_b32_e64 v23, v58, v57, s7
	; wave barrier
	ds_store_2addr_b64 v54, v[2:3], v[6:7] offset1:1
	ds_store_2addr_b64 v54, v[4:5], v[8:9] offset0:2 offset1:3
	v_add_nc_u32_e32 v2, 64, v26
	v_cndmask_b32_e64 v39, v39, v41, s11
	v_cndmask_b32_e64 v38, v38, v40, s11
	;; [unrolled: 1-line block ×3, first 2 shown]
	v_cmp_lt_i32_e64 s11, v48, v55
	v_cndmask_b32_e64 v24, v22, v24, s8
	v_cndmask_b32_e64 v22, v59, v60, s8
	s_or_b32 s8, s10, s9
	v_min_i32_e32 v55, v51, v2
	v_lshl_add_u32 v2, v23, 3, v53
	v_cndmask_b32_e64 v42, v42, v44, s12
	v_cndmask_b32_e64 v44, v67, v68, s12
	s_and_b32 s8, s11, s8
	v_lshl_add_u32 v3, v22, 3, v53
	v_cndmask_b32_e64 v69, v69, v70, s13
	v_lshl_add_u32 v4, v27, 3, v53
	v_cndmask_b32_e64 v33, v35, v37, s8
	v_cndmask_b32_e64 v35, v49, v48, s8
	v_lshl_add_u32 v5, v32, 3, v53
	ds_store_2addr_b64 v54, v[10:11], v[14:15] offset0:4 offset1:5
	ds_store_2addr_b64 v54, v[12:13], v[16:17] offset0:6 offset1:7
	; wave barrier
	v_add_nc_u32_e32 v8, 64, v55
	ds_load_b64 v[14:15], v2
	ds_load_b64 v[16:17], v3
	;; [unrolled: 1-line block ×4, first 2 shown]
	v_lshl_add_u32 v2, v40, 3, v53
	v_lshl_add_u32 v3, v44, 3, v53
	;; [unrolled: 1-line block ×4, first 2 shown]
	v_min_i32_e32 v56, v51, v8
	ds_load_b64 v[8:9], v2
	ds_load_b64 v[12:13], v3
	;; [unrolled: 1-line block ×4, first 2 shown]
	v_min_i32_e32 v22, v51, v52
	v_cndmask_b32_e64 v41, v19, v21, s7
	v_cndmask_b32_e64 v40, v18, v20, s7
	v_sub_nc_u32_e32 v23, v56, v55
	v_sub_nc_u32_e32 v19, v55, v26
	v_cndmask_b32_e64 v43, v43, v45, s12
	v_cndmask_b32_e64 v32, v34, v36, s8
	s_mov_b32 s9, 0
	v_sub_nc_u32_e32 v18, v22, v23
	v_cmp_ge_i32_e64 s7, v22, v23
	v_min_i32_e32 v20, v22, v19
	v_lshl_add_u32 v19, v26, 3, v53
	s_mov_b32 s8, exec_lo
	s_delay_alu instid0(VALU_DEP_3)
	v_cndmask_b32_e64 v18, 0, v18, s7
	; wave barrier
	ds_store_2addr_b64 v54, v[40:41], v[24:25] offset1:1
	ds_store_2addr_b64 v54, v[28:29], v[30:31] offset0:2 offset1:3
	ds_store_2addr_b64 v54, v[38:39], v[42:43] offset0:4 offset1:5
	;; [unrolled: 1-line block ×3, first 2 shown]
	; wave barrier
	v_cmpx_lt_i32_e64 v18, v20
	s_cbranch_execz .LBB167_174
; %bb.171:
	v_lshlrev_b32_e32 v21, 3, v55
	v_lshlrev_b32_e32 v23, 3, v22
	s_delay_alu instid0(VALU_DEP_1)
	v_add3_u32 v21, v53, v21, v23
	.p2align	6
.LBB167_172:                            ; =>This Inner Loop Header: Depth=1
	v_sub_nc_u32_e32 v23, v20, v18
	s_delay_alu instid0(VALU_DEP_1) | instskip(NEXT) | instid1(VALU_DEP_1)
	v_lshrrev_b32_e32 v24, 31, v23
	v_add_nc_u32_e32 v23, v23, v24
	s_delay_alu instid0(VALU_DEP_1) | instskip(NEXT) | instid1(VALU_DEP_1)
	v_ashrrev_i32_e32 v23, 1, v23
	v_add_nc_u32_e32 v25, v23, v18
	s_delay_alu instid0(VALU_DEP_1) | instskip(SKIP_1) | instid1(VALU_DEP_2)
	v_not_b32_e32 v23, v25
	v_lshl_add_u32 v24, v25, 3, v19
	v_lshl_add_u32 v27, v23, 3, v21
	ds_load_b64 v[23:24], v24
	ds_load_b64 v[27:28], v27
	s_waitcnt lgkmcnt(0)
	v_cmp_lt_i64_e64 s7, v[27:28], v[23:24]
	v_add_nc_u32_e32 v23, 1, v25
	s_delay_alu instid0(VALU_DEP_2) | instskip(NEXT) | instid1(VALU_DEP_2)
	v_cndmask_b32_e64 v20, v20, v25, s7
	v_cndmask_b32_e64 v18, v23, v18, s7
	s_delay_alu instid0(VALU_DEP_1) | instskip(NEXT) | instid1(VALU_DEP_1)
	v_cmp_ge_i32_e64 s7, v18, v20
	s_or_b32 s9, s7, s9
	s_delay_alu instid0(SALU_CYCLE_1)
	s_and_not1_b32 exec_lo, exec_lo, s9
	s_cbranch_execnz .LBB167_172
; %bb.173:
	s_or_b32 exec_lo, exec_lo, s9
.LBB167_174:
	s_delay_alu instid0(SALU_CYCLE_1) | instskip(SKIP_2) | instid1(VALU_DEP_2)
	s_or_b32 exec_lo, exec_lo, s8
	v_add_nc_u32_e32 v20, v55, v22
	v_add_nc_u32_e32 v52, v18, v26
	v_sub_nc_u32_e32 v51, v20, v18
	v_lshl_add_u32 v20, v18, 3, v19
	s_delay_alu instid0(VALU_DEP_3) | instskip(NEXT) | instid1(VALU_DEP_3)
	v_cmp_le_i32_e64 s8, v55, v52
                                        ; implicit-def: $vgpr18_vgpr19
	v_lshl_add_u32 v27, v51, 3, v53
	v_cmp_gt_i32_e64 s9, v56, v51
	ds_load_b64 v[22:23], v20
	ds_load_b64 v[24:25], v27
	s_waitcnt lgkmcnt(0)
	v_cmp_lt_i64_e64 s7, v[24:25], v[22:23]
	s_delay_alu instid0(VALU_DEP_1) | instskip(NEXT) | instid1(SALU_CYCLE_1)
	s_or_b32 s7, s8, s7
	s_and_b32 s7, s9, s7
	s_delay_alu instid0(SALU_CYCLE_1) | instskip(NEXT) | instid1(SALU_CYCLE_1)
	s_xor_b32 s8, s7, -1
	s_and_saveexec_b32 s9, s8
	s_delay_alu instid0(SALU_CYCLE_1)
	s_xor_b32 s8, exec_lo, s9
	s_cbranch_execz .LBB167_176
; %bb.175:
	ds_load_b64 v[18:19], v20 offset:8
                                        ; implicit-def: $vgpr27
.LBB167_176:
	s_or_saveexec_b32 s8, s8
	v_dual_mov_b32 v20, v24 :: v_dual_mov_b32 v21, v25
	s_xor_b32 exec_lo, exec_lo, s8
	s_cbranch_execz .LBB167_178
; %bb.177:
	ds_load_b64 v[20:21], v27 offset:8
	s_waitcnt lgkmcnt(1)
	v_dual_mov_b32 v18, v22 :: v_dual_mov_b32 v19, v23
.LBB167_178:
	s_or_b32 exec_lo, exec_lo, s8
	v_add_nc_u32_e32 v26, 1, v52
	v_add_nc_u32_e32 v27, 1, v51
	s_waitcnt lgkmcnt(0)
	v_cmp_lt_i64_e64 s8, v[20:21], v[18:19]
	s_delay_alu instid0(VALU_DEP_3) | instskip(NEXT) | instid1(VALU_DEP_3)
	v_cndmask_b32_e64 v57, v26, v52, s7
	v_cndmask_b32_e64 v58, v51, v27, s7
                                        ; implicit-def: $vgpr26_vgpr27
	s_delay_alu instid0(VALU_DEP_2) | instskip(NEXT) | instid1(VALU_DEP_2)
	v_cmp_ge_i32_e64 s9, v57, v55
	v_cmp_lt_i32_e64 s10, v58, v56
	s_delay_alu instid0(VALU_DEP_2)
	s_or_b32 s8, s9, s8
	s_delay_alu instid0(VALU_DEP_1) | instid1(SALU_CYCLE_1)
	s_and_b32 s8, s10, s8
	s_delay_alu instid0(SALU_CYCLE_1) | instskip(NEXT) | instid1(SALU_CYCLE_1)
	s_xor_b32 s9, s8, -1
	s_and_saveexec_b32 s10, s9
	s_delay_alu instid0(SALU_CYCLE_1)
	s_xor_b32 s9, exec_lo, s10
	s_cbranch_execz .LBB167_180
; %bb.179:
	v_lshl_add_u32 v26, v57, 3, v53
	ds_load_b64 v[26:27], v26 offset:8
.LBB167_180:
	s_or_saveexec_b32 s9, s9
	v_dual_mov_b32 v29, v21 :: v_dual_mov_b32 v28, v20
	s_xor_b32 exec_lo, exec_lo, s9
	s_cbranch_execz .LBB167_182
; %bb.181:
	s_waitcnt lgkmcnt(0)
	v_lshl_add_u32 v26, v58, 3, v53
	ds_load_b64 v[28:29], v26 offset:8
	v_dual_mov_b32 v27, v19 :: v_dual_mov_b32 v26, v18
.LBB167_182:
	s_or_b32 exec_lo, exec_lo, s9
	v_add_nc_u32_e32 v30, 1, v57
	v_add_nc_u32_e32 v31, 1, v58
	s_waitcnt lgkmcnt(0)
	v_cmp_lt_i64_e64 s9, v[28:29], v[26:27]
	s_delay_alu instid0(VALU_DEP_3) | instskip(NEXT) | instid1(VALU_DEP_3)
	v_cndmask_b32_e64 v59, v30, v57, s8
	v_cndmask_b32_e64 v60, v58, v31, s8
                                        ; implicit-def: $vgpr30_vgpr31
	s_delay_alu instid0(VALU_DEP_2) | instskip(NEXT) | instid1(VALU_DEP_2)
	v_cmp_ge_i32_e64 s10, v59, v55
	v_cmp_lt_i32_e64 s11, v60, v56
	s_delay_alu instid0(VALU_DEP_2)
	s_or_b32 s9, s10, s9
	s_delay_alu instid0(VALU_DEP_1) | instid1(SALU_CYCLE_1)
	s_and_b32 s9, s11, s9
	s_delay_alu instid0(SALU_CYCLE_1) | instskip(NEXT) | instid1(SALU_CYCLE_1)
	s_xor_b32 s10, s9, -1
	s_and_saveexec_b32 s11, s10
	s_delay_alu instid0(SALU_CYCLE_1)
	s_xor_b32 s10, exec_lo, s11
	s_cbranch_execz .LBB167_184
; %bb.183:
	v_lshl_add_u32 v30, v59, 3, v53
	ds_load_b64 v[30:31], v30 offset:8
.LBB167_184:
	s_or_saveexec_b32 s10, s10
	v_dual_mov_b32 v33, v29 :: v_dual_mov_b32 v32, v28
	s_xor_b32 exec_lo, exec_lo, s10
	s_cbranch_execz .LBB167_186
; %bb.185:
	s_waitcnt lgkmcnt(0)
	v_lshl_add_u32 v30, v60, 3, v53
	ds_load_b64 v[32:33], v30 offset:8
	v_dual_mov_b32 v31, v27 :: v_dual_mov_b32 v30, v26
.LBB167_186:
	s_or_b32 exec_lo, exec_lo, s10
	v_add_nc_u32_e32 v34, 1, v59
	v_add_nc_u32_e32 v35, 1, v60
	s_waitcnt lgkmcnt(0)
	v_cmp_lt_i64_e64 s10, v[32:33], v[30:31]
	s_delay_alu instid0(VALU_DEP_3) | instskip(NEXT) | instid1(VALU_DEP_3)
	v_cndmask_b32_e64 v61, v34, v59, s9
	v_cndmask_b32_e64 v62, v60, v35, s9
                                        ; implicit-def: $vgpr34_vgpr35
	s_delay_alu instid0(VALU_DEP_2) | instskip(NEXT) | instid1(VALU_DEP_2)
	v_cmp_ge_i32_e64 s11, v61, v55
	v_cmp_lt_i32_e64 s12, v62, v56
	s_delay_alu instid0(VALU_DEP_2)
	s_or_b32 s10, s11, s10
	s_delay_alu instid0(VALU_DEP_1) | instid1(SALU_CYCLE_1)
	s_and_b32 s10, s12, s10
	s_delay_alu instid0(SALU_CYCLE_1) | instskip(NEXT) | instid1(SALU_CYCLE_1)
	s_xor_b32 s11, s10, -1
	s_and_saveexec_b32 s12, s11
	s_delay_alu instid0(SALU_CYCLE_1)
	s_xor_b32 s11, exec_lo, s12
	s_cbranch_execz .LBB167_188
; %bb.187:
	v_lshl_add_u32 v34, v61, 3, v53
	ds_load_b64 v[34:35], v34 offset:8
.LBB167_188:
	s_or_saveexec_b32 s11, s11
	v_dual_mov_b32 v37, v33 :: v_dual_mov_b32 v36, v32
	s_xor_b32 exec_lo, exec_lo, s11
	s_cbranch_execz .LBB167_190
; %bb.189:
	s_waitcnt lgkmcnt(0)
	v_lshl_add_u32 v34, v62, 3, v53
	ds_load_b64 v[36:37], v34 offset:8
	v_dual_mov_b32 v35, v31 :: v_dual_mov_b32 v34, v30
.LBB167_190:
	s_or_b32 exec_lo, exec_lo, s11
	v_add_nc_u32_e32 v38, 1, v61
	v_add_nc_u32_e32 v39, 1, v62
	s_waitcnt lgkmcnt(0)
	v_cmp_lt_i64_e64 s11, v[36:37], v[34:35]
	s_delay_alu instid0(VALU_DEP_3) | instskip(NEXT) | instid1(VALU_DEP_3)
	v_cndmask_b32_e64 v63, v38, v61, s10
	v_cndmask_b32_e64 v64, v62, v39, s10
                                        ; implicit-def: $vgpr38_vgpr39
	s_delay_alu instid0(VALU_DEP_2) | instskip(NEXT) | instid1(VALU_DEP_2)
	v_cmp_ge_i32_e64 s12, v63, v55
	v_cmp_lt_i32_e64 s13, v64, v56
	s_delay_alu instid0(VALU_DEP_2)
	s_or_b32 s11, s12, s11
	s_delay_alu instid0(VALU_DEP_1) | instid1(SALU_CYCLE_1)
	s_and_b32 s11, s13, s11
	s_delay_alu instid0(SALU_CYCLE_1) | instskip(NEXT) | instid1(SALU_CYCLE_1)
	s_xor_b32 s12, s11, -1
	s_and_saveexec_b32 s13, s12
	s_delay_alu instid0(SALU_CYCLE_1)
	s_xor_b32 s12, exec_lo, s13
	s_cbranch_execz .LBB167_192
; %bb.191:
	v_lshl_add_u32 v38, v63, 3, v53
	ds_load_b64 v[38:39], v38 offset:8
.LBB167_192:
	s_or_saveexec_b32 s12, s12
	v_dual_mov_b32 v41, v37 :: v_dual_mov_b32 v40, v36
	s_xor_b32 exec_lo, exec_lo, s12
	s_cbranch_execz .LBB167_194
; %bb.193:
	s_waitcnt lgkmcnt(0)
	v_lshl_add_u32 v38, v64, 3, v53
	ds_load_b64 v[40:41], v38 offset:8
	v_dual_mov_b32 v39, v35 :: v_dual_mov_b32 v38, v34
.LBB167_194:
	s_or_b32 exec_lo, exec_lo, s12
	v_add_nc_u32_e32 v42, 1, v63
	v_add_nc_u32_e32 v43, 1, v64
	s_waitcnt lgkmcnt(0)
	v_cmp_lt_i64_e64 s12, v[40:41], v[38:39]
	s_delay_alu instid0(VALU_DEP_3) | instskip(NEXT) | instid1(VALU_DEP_3)
	v_cndmask_b32_e64 v65, v42, v63, s11
	v_cndmask_b32_e64 v66, v64, v43, s11
                                        ; implicit-def: $vgpr42_vgpr43
	s_delay_alu instid0(VALU_DEP_2) | instskip(NEXT) | instid1(VALU_DEP_2)
	v_cmp_ge_i32_e64 s13, v65, v55
	v_cmp_lt_i32_e64 s14, v66, v56
	s_delay_alu instid0(VALU_DEP_2)
	s_or_b32 s12, s13, s12
	s_delay_alu instid0(VALU_DEP_1) | instid1(SALU_CYCLE_1)
	s_and_b32 s12, s14, s12
	s_delay_alu instid0(SALU_CYCLE_1) | instskip(NEXT) | instid1(SALU_CYCLE_1)
	s_xor_b32 s13, s12, -1
	s_and_saveexec_b32 s14, s13
	s_delay_alu instid0(SALU_CYCLE_1)
	s_xor_b32 s13, exec_lo, s14
	s_cbranch_execz .LBB167_196
; %bb.195:
	v_lshl_add_u32 v42, v65, 3, v53
	ds_load_b64 v[42:43], v42 offset:8
.LBB167_196:
	s_or_saveexec_b32 s13, s13
	v_dual_mov_b32 v45, v41 :: v_dual_mov_b32 v44, v40
	s_xor_b32 exec_lo, exec_lo, s13
	s_cbranch_execz .LBB167_198
; %bb.197:
	s_waitcnt lgkmcnt(0)
	v_lshl_add_u32 v42, v66, 3, v53
	ds_load_b64 v[44:45], v42 offset:8
	v_dual_mov_b32 v43, v39 :: v_dual_mov_b32 v42, v38
.LBB167_198:
	s_or_b32 exec_lo, exec_lo, s13
	v_add_nc_u32_e32 v46, 1, v65
	v_add_nc_u32_e32 v47, 1, v66
	s_waitcnt lgkmcnt(0)
	v_cmp_lt_i64_e64 s13, v[44:45], v[42:43]
                                        ; implicit-def: $vgpr69
	s_delay_alu instid0(VALU_DEP_3) | instskip(NEXT) | instid1(VALU_DEP_3)
	v_cndmask_b32_e64 v70, v46, v65, s12
	v_cndmask_b32_e64 v68, v66, v47, s12
                                        ; implicit-def: $vgpr46_vgpr47
	s_delay_alu instid0(VALU_DEP_2) | instskip(NEXT) | instid1(VALU_DEP_2)
	v_cmp_ge_i32_e64 s14, v70, v55
	v_cmp_lt_i32_e64 s15, v68, v56
	s_delay_alu instid0(VALU_DEP_2)
	s_or_b32 s13, s14, s13
	s_delay_alu instid0(VALU_DEP_1) | instid1(SALU_CYCLE_1)
	s_and_b32 s13, s15, s13
	s_delay_alu instid0(SALU_CYCLE_1) | instskip(NEXT) | instid1(SALU_CYCLE_1)
	s_xor_b32 s14, s13, -1
	s_and_saveexec_b32 s15, s14
	s_delay_alu instid0(SALU_CYCLE_1)
	s_xor_b32 s14, exec_lo, s15
	s_cbranch_execz .LBB167_200
; %bb.199:
	v_lshl_add_u32 v46, v70, 3, v53
	v_add_nc_u32_e32 v69, 1, v70
	ds_load_b64 v[46:47], v46 offset:8
.LBB167_200:
	s_or_saveexec_b32 s14, s14
	v_mov_b32_e32 v49, v45
	v_dual_mov_b32 v67, v70 :: v_dual_mov_b32 v48, v44
	s_xor_b32 exec_lo, exec_lo, s14
	s_cbranch_execz .LBB167_202
; %bb.201:
	s_waitcnt lgkmcnt(0)
	v_lshl_add_u32 v46, v68, 3, v53
	v_mov_b32_e32 v69, v70
	v_mov_b32_e32 v67, v68
	ds_load_b64 v[48:49], v46 offset:8
	v_add_nc_u32_e32 v46, 1, v68
	s_delay_alu instid0(VALU_DEP_1)
	v_dual_mov_b32 v68, v46 :: v_dual_mov_b32 v47, v43
	v_mov_b32_e32 v46, v42
.LBB167_202:
	s_or_b32 exec_lo, exec_lo, s14
	s_waitcnt lgkmcnt(0)
	s_delay_alu instid0(VALU_DEP_1)
	v_cmp_lt_i64_e64 s14, v[48:49], v[46:47]
	v_cmp_ge_i32_e64 s15, v69, v55
	v_cmp_lt_i32_e64 s16, v68, v56
	v_cndmask_b32_e64 v57, v57, v58, s8
	v_cndmask_b32_e64 v59, v59, v60, s9
	;; [unrolled: 1-line block ×3, first 2 shown]
	s_or_b32 s14, s15, s14
	v_cndmask_b32_e64 v55, v63, v64, s11
	s_and_b32 s14, s16, s14
	v_cndmask_b32_e64 v65, v65, v66, s12
	v_cndmask_b32_e64 v58, v69, v68, s14
	; wave barrier
	ds_store_2addr_b64 v54, v[14:15], v[16:17] offset1:1
	ds_store_2addr_b64 v54, v[6:7], v[10:11] offset0:2 offset1:3
	ds_store_2addr_b64 v54, v[8:9], v[12:13] offset0:4 offset1:5
	;; [unrolled: 1-line block ×3, first 2 shown]
	v_lshl_add_u32 v2, v57, 3, v53
	v_lshl_add_u32 v3, v59, 3, v53
	;; [unrolled: 1-line block ×5, first 2 shown]
	; wave barrier
	v_lshl_add_u32 v16, v67, 3, v53
	v_lshl_add_u32 v17, v58, 3, v53
	ds_load_b64 v[14:15], v2
	ds_load_b64 v[12:13], v3
	;; [unrolled: 1-line block ×7, first 2 shown]
	v_cndmask_b32_e64 v17, v23, v25, s7
	v_cndmask_b32_e64 v16, v22, v24, s7
	s_and_saveexec_b32 s15, s6
	s_cbranch_execz .LBB167_204
; %bb.203:
	v_cndmask_b32_e64 v22, v52, v51, s7
	s_delay_alu instid0(VALU_DEP_1) | instskip(SKIP_3) | instid1(VALU_DEP_1)
	v_lshl_add_u32 v22, v22, 3, v53
	ds_load_b64 v[22:23], v22
	s_waitcnt lgkmcnt(0)
	v_add_co_u32 v16, s7, v22, v16
	v_add_co_ci_u32_e64 v17, s7, v23, v17, s7
.LBB167_204:
	s_or_b32 exec_lo, exec_lo, s15
	v_add_co_u32 v0, s7, s18, v0
	s_delay_alu instid0(VALU_DEP_1) | instskip(NEXT) | instid1(VALU_DEP_2)
	v_add_co_ci_u32_e64 v1, s7, s19, v1, s7
	v_add_co_u32 v0, s7, v0, v50
	s_delay_alu instid0(VALU_DEP_1) | instskip(SKIP_1) | instid1(SALU_CYCLE_1)
	v_add_co_ci_u32_e64 v1, s7, 0, v1, s7
	s_and_saveexec_b32 s7, s6
	s_xor_b32 s6, exec_lo, s7
	s_cbranch_execnz .LBB167_213
; %bb.205:
	s_or_b32 exec_lo, exec_lo, s6
	s_and_saveexec_b32 s6, s5
	s_cbranch_execnz .LBB167_214
.LBB167_206:
	s_or_b32 exec_lo, exec_lo, s6
	s_and_saveexec_b32 s5, s4
	s_cbranch_execnz .LBB167_215
.LBB167_207:
	s_or_b32 exec_lo, exec_lo, s5
	s_and_saveexec_b32 s4, s3
	s_cbranch_execnz .LBB167_216
.LBB167_208:
	s_or_b32 exec_lo, exec_lo, s4
	s_and_saveexec_b32 s3, s2
	s_cbranch_execnz .LBB167_217
.LBB167_209:
	s_or_b32 exec_lo, exec_lo, s3
	s_and_saveexec_b32 s2, s1
	s_cbranch_execnz .LBB167_218
.LBB167_210:
	s_or_b32 exec_lo, exec_lo, s2
	s_and_saveexec_b32 s1, s0
	s_cbranch_execnz .LBB167_219
.LBB167_211:
	s_or_b32 exec_lo, exec_lo, s1
	s_and_saveexec_b32 s0, vcc_lo
	s_cbranch_execnz .LBB167_220
.LBB167_212:
	s_nop 0
	s_sendmsg sendmsg(MSG_DEALLOC_VGPRS)
	s_endpgm
.LBB167_213:
	global_store_b64 v[0:1], v[16:17], off
	s_or_b32 exec_lo, exec_lo, s6
	s_and_saveexec_b32 s6, s5
	s_cbranch_execz .LBB167_206
.LBB167_214:
	v_cndmask_b32_e64 v16, v18, v20, s8
	s_waitcnt lgkmcnt(6)
	v_cndmask_b32_e64 v14, 0, v14, s5
	v_cndmask_b32_e64 v17, v19, v21, s8
	;; [unrolled: 1-line block ×3, first 2 shown]
	s_delay_alu instid0(VALU_DEP_3) | instskip(NEXT) | instid1(VALU_DEP_1)
	v_add_co_u32 v14, s5, v14, v16
	v_add_co_ci_u32_e64 v15, s5, v15, v17, s5
	global_store_b64 v[0:1], v[14:15], off offset:8
	s_or_b32 exec_lo, exec_lo, s6
	s_and_saveexec_b32 s5, s4
	s_cbranch_execz .LBB167_207
.LBB167_215:
	s_waitcnt lgkmcnt(6)
	v_cndmask_b32_e64 v14, v26, v28, s9
	s_waitcnt lgkmcnt(5)
	v_cndmask_b32_e64 v12, 0, v12, s4
	v_cndmask_b32_e64 v15, v27, v29, s9
	;; [unrolled: 1-line block ×3, first 2 shown]
	s_delay_alu instid0(VALU_DEP_3) | instskip(NEXT) | instid1(VALU_DEP_1)
	v_add_co_u32 v12, s4, v12, v14
	v_add_co_ci_u32_e64 v13, s4, v13, v15, s4
	global_store_b64 v[0:1], v[12:13], off offset:16
	s_or_b32 exec_lo, exec_lo, s5
	s_and_saveexec_b32 s4, s3
	s_cbranch_execz .LBB167_208
.LBB167_216:
	s_waitcnt lgkmcnt(5)
	v_cndmask_b32_e64 v12, v30, v32, s10
	s_waitcnt lgkmcnt(4)
	v_cndmask_b32_e64 v10, 0, v10, s3
	v_cndmask_b32_e64 v13, v31, v33, s10
	;; [unrolled: 1-line block ×3, first 2 shown]
	s_delay_alu instid0(VALU_DEP_3) | instskip(NEXT) | instid1(VALU_DEP_1)
	v_add_co_u32 v10, s3, v10, v12
	v_add_co_ci_u32_e64 v11, s3, v11, v13, s3
	global_store_b64 v[0:1], v[10:11], off offset:24
	s_or_b32 exec_lo, exec_lo, s4
	s_and_saveexec_b32 s3, s2
	s_cbranch_execz .LBB167_209
.LBB167_217:
	s_waitcnt lgkmcnt(4)
	v_cndmask_b32_e64 v10, v34, v36, s11
	s_waitcnt lgkmcnt(3)
	v_cndmask_b32_e64 v8, 0, v8, s2
	v_cndmask_b32_e64 v11, v35, v37, s11
	;; [unrolled: 1-line block ×3, first 2 shown]
	s_delay_alu instid0(VALU_DEP_3) | instskip(NEXT) | instid1(VALU_DEP_1)
	v_add_co_u32 v8, s2, v8, v10
	v_add_co_ci_u32_e64 v9, s2, v9, v11, s2
	global_store_b64 v[0:1], v[8:9], off offset:32
	s_or_b32 exec_lo, exec_lo, s3
	s_and_saveexec_b32 s2, s1
	s_cbranch_execz .LBB167_210
.LBB167_218:
	s_waitcnt lgkmcnt(3)
	v_cndmask_b32_e64 v8, v38, v40, s12
	s_waitcnt lgkmcnt(2)
	v_cndmask_b32_e64 v6, 0, v6, s1
	v_cndmask_b32_e64 v9, v39, v41, s12
	;; [unrolled: 1-line block ×3, first 2 shown]
	s_delay_alu instid0(VALU_DEP_3) | instskip(NEXT) | instid1(VALU_DEP_1)
	v_add_co_u32 v6, s1, v6, v8
	v_add_co_ci_u32_e64 v7, s1, v7, v9, s1
	global_store_b64 v[0:1], v[6:7], off offset:40
	s_or_b32 exec_lo, exec_lo, s2
	s_and_saveexec_b32 s1, s0
	s_cbranch_execz .LBB167_211
.LBB167_219:
	s_waitcnt lgkmcnt(2)
	v_cndmask_b32_e64 v6, v42, v44, s13
	s_waitcnt lgkmcnt(1)
	v_cndmask_b32_e64 v4, 0, v4, s0
	v_cndmask_b32_e64 v7, v43, v45, s13
	;; [unrolled: 1-line block ×3, first 2 shown]
	s_delay_alu instid0(VALU_DEP_3) | instskip(NEXT) | instid1(VALU_DEP_1)
	v_add_co_u32 v4, s0, v4, v6
	v_add_co_ci_u32_e64 v5, s0, v5, v7, s0
	global_store_b64 v[0:1], v[4:5], off offset:48
	s_or_b32 exec_lo, exec_lo, s1
	s_and_saveexec_b32 s0, vcc_lo
	s_cbranch_execz .LBB167_212
.LBB167_220:
	s_waitcnt lgkmcnt(1)
	v_cndmask_b32_e64 v4, v46, v48, s14
	s_waitcnt lgkmcnt(0)
	v_dual_cndmask_b32 v2, 0, v2 :: v_dual_cndmask_b32 v3, 0, v3
	v_cndmask_b32_e64 v5, v47, v49, s14
	s_delay_alu instid0(VALU_DEP_2) | instskip(NEXT) | instid1(VALU_DEP_2)
	v_add_co_u32 v2, vcc_lo, v2, v4
	v_add_co_ci_u32_e32 v3, vcc_lo, v3, v5, vcc_lo
	global_store_b64 v[0:1], v[2:3], off offset:56
	s_nop 0
	s_sendmsg sendmsg(MSG_DEALLOC_VGPRS)
	s_endpgm
	.section	.rodata,"a",@progbits
	.p2align	6, 0x0
	.amdhsa_kernel _Z20sort_pairs_segmentedILj256ELj16ELj8ExN10test_utils4lessEEvPKT2_PS2_PKjT3_
		.amdhsa_group_segment_fixed_size 16512
		.amdhsa_private_segment_fixed_size 0
		.amdhsa_kernarg_size 28
		.amdhsa_user_sgpr_count 15
		.amdhsa_user_sgpr_dispatch_ptr 0
		.amdhsa_user_sgpr_queue_ptr 0
		.amdhsa_user_sgpr_kernarg_segment_ptr 1
		.amdhsa_user_sgpr_dispatch_id 0
		.amdhsa_user_sgpr_private_segment_size 0
		.amdhsa_wavefront_size32 1
		.amdhsa_uses_dynamic_stack 0
		.amdhsa_enable_private_segment 0
		.amdhsa_system_sgpr_workgroup_id_x 1
		.amdhsa_system_sgpr_workgroup_id_y 0
		.amdhsa_system_sgpr_workgroup_id_z 0
		.amdhsa_system_sgpr_workgroup_info 0
		.amdhsa_system_vgpr_workitem_id 0
		.amdhsa_next_free_vgpr 74
		.amdhsa_next_free_sgpr 20
		.amdhsa_reserve_vcc 1
		.amdhsa_float_round_mode_32 0
		.amdhsa_float_round_mode_16_64 0
		.amdhsa_float_denorm_mode_32 3
		.amdhsa_float_denorm_mode_16_64 3
		.amdhsa_dx10_clamp 1
		.amdhsa_ieee_mode 1
		.amdhsa_fp16_overflow 0
		.amdhsa_workgroup_processor_mode 1
		.amdhsa_memory_ordered 1
		.amdhsa_forward_progress 0
		.amdhsa_shared_vgpr_count 0
		.amdhsa_exception_fp_ieee_invalid_op 0
		.amdhsa_exception_fp_denorm_src 0
		.amdhsa_exception_fp_ieee_div_zero 0
		.amdhsa_exception_fp_ieee_overflow 0
		.amdhsa_exception_fp_ieee_underflow 0
		.amdhsa_exception_fp_ieee_inexact 0
		.amdhsa_exception_int_div_zero 0
	.end_amdhsa_kernel
	.section	.text._Z20sort_pairs_segmentedILj256ELj16ELj8ExN10test_utils4lessEEvPKT2_PS2_PKjT3_,"axG",@progbits,_Z20sort_pairs_segmentedILj256ELj16ELj8ExN10test_utils4lessEEvPKT2_PS2_PKjT3_,comdat
.Lfunc_end167:
	.size	_Z20sort_pairs_segmentedILj256ELj16ELj8ExN10test_utils4lessEEvPKT2_PS2_PKjT3_, .Lfunc_end167-_Z20sort_pairs_segmentedILj256ELj16ELj8ExN10test_utils4lessEEvPKT2_PS2_PKjT3_
                                        ; -- End function
	.section	.AMDGPU.csdata,"",@progbits
; Kernel info:
; codeLenInByte = 10760
; NumSgprs: 22
; NumVgprs: 74
; ScratchSize: 0
; MemoryBound: 0
; FloatMode: 240
; IeeeMode: 1
; LDSByteSize: 16512 bytes/workgroup (compile time only)
; SGPRBlocks: 2
; VGPRBlocks: 9
; NumSGPRsForWavesPerEU: 22
; NumVGPRsForWavesPerEU: 74
; Occupancy: 14
; WaveLimiterHint : 0
; COMPUTE_PGM_RSRC2:SCRATCH_EN: 0
; COMPUTE_PGM_RSRC2:USER_SGPR: 15
; COMPUTE_PGM_RSRC2:TRAP_HANDLER: 0
; COMPUTE_PGM_RSRC2:TGID_X_EN: 1
; COMPUTE_PGM_RSRC2:TGID_Y_EN: 0
; COMPUTE_PGM_RSRC2:TGID_Z_EN: 0
; COMPUTE_PGM_RSRC2:TIDIG_COMP_CNT: 0
	.section	.text._Z9sort_keysILj256ELj32ELj1ExN10test_utils4lessEEvPKT2_PS2_T3_,"axG",@progbits,_Z9sort_keysILj256ELj32ELj1ExN10test_utils4lessEEvPKT2_PS2_T3_,comdat
	.protected	_Z9sort_keysILj256ELj32ELj1ExN10test_utils4lessEEvPKT2_PS2_T3_ ; -- Begin function _Z9sort_keysILj256ELj32ELj1ExN10test_utils4lessEEvPKT2_PS2_T3_
	.globl	_Z9sort_keysILj256ELj32ELj1ExN10test_utils4lessEEvPKT2_PS2_T3_
	.p2align	8
	.type	_Z9sort_keysILj256ELj32ELj1ExN10test_utils4lessEEvPKT2_PS2_T3_,@function
_Z9sort_keysILj256ELj32ELj1ExN10test_utils4lessEEvPKT2_PS2_T3_: ; @_Z9sort_keysILj256ELj32ELj1ExN10test_utils4lessEEvPKT2_PS2_T3_
; %bb.0:
	s_load_b128 s[0:3], s[0:1], 0x0
	s_mov_b32 s7, 0
	s_lshl_b32 s6, s15, 8
	v_lshlrev_b32_e32 v1, 3, v0
	s_lshl_b64 s[4:5], s[6:7], 3
	v_mbcnt_lo_u32_b32 v2, -1, 0
	v_lshrrev_b32_e32 v7, 5, v0
	s_delay_alu instid0(VALU_DEP_2) | instskip(SKIP_2) | instid1(VALU_DEP_3)
	v_and_b32_e32 v8, 30, v2
	v_and_b32_e32 v5, 1, v2
	v_lshlrev_b32_e32 v3, 3, v2
	v_or_b32_e32 v6, 1, v8
	s_delay_alu instid0(VALU_DEP_3) | instskip(SKIP_2) | instid1(VALU_DEP_4)
	v_add_nc_u32_e32 v0, -1, v5
	v_lshlrev_b32_e32 v13, 3, v8
	v_cmp_lt_i32_e32 vcc_lo, 0, v5
	v_sub_nc_u32_e32 v4, v6, v8
	s_waitcnt lgkmcnt(0)
	s_add_u32 s0, s0, s4
	s_addc_u32 s1, s1, s5
	v_cndmask_b32_e32 v10, 0, v0, vcc_lo
	global_load_b64 v[11:12], v1, s[0:1]
	v_min_i32_e32 v9, v5, v4
	v_mul_u32_u24_e32 v0, 0x108, v7
	v_mad_u32_u24 v4, 0x108, v7, v3
	v_mad_u32_u24 v7, 0x108, v7, v13
	s_mov_b32 s0, exec_lo
	; wave barrier
	s_waitcnt vmcnt(0)
	ds_store_b64 v4, v[11:12]
	; wave barrier
	v_cmpx_lt_i32_e64 v10, v9
	s_cbranch_execz .LBB168_4
; %bb.1:
	v_lshlrev_b32_e32 v11, 3, v6
	v_lshlrev_b32_e32 v12, 3, v5
	s_delay_alu instid0(VALU_DEP_1)
	v_add3_u32 v11, v0, v11, v12
	.p2align	6
.LBB168_2:                              ; =>This Inner Loop Header: Depth=1
	v_sub_nc_u32_e32 v12, v9, v10
	s_delay_alu instid0(VALU_DEP_1) | instskip(NEXT) | instid1(VALU_DEP_1)
	v_lshrrev_b32_e32 v13, 31, v12
	v_add_nc_u32_e32 v12, v12, v13
	s_delay_alu instid0(VALU_DEP_1) | instskip(NEXT) | instid1(VALU_DEP_1)
	v_ashrrev_i32_e32 v12, 1, v12
	v_add_nc_u32_e32 v16, v12, v10
	s_delay_alu instid0(VALU_DEP_1) | instskip(SKIP_1) | instid1(VALU_DEP_2)
	v_not_b32_e32 v12, v16
	v_lshl_add_u32 v13, v16, 3, v7
	v_lshl_add_u32 v14, v12, 3, v11
	ds_load_b64 v[12:13], v13
	ds_load_b64 v[14:15], v14
	s_waitcnt lgkmcnt(0)
	v_cmp_lt_i64_e32 vcc_lo, v[14:15], v[12:13]
	v_add_nc_u32_e32 v12, 1, v16
	s_delay_alu instid0(VALU_DEP_1) | instskip(NEXT) | instid1(VALU_DEP_1)
	v_dual_cndmask_b32 v9, v9, v16 :: v_dual_cndmask_b32 v10, v12, v10
	v_cmp_ge_i32_e32 vcc_lo, v10, v9
	s_or_b32 s7, vcc_lo, s7
	s_delay_alu instid0(SALU_CYCLE_1)
	s_and_not1_b32 exec_lo, exec_lo, s7
	s_cbranch_execnz .LBB168_2
; %bb.3:
	s_or_b32 exec_lo, exec_lo, s7
.LBB168_4:
	s_delay_alu instid0(SALU_CYCLE_1) | instskip(SKIP_3) | instid1(VALU_DEP_2)
	s_or_b32 exec_lo, exec_lo, s0
	v_add_nc_u32_e32 v5, v6, v5
	v_and_b32_e32 v9, 28, v2
	s_mov_b32 s6, 0
	v_sub_nc_u32_e32 v11, v5, v10
	v_lshl_add_u32 v5, v10, 3, v7
	v_add_nc_u32_e32 v10, v10, v8
	s_delay_alu instid0(VALU_DEP_3) | instskip(SKIP_1) | instid1(VALU_DEP_3)
	v_lshl_add_u32 v7, v11, 3, v0
	v_cmp_ge_i32_e64 s1, v6, v11
	v_cmp_le_i32_e64 s0, v6, v10
	v_lshl_add_u32 v6, v9, 3, v0
	ds_load_b64 v[12:13], v5
	ds_load_b64 v[14:15], v7
	v_or_b32_e32 v7, 2, v9
	v_add_nc_u32_e32 v5, 4, v9
	v_and_b32_e32 v8, 3, v2
	; wave barrier
	s_delay_alu instid0(VALU_DEP_3) | instskip(NEXT) | instid1(VALU_DEP_3)
	v_sub_nc_u32_e32 v17, v7, v9
	v_sub_nc_u32_e32 v16, v5, v7
	s_delay_alu instid0(VALU_DEP_1)
	v_sub_nc_u32_e32 v18, v8, v16
	s_waitcnt lgkmcnt(0)
	v_cmp_lt_i64_e32 vcc_lo, v[14:15], v[12:13]
	s_or_b32 s0, s0, vcc_lo
	v_cmp_ge_i32_e32 vcc_lo, v8, v16
	v_cndmask_b32_e32 v11, 0, v18, vcc_lo
	s_and_b32 vcc_lo, s1, s0
	s_mov_b32 s0, exec_lo
	v_cndmask_b32_e32 v13, v13, v15, vcc_lo
	v_min_i32_e32 v10, v8, v17
	v_cndmask_b32_e32 v12, v12, v14, vcc_lo
	ds_store_b64 v4, v[12:13]
	; wave barrier
	v_cmpx_lt_i32_e64 v11, v10
	s_cbranch_execz .LBB168_8
; %bb.5:
	v_lshlrev_b32_e32 v12, 3, v7
	v_lshlrev_b32_e32 v13, 3, v8
	s_delay_alu instid0(VALU_DEP_1)
	v_add3_u32 v12, v0, v12, v13
	.p2align	6
.LBB168_6:                              ; =>This Inner Loop Header: Depth=1
	v_sub_nc_u32_e32 v13, v10, v11
	s_delay_alu instid0(VALU_DEP_1) | instskip(NEXT) | instid1(VALU_DEP_1)
	v_lshrrev_b32_e32 v14, 31, v13
	v_add_nc_u32_e32 v13, v13, v14
	s_delay_alu instid0(VALU_DEP_1) | instskip(NEXT) | instid1(VALU_DEP_1)
	v_ashrrev_i32_e32 v13, 1, v13
	v_add_nc_u32_e32 v17, v13, v11
	s_delay_alu instid0(VALU_DEP_1) | instskip(SKIP_1) | instid1(VALU_DEP_2)
	v_not_b32_e32 v13, v17
	v_lshl_add_u32 v14, v17, 3, v6
	v_lshl_add_u32 v15, v13, 3, v12
	ds_load_b64 v[13:14], v14
	ds_load_b64 v[15:16], v15
	s_waitcnt lgkmcnt(0)
	v_cmp_lt_i64_e32 vcc_lo, v[15:16], v[13:14]
	v_add_nc_u32_e32 v13, 1, v17
	s_delay_alu instid0(VALU_DEP_1) | instskip(NEXT) | instid1(VALU_DEP_1)
	v_dual_cndmask_b32 v10, v10, v17 :: v_dual_cndmask_b32 v11, v13, v11
	v_cmp_ge_i32_e32 vcc_lo, v11, v10
	s_or_b32 s6, vcc_lo, s6
	s_delay_alu instid0(SALU_CYCLE_1)
	s_and_not1_b32 exec_lo, exec_lo, s6
	s_cbranch_execnz .LBB168_6
; %bb.7:
	s_or_b32 exec_lo, exec_lo, s6
.LBB168_8:
	s_delay_alu instid0(SALU_CYCLE_1) | instskip(SKIP_3) | instid1(VALU_DEP_2)
	s_or_b32 exec_lo, exec_lo, s0
	v_add_nc_u32_e32 v8, v7, v8
	v_lshl_add_u32 v6, v11, 3, v6
	s_mov_b32 s6, 0
	v_sub_nc_u32_e32 v16, v8, v11
	s_delay_alu instid0(VALU_DEP_1)
	v_lshl_add_u32 v8, v16, 3, v0
	v_cmp_gt_i32_e64 s1, v5, v16
	ds_load_b64 v[12:13], v6
	ds_load_b64 v[14:15], v8
	v_and_b32_e32 v10, 24, v2
	v_add_nc_u32_e32 v11, v11, v9
	v_and_b32_e32 v9, 7, v2
	; wave barrier
	s_delay_alu instid0(VALU_DEP_3) | instskip(SKIP_1) | instid1(VALU_DEP_4)
	v_or_b32_e32 v8, 4, v10
	v_add_nc_u32_e32 v6, 8, v10
	v_cmp_le_i32_e64 s0, v7, v11
	s_delay_alu instid0(VALU_DEP_2) | instskip(NEXT) | instid1(VALU_DEP_1)
	v_sub_nc_u32_e32 v17, v6, v8
	v_sub_nc_u32_e32 v11, v9, v17
	s_waitcnt lgkmcnt(0)
	v_cmp_lt_i64_e32 vcc_lo, v[14:15], v[12:13]
	s_or_b32 s0, s0, vcc_lo
	v_cmp_ge_i32_e32 vcc_lo, v9, v17
	v_cndmask_b32_e32 v11, 0, v11, vcc_lo
	s_and_b32 vcc_lo, s1, s0
	s_mov_b32 s0, exec_lo
	v_dual_cndmask_b32 v12, v12, v14 :: v_dual_cndmask_b32 v13, v13, v15
	v_sub_nc_u32_e32 v18, v8, v10
	v_lshl_add_u32 v5, v10, 3, v0
	ds_store_b64 v4, v[12:13]
	v_min_i32_e32 v7, v9, v18
	; wave barrier
	s_delay_alu instid0(VALU_DEP_1)
	v_cmpx_lt_i32_e64 v11, v7
	s_cbranch_execz .LBB168_12
; %bb.9:
	v_lshlrev_b32_e32 v12, 3, v8
	v_lshlrev_b32_e32 v13, 3, v9
	s_delay_alu instid0(VALU_DEP_1)
	v_add3_u32 v12, v0, v12, v13
	.p2align	6
.LBB168_10:                             ; =>This Inner Loop Header: Depth=1
	v_sub_nc_u32_e32 v13, v7, v11
	s_delay_alu instid0(VALU_DEP_1) | instskip(NEXT) | instid1(VALU_DEP_1)
	v_lshrrev_b32_e32 v14, 31, v13
	v_add_nc_u32_e32 v13, v13, v14
	s_delay_alu instid0(VALU_DEP_1) | instskip(NEXT) | instid1(VALU_DEP_1)
	v_ashrrev_i32_e32 v13, 1, v13
	v_add_nc_u32_e32 v17, v13, v11
	s_delay_alu instid0(VALU_DEP_1) | instskip(SKIP_1) | instid1(VALU_DEP_2)
	v_not_b32_e32 v13, v17
	v_lshl_add_u32 v14, v17, 3, v5
	v_lshl_add_u32 v15, v13, 3, v12
	ds_load_b64 v[13:14], v14
	ds_load_b64 v[15:16], v15
	s_waitcnt lgkmcnt(0)
	v_cmp_lt_i64_e32 vcc_lo, v[15:16], v[13:14]
	v_add_nc_u32_e32 v13, 1, v17
	v_cndmask_b32_e32 v7, v7, v17, vcc_lo
	s_delay_alu instid0(VALU_DEP_2) | instskip(NEXT) | instid1(VALU_DEP_1)
	v_cndmask_b32_e32 v11, v13, v11, vcc_lo
	v_cmp_ge_i32_e32 vcc_lo, v11, v7
	s_or_b32 s6, vcc_lo, s6
	s_delay_alu instid0(SALU_CYCLE_1)
	s_and_not1_b32 exec_lo, exec_lo, s6
	s_cbranch_execnz .LBB168_10
; %bb.11:
	s_or_b32 exec_lo, exec_lo, s6
.LBB168_12:
	s_delay_alu instid0(SALU_CYCLE_1) | instskip(SKIP_4) | instid1(VALU_DEP_3)
	s_or_b32 exec_lo, exec_lo, s0
	v_add_nc_u32_e32 v7, v8, v9
	v_lshl_add_u32 v5, v11, 3, v5
	v_and_b32_e32 v9, 16, v2
	s_mov_b32 s6, 0
	v_sub_nc_u32_e32 v16, v7, v11
	v_add_nc_u32_e32 v11, v11, v10
	s_delay_alu instid0(VALU_DEP_2) | instskip(NEXT) | instid1(VALU_DEP_2)
	v_lshl_add_u32 v7, v16, 3, v0
	v_cmp_le_i32_e64 s0, v8, v11
	v_cmp_gt_i32_e64 s1, v6, v16
	ds_load_b64 v[12:13], v5
	ds_load_b64 v[14:15], v7
	v_or_b32_e32 v7, 8, v9
	v_add_nc_u32_e32 v5, 16, v9
	v_and_b32_e32 v10, 15, v2
	; wave barrier
	s_delay_alu instid0(VALU_DEP_3) | instskip(NEXT) | instid1(VALU_DEP_3)
	v_sub_nc_u32_e32 v18, v7, v9
	v_sub_nc_u32_e32 v17, v5, v7
	s_delay_alu instid0(VALU_DEP_1)
	v_sub_nc_u32_e32 v8, v10, v17
	s_waitcnt lgkmcnt(0)
	v_cmp_lt_i64_e32 vcc_lo, v[14:15], v[12:13]
	s_or_b32 s0, s0, vcc_lo
	v_cmp_ge_i32_e32 vcc_lo, v10, v17
	v_cndmask_b32_e32 v6, 0, v8, vcc_lo
	s_and_b32 vcc_lo, s1, s0
	v_lshl_add_u32 v8, v9, 3, v0
	v_cndmask_b32_e32 v13, v13, v15, vcc_lo
	v_min_i32_e32 v11, v10, v18
	v_cndmask_b32_e32 v12, v12, v14, vcc_lo
	s_mov_b32 s0, exec_lo
	ds_store_b64 v4, v[12:13]
	; wave barrier
	v_cmpx_lt_i32_e64 v6, v11
	s_cbranch_execz .LBB168_16
; %bb.13:
	v_lshlrev_b32_e32 v12, 3, v7
	v_lshlrev_b32_e32 v13, 3, v10
	s_delay_alu instid0(VALU_DEP_1)
	v_add3_u32 v12, v0, v12, v13
	.p2align	6
.LBB168_14:                             ; =>This Inner Loop Header: Depth=1
	v_sub_nc_u32_e32 v13, v11, v6
	s_delay_alu instid0(VALU_DEP_1) | instskip(NEXT) | instid1(VALU_DEP_1)
	v_lshrrev_b32_e32 v14, 31, v13
	v_add_nc_u32_e32 v13, v13, v14
	s_delay_alu instid0(VALU_DEP_1) | instskip(NEXT) | instid1(VALU_DEP_1)
	v_ashrrev_i32_e32 v13, 1, v13
	v_add_nc_u32_e32 v17, v13, v6
	s_delay_alu instid0(VALU_DEP_1) | instskip(SKIP_1) | instid1(VALU_DEP_2)
	v_not_b32_e32 v13, v17
	v_lshl_add_u32 v14, v17, 3, v8
	v_lshl_add_u32 v15, v13, 3, v12
	ds_load_b64 v[13:14], v14
	ds_load_b64 v[15:16], v15
	s_waitcnt lgkmcnt(0)
	v_cmp_lt_i64_e32 vcc_lo, v[15:16], v[13:14]
	v_add_nc_u32_e32 v13, 1, v17
	s_delay_alu instid0(VALU_DEP_1) | instskip(NEXT) | instid1(VALU_DEP_1)
	v_dual_cndmask_b32 v11, v11, v17 :: v_dual_cndmask_b32 v6, v13, v6
	v_cmp_ge_i32_e32 vcc_lo, v6, v11
	s_or_b32 s6, vcc_lo, s6
	s_delay_alu instid0(SALU_CYCLE_1)
	s_and_not1_b32 exec_lo, exec_lo, s6
	s_cbranch_execnz .LBB168_14
; %bb.15:
	s_or_b32 exec_lo, exec_lo, s6
.LBB168_16:
	s_delay_alu instid0(SALU_CYCLE_1) | instskip(SKIP_2) | instid1(VALU_DEP_2)
	s_or_b32 exec_lo, exec_lo, s0
	v_add_nc_u32_e32 v10, v7, v10
	v_lshl_add_u32 v8, v6, 3, v8
	v_sub_nc_u32_e32 v14, v10, v6
	v_add_nc_u32_e32 v6, v6, v9
	s_delay_alu instid0(VALU_DEP_2) | instskip(NEXT) | instid1(VALU_DEP_2)
	v_lshl_add_u32 v12, v14, 3, v0
	v_cmp_le_i32_e64 s0, v7, v6
	v_cmp_gt_i32_e64 s1, v5, v14
	v_min_i32_e32 v6, 16, v2
	ds_load_b64 v[10:11], v8
	ds_load_b64 v[12:13], v12
	v_add_nc_u32_e32 v7, -16, v2
	; wave barrier
	s_waitcnt lgkmcnt(0)
	v_cmp_lt_i64_e32 vcc_lo, v[12:13], v[10:11]
	s_or_b32 s0, s0, vcc_lo
	v_cmp_lt_i32_e32 vcc_lo, 15, v2
	v_cndmask_b32_e32 v5, 0, v7, vcc_lo
	s_and_b32 vcc_lo, s1, s0
	s_mov_b32 s0, exec_lo
	v_dual_cndmask_b32 v8, v11, v13 :: v_dual_cndmask_b32 v7, v10, v12
	ds_store_b64 v4, v[7:8]
	; wave barrier
	v_cmpx_lt_i32_e64 v5, v6
	s_cbranch_execz .LBB168_20
; %bb.17:
	v_add3_u32 v3, 0x80, v0, v3
	s_mov_b32 s1, 0
	.p2align	6
.LBB168_18:                             ; =>This Inner Loop Header: Depth=1
	v_sub_nc_u32_e32 v4, v6, v5
	s_delay_alu instid0(VALU_DEP_1) | instskip(NEXT) | instid1(VALU_DEP_1)
	v_lshrrev_b32_e32 v7, 31, v4
	v_add_nc_u32_e32 v4, v4, v7
	s_delay_alu instid0(VALU_DEP_1) | instskip(NEXT) | instid1(VALU_DEP_1)
	v_ashrrev_i32_e32 v4, 1, v4
	v_add_nc_u32_e32 v4, v4, v5
	s_delay_alu instid0(VALU_DEP_1) | instskip(SKIP_1) | instid1(VALU_DEP_2)
	v_not_b32_e32 v7, v4
	v_lshl_add_u32 v8, v4, 3, v0
	v_lshl_add_u32 v9, v7, 3, v3
	ds_load_b64 v[7:8], v8
	ds_load_b64 v[9:10], v9
	s_waitcnt lgkmcnt(0)
	v_cmp_lt_i64_e32 vcc_lo, v[9:10], v[7:8]
	v_add_nc_u32_e32 v7, 1, v4
	s_delay_alu instid0(VALU_DEP_1) | instskip(NEXT) | instid1(VALU_DEP_1)
	v_dual_cndmask_b32 v5, v7, v5 :: v_dual_cndmask_b32 v6, v6, v4
	v_cmp_ge_i32_e32 vcc_lo, v5, v6
	s_or_b32 s1, vcc_lo, s1
	s_delay_alu instid0(SALU_CYCLE_1)
	s_and_not1_b32 exec_lo, exec_lo, s1
	s_cbranch_execnz .LBB168_18
; %bb.19:
	s_or_b32 exec_lo, exec_lo, s1
.LBB168_20:
	s_delay_alu instid0(SALU_CYCLE_1) | instskip(SKIP_2) | instid1(VALU_DEP_2)
	s_or_b32 exec_lo, exec_lo, s0
	v_add_nc_u32_e32 v2, 16, v2
	v_cmp_le_i32_e64 s0, 16, v5
	v_sub_nc_u32_e32 v4, v2, v5
	v_lshl_add_u32 v2, v5, 3, v0
	s_delay_alu instid0(VALU_DEP_2)
	v_lshl_add_u32 v0, v4, 3, v0
	v_cmp_gt_i32_e64 s1, 32, v4
	ds_load_b64 v[2:3], v2
	ds_load_b64 v[6:7], v0
	s_waitcnt lgkmcnt(0)
	v_cmp_lt_i64_e32 vcc_lo, v[6:7], v[2:3]
	s_or_b32 s0, s0, vcc_lo
	s_delay_alu instid0(SALU_CYCLE_1)
	s_and_b32 vcc_lo, s1, s0
	s_add_u32 s0, s2, s4
	v_dual_cndmask_b32 v3, v3, v7 :: v_dual_cndmask_b32 v2, v2, v6
	s_addc_u32 s1, s3, s5
	global_store_b64 v1, v[2:3], s[0:1]
	s_nop 0
	s_sendmsg sendmsg(MSG_DEALLOC_VGPRS)
	s_endpgm
	.section	.rodata,"a",@progbits
	.p2align	6, 0x0
	.amdhsa_kernel _Z9sort_keysILj256ELj32ELj1ExN10test_utils4lessEEvPKT2_PS2_T3_
		.amdhsa_group_segment_fixed_size 2112
		.amdhsa_private_segment_fixed_size 0
		.amdhsa_kernarg_size 20
		.amdhsa_user_sgpr_count 15
		.amdhsa_user_sgpr_dispatch_ptr 0
		.amdhsa_user_sgpr_queue_ptr 0
		.amdhsa_user_sgpr_kernarg_segment_ptr 1
		.amdhsa_user_sgpr_dispatch_id 0
		.amdhsa_user_sgpr_private_segment_size 0
		.amdhsa_wavefront_size32 1
		.amdhsa_uses_dynamic_stack 0
		.amdhsa_enable_private_segment 0
		.amdhsa_system_sgpr_workgroup_id_x 1
		.amdhsa_system_sgpr_workgroup_id_y 0
		.amdhsa_system_sgpr_workgroup_id_z 0
		.amdhsa_system_sgpr_workgroup_info 0
		.amdhsa_system_vgpr_workitem_id 0
		.amdhsa_next_free_vgpr 19
		.amdhsa_next_free_sgpr 16
		.amdhsa_reserve_vcc 1
		.amdhsa_float_round_mode_32 0
		.amdhsa_float_round_mode_16_64 0
		.amdhsa_float_denorm_mode_32 3
		.amdhsa_float_denorm_mode_16_64 3
		.amdhsa_dx10_clamp 1
		.amdhsa_ieee_mode 1
		.amdhsa_fp16_overflow 0
		.amdhsa_workgroup_processor_mode 1
		.amdhsa_memory_ordered 1
		.amdhsa_forward_progress 0
		.amdhsa_shared_vgpr_count 0
		.amdhsa_exception_fp_ieee_invalid_op 0
		.amdhsa_exception_fp_denorm_src 0
		.amdhsa_exception_fp_ieee_div_zero 0
		.amdhsa_exception_fp_ieee_overflow 0
		.amdhsa_exception_fp_ieee_underflow 0
		.amdhsa_exception_fp_ieee_inexact 0
		.amdhsa_exception_int_div_zero 0
	.end_amdhsa_kernel
	.section	.text._Z9sort_keysILj256ELj32ELj1ExN10test_utils4lessEEvPKT2_PS2_T3_,"axG",@progbits,_Z9sort_keysILj256ELj32ELj1ExN10test_utils4lessEEvPKT2_PS2_T3_,comdat
.Lfunc_end168:
	.size	_Z9sort_keysILj256ELj32ELj1ExN10test_utils4lessEEvPKT2_PS2_T3_, .Lfunc_end168-_Z9sort_keysILj256ELj32ELj1ExN10test_utils4lessEEvPKT2_PS2_T3_
                                        ; -- End function
	.section	.AMDGPU.csdata,"",@progbits
; Kernel info:
; codeLenInByte = 1644
; NumSgprs: 18
; NumVgprs: 19
; ScratchSize: 0
; MemoryBound: 0
; FloatMode: 240
; IeeeMode: 1
; LDSByteSize: 2112 bytes/workgroup (compile time only)
; SGPRBlocks: 2
; VGPRBlocks: 2
; NumSGPRsForWavesPerEU: 18
; NumVGPRsForWavesPerEU: 19
; Occupancy: 16
; WaveLimiterHint : 0
; COMPUTE_PGM_RSRC2:SCRATCH_EN: 0
; COMPUTE_PGM_RSRC2:USER_SGPR: 15
; COMPUTE_PGM_RSRC2:TRAP_HANDLER: 0
; COMPUTE_PGM_RSRC2:TGID_X_EN: 1
; COMPUTE_PGM_RSRC2:TGID_Y_EN: 0
; COMPUTE_PGM_RSRC2:TGID_Z_EN: 0
; COMPUTE_PGM_RSRC2:TIDIG_COMP_CNT: 0
	.section	.text._Z10sort_pairsILj256ELj32ELj1ExN10test_utils4lessEEvPKT2_PS2_T3_,"axG",@progbits,_Z10sort_pairsILj256ELj32ELj1ExN10test_utils4lessEEvPKT2_PS2_T3_,comdat
	.protected	_Z10sort_pairsILj256ELj32ELj1ExN10test_utils4lessEEvPKT2_PS2_T3_ ; -- Begin function _Z10sort_pairsILj256ELj32ELj1ExN10test_utils4lessEEvPKT2_PS2_T3_
	.globl	_Z10sort_pairsILj256ELj32ELj1ExN10test_utils4lessEEvPKT2_PS2_T3_
	.p2align	8
	.type	_Z10sort_pairsILj256ELj32ELj1ExN10test_utils4lessEEvPKT2_PS2_T3_,@function
_Z10sort_pairsILj256ELj32ELj1ExN10test_utils4lessEEvPKT2_PS2_T3_: ; @_Z10sort_pairsILj256ELj32ELj1ExN10test_utils4lessEEvPKT2_PS2_T3_
; %bb.0:
	s_load_b128 s[4:7], s[0:1], 0x0
	s_mov_b32 s1, 0
	s_lshl_b32 s0, s15, 8
	v_lshlrev_b32_e32 v3, 3, v0
	s_lshl_b64 s[8:9], s[0:1], 3
	v_mbcnt_lo_u32_b32 v6, -1, 0
	v_lshrrev_b32_e32 v11, 5, v0
	s_mov_b32 s0, exec_lo
	s_delay_alu instid0(VALU_DEP_2) | instskip(SKIP_1) | instid1(VALU_DEP_3)
	v_and_b32_e32 v10, 1, v6
	v_lshlrev_b32_e32 v7, 3, v6
	v_mul_u32_u24_e32 v5, 0x108, v11
	s_delay_alu instid0(VALU_DEP_3)
	v_add_nc_u32_e32 v0, -1, v10
	v_cmp_lt_i32_e32 vcc_lo, 0, v10
	v_and_b32_e32 v9, 30, v6
	s_waitcnt lgkmcnt(0)
	s_add_u32 s2, s4, s8
	v_cndmask_b32_e32 v0, 0, v0, vcc_lo
	s_addc_u32 s3, s5, s9
	v_or_b32_e32 v8, 1, v9
	global_load_b64 v[1:2], v3, s[2:3]
	v_lshlrev_b32_e32 v13, 3, v9
	; wave barrier
	v_sub_nc_u32_e32 v4, v8, v9
	s_delay_alu instid0(VALU_DEP_1) | instskip(SKIP_1) | instid1(VALU_DEP_4)
	v_min_i32_e32 v12, v10, v4
	v_mad_u32_u24 v4, 0x108, v11, v7
	v_mad_u32_u24 v11, 0x108, v11, v13
	s_waitcnt vmcnt(0)
	ds_store_b64 v4, v[1:2]
	; wave barrier
	v_cmpx_lt_i32_e64 v0, v12
	s_cbranch_execz .LBB169_4
; %bb.1:
	v_lshlrev_b32_e32 v13, 3, v8
	v_lshlrev_b32_e32 v14, 3, v10
	s_delay_alu instid0(VALU_DEP_1)
	v_add3_u32 v13, v5, v13, v14
	.p2align	6
.LBB169_2:                              ; =>This Inner Loop Header: Depth=1
	v_sub_nc_u32_e32 v14, v12, v0
	s_delay_alu instid0(VALU_DEP_1) | instskip(NEXT) | instid1(VALU_DEP_1)
	v_lshrrev_b32_e32 v15, 31, v14
	v_add_nc_u32_e32 v14, v14, v15
	s_delay_alu instid0(VALU_DEP_1) | instskip(NEXT) | instid1(VALU_DEP_1)
	v_ashrrev_i32_e32 v14, 1, v14
	v_add_nc_u32_e32 v18, v14, v0
	s_delay_alu instid0(VALU_DEP_1) | instskip(SKIP_1) | instid1(VALU_DEP_2)
	v_not_b32_e32 v14, v18
	v_lshl_add_u32 v15, v18, 3, v11
	v_lshl_add_u32 v16, v14, 3, v13
	ds_load_b64 v[14:15], v15
	ds_load_b64 v[16:17], v16
	s_waitcnt lgkmcnt(0)
	v_cmp_lt_i64_e32 vcc_lo, v[16:17], v[14:15]
	v_add_nc_u32_e32 v14, 1, v18
	v_cndmask_b32_e32 v12, v12, v18, vcc_lo
	s_delay_alu instid0(VALU_DEP_2) | instskip(NEXT) | instid1(VALU_DEP_1)
	v_cndmask_b32_e32 v0, v14, v0, vcc_lo
	v_cmp_ge_i32_e32 vcc_lo, v0, v12
	s_or_b32 s1, vcc_lo, s1
	s_delay_alu instid0(SALU_CYCLE_1)
	s_and_not1_b32 exec_lo, exec_lo, s1
	s_cbranch_execnz .LBB169_2
; %bb.3:
	s_or_b32 exec_lo, exec_lo, s1
.LBB169_4:
	s_delay_alu instid0(SALU_CYCLE_1) | instskip(SKIP_3) | instid1(VALU_DEP_3)
	s_or_b32 exec_lo, exec_lo, s0
	v_add_nc_u32_e32 v10, v8, v10
	v_lshl_add_u32 v11, v0, 3, v11
	v_add_nc_u32_e32 v9, v0, v9
	v_sub_nc_u32_e32 v10, v10, v0
	v_add_co_u32 v0, s2, v1, 1
	s_delay_alu instid0(VALU_DEP_3) | instskip(SKIP_1) | instid1(VALU_DEP_4)
	v_cmp_le_i32_e32 vcc_lo, v8, v9
	v_add_co_ci_u32_e64 v1, s2, 0, v2, s2
	v_lshl_add_u32 v14, v10, 3, v5
	v_cmp_ge_i32_e64 s1, v8, v10
	v_and_b32_e32 v2, 28, v6
	ds_load_b64 v[12:13], v11
	ds_load_b64 v[14:15], v14
	; wave barrier
	ds_store_b64 v4, v[0:1]
	v_or_b32_e32 v8, 2, v2
	; wave barrier
	s_delay_alu instid0(VALU_DEP_1) | instskip(SKIP_2) | instid1(VALU_DEP_1)
	v_sub_nc_u32_e32 v16, v8, v2
	s_waitcnt lgkmcnt(1)
	v_cmp_lt_i64_e64 s0, v[14:15], v[12:13]
	s_or_b32 s0, vcc_lo, s0
	s_delay_alu instid0(SALU_CYCLE_1)
	s_and_b32 vcc_lo, s1, s0
	s_mov_b32 s1, 0
	v_cndmask_b32_e32 v15, v13, v15, vcc_lo
	v_cndmask_b32_e32 v10, v9, v10, vcc_lo
	v_add_nc_u32_e32 v9, 4, v2
	v_cndmask_b32_e32 v14, v12, v14, vcc_lo
	v_lshl_add_u32 v12, v2, 3, v5
	s_delay_alu instid0(VALU_DEP_4)
	v_lshl_add_u32 v0, v10, 3, v5
	v_and_b32_e32 v10, 3, v6
	v_sub_nc_u32_e32 v11, v9, v8
	ds_load_b64 v[0:1], v0
	v_sub_nc_u32_e32 v13, v10, v11
	v_cmp_ge_i32_e64 s0, v10, v11
	; wave barrier
	ds_store_b64 v4, v[14:15]
	; wave barrier
	v_cndmask_b32_e64 v11, 0, v13, s0
	v_min_i32_e32 v13, v10, v16
	s_mov_b32 s0, exec_lo
	s_delay_alu instid0(VALU_DEP_1)
	v_cmpx_lt_i32_e64 v11, v13
	s_cbranch_execz .LBB169_8
; %bb.5:
	v_lshlrev_b32_e32 v14, 3, v8
	v_lshlrev_b32_e32 v15, 3, v10
	s_delay_alu instid0(VALU_DEP_1)
	v_add3_u32 v14, v5, v14, v15
	.p2align	6
.LBB169_6:                              ; =>This Inner Loop Header: Depth=1
	v_sub_nc_u32_e32 v15, v13, v11
	s_delay_alu instid0(VALU_DEP_1) | instskip(NEXT) | instid1(VALU_DEP_1)
	v_lshrrev_b32_e32 v16, 31, v15
	v_add_nc_u32_e32 v15, v15, v16
	s_delay_alu instid0(VALU_DEP_1) | instskip(NEXT) | instid1(VALU_DEP_1)
	v_ashrrev_i32_e32 v15, 1, v15
	v_add_nc_u32_e32 v19, v15, v11
	s_delay_alu instid0(VALU_DEP_1) | instskip(SKIP_1) | instid1(VALU_DEP_2)
	v_not_b32_e32 v15, v19
	v_lshl_add_u32 v16, v19, 3, v12
	v_lshl_add_u32 v17, v15, 3, v14
	ds_load_b64 v[15:16], v16
	ds_load_b64 v[17:18], v17
	s_waitcnt lgkmcnt(0)
	v_cmp_lt_i64_e32 vcc_lo, v[17:18], v[15:16]
	v_add_nc_u32_e32 v15, 1, v19
	v_cndmask_b32_e32 v13, v13, v19, vcc_lo
	s_delay_alu instid0(VALU_DEP_2) | instskip(NEXT) | instid1(VALU_DEP_1)
	v_cndmask_b32_e32 v11, v15, v11, vcc_lo
	v_cmp_ge_i32_e32 vcc_lo, v11, v13
	s_or_b32 s1, vcc_lo, s1
	s_delay_alu instid0(SALU_CYCLE_1)
	s_and_not1_b32 exec_lo, exec_lo, s1
	s_cbranch_execnz .LBB169_6
; %bb.7:
	s_or_b32 exec_lo, exec_lo, s1
.LBB169_8:
	s_delay_alu instid0(SALU_CYCLE_1) | instskip(SKIP_2) | instid1(VALU_DEP_2)
	s_or_b32 exec_lo, exec_lo, s0
	v_add_nc_u32_e32 v10, v8, v10
	v_lshl_add_u32 v12, v11, 3, v12
	v_sub_nc_u32_e32 v10, v10, v11
	v_add_nc_u32_e32 v11, v11, v2
	v_and_b32_e32 v2, 24, v6
	s_delay_alu instid0(VALU_DEP_3) | instskip(NEXT) | instid1(VALU_DEP_3)
	v_lshl_add_u32 v14, v10, 3, v5
	v_cmp_le_i32_e64 s0, v8, v11
	v_cmp_gt_i32_e64 s1, v9, v10
	s_delay_alu instid0(VALU_DEP_4)
	v_or_b32_e32 v8, 4, v2
	ds_load_b64 v[12:13], v12
	ds_load_b64 v[14:15], v14
	; wave barrier
	s_waitcnt lgkmcnt(3)
	ds_store_b64 v4, v[0:1]
	v_add_nc_u32_e32 v9, 8, v2
	; wave barrier
	v_sub_nc_u32_e32 v16, v8, v2
	s_waitcnt lgkmcnt(1)
	v_cmp_lt_i64_e32 vcc_lo, v[14:15], v[12:13]
	s_or_b32 s0, s0, vcc_lo
	s_delay_alu instid0(SALU_CYCLE_1)
	s_and_b32 vcc_lo, s1, s0
	s_mov_b32 s1, 0
	v_dual_cndmask_b32 v15, v13, v15 :: v_dual_cndmask_b32 v10, v11, v10
	v_sub_nc_u32_e32 v11, v9, v8
	v_cndmask_b32_e32 v14, v12, v14, vcc_lo
	v_lshl_add_u32 v12, v2, 3, v5
	s_delay_alu instid0(VALU_DEP_4)
	v_lshl_add_u32 v0, v10, 3, v5
	v_and_b32_e32 v10, 7, v6
	ds_load_b64 v[0:1], v0
	v_sub_nc_u32_e32 v13, v10, v11
	v_cmp_ge_i32_e64 s0, v10, v11
	; wave barrier
	ds_store_b64 v4, v[14:15]
	v_cndmask_b32_e64 v11, 0, v13, s0
	v_min_i32_e32 v13, v10, v16
	s_mov_b32 s0, exec_lo
	; wave barrier
	s_delay_alu instid0(VALU_DEP_1)
	v_cmpx_lt_i32_e64 v11, v13
	s_cbranch_execz .LBB169_12
; %bb.9:
	v_lshlrev_b32_e32 v14, 3, v8
	v_lshlrev_b32_e32 v15, 3, v10
	s_delay_alu instid0(VALU_DEP_1)
	v_add3_u32 v14, v5, v14, v15
	.p2align	6
.LBB169_10:                             ; =>This Inner Loop Header: Depth=1
	v_sub_nc_u32_e32 v15, v13, v11
	s_delay_alu instid0(VALU_DEP_1) | instskip(NEXT) | instid1(VALU_DEP_1)
	v_lshrrev_b32_e32 v16, 31, v15
	v_add_nc_u32_e32 v15, v15, v16
	s_delay_alu instid0(VALU_DEP_1) | instskip(NEXT) | instid1(VALU_DEP_1)
	v_ashrrev_i32_e32 v15, 1, v15
	v_add_nc_u32_e32 v19, v15, v11
	s_delay_alu instid0(VALU_DEP_1) | instskip(SKIP_1) | instid1(VALU_DEP_2)
	v_not_b32_e32 v15, v19
	v_lshl_add_u32 v16, v19, 3, v12
	v_lshl_add_u32 v17, v15, 3, v14
	ds_load_b64 v[15:16], v16
	ds_load_b64 v[17:18], v17
	s_waitcnt lgkmcnt(0)
	v_cmp_lt_i64_e32 vcc_lo, v[17:18], v[15:16]
	v_add_nc_u32_e32 v15, 1, v19
	v_cndmask_b32_e32 v13, v13, v19, vcc_lo
	s_delay_alu instid0(VALU_DEP_2) | instskip(NEXT) | instid1(VALU_DEP_1)
	v_cndmask_b32_e32 v11, v15, v11, vcc_lo
	v_cmp_ge_i32_e32 vcc_lo, v11, v13
	s_or_b32 s1, vcc_lo, s1
	s_delay_alu instid0(SALU_CYCLE_1)
	s_and_not1_b32 exec_lo, exec_lo, s1
	s_cbranch_execnz .LBB169_10
; %bb.11:
	s_or_b32 exec_lo, exec_lo, s1
.LBB169_12:
	s_delay_alu instid0(SALU_CYCLE_1) | instskip(SKIP_2) | instid1(VALU_DEP_2)
	s_or_b32 exec_lo, exec_lo, s0
	v_add_nc_u32_e32 v10, v8, v10
	v_lshl_add_u32 v12, v11, 3, v12
	v_sub_nc_u32_e32 v10, v10, v11
	v_add_nc_u32_e32 v11, v11, v2
	v_and_b32_e32 v2, 16, v6
	s_delay_alu instid0(VALU_DEP_3) | instskip(NEXT) | instid1(VALU_DEP_3)
	v_lshl_add_u32 v14, v10, 3, v5
	v_cmp_le_i32_e64 s0, v8, v11
	v_cmp_gt_i32_e64 s1, v9, v10
	s_delay_alu instid0(VALU_DEP_4)
	v_or_b32_e32 v8, 8, v2
	ds_load_b64 v[12:13], v12
	ds_load_b64 v[14:15], v14
	; wave barrier
	s_waitcnt lgkmcnt(3)
	ds_store_b64 v4, v[0:1]
	v_add_nc_u32_e32 v9, 16, v2
	; wave barrier
	v_sub_nc_u32_e32 v16, v8, v2
	s_waitcnt lgkmcnt(1)
	v_cmp_lt_i64_e32 vcc_lo, v[14:15], v[12:13]
	s_or_b32 s0, s0, vcc_lo
	s_delay_alu instid0(SALU_CYCLE_1)
	s_and_b32 vcc_lo, s1, s0
	s_mov_b32 s1, 0
	v_dual_cndmask_b32 v15, v13, v15 :: v_dual_cndmask_b32 v10, v11, v10
	v_sub_nc_u32_e32 v11, v9, v8
	v_cndmask_b32_e32 v14, v12, v14, vcc_lo
	v_lshl_add_u32 v12, v2, 3, v5
	s_delay_alu instid0(VALU_DEP_4)
	v_lshl_add_u32 v0, v10, 3, v5
	v_and_b32_e32 v10, 15, v6
	ds_load_b64 v[0:1], v0
	v_sub_nc_u32_e32 v13, v10, v11
	v_cmp_ge_i32_e64 s0, v10, v11
	; wave barrier
	ds_store_b64 v4, v[14:15]
	v_cndmask_b32_e64 v11, 0, v13, s0
	v_min_i32_e32 v13, v10, v16
	s_mov_b32 s0, exec_lo
	; wave barrier
	s_delay_alu instid0(VALU_DEP_1)
	v_cmpx_lt_i32_e64 v11, v13
	s_cbranch_execz .LBB169_16
; %bb.13:
	v_lshlrev_b32_e32 v14, 3, v8
	v_lshlrev_b32_e32 v15, 3, v10
	s_delay_alu instid0(VALU_DEP_1)
	v_add3_u32 v14, v5, v14, v15
	.p2align	6
.LBB169_14:                             ; =>This Inner Loop Header: Depth=1
	v_sub_nc_u32_e32 v15, v13, v11
	s_delay_alu instid0(VALU_DEP_1) | instskip(NEXT) | instid1(VALU_DEP_1)
	v_lshrrev_b32_e32 v16, 31, v15
	v_add_nc_u32_e32 v15, v15, v16
	s_delay_alu instid0(VALU_DEP_1) | instskip(NEXT) | instid1(VALU_DEP_1)
	v_ashrrev_i32_e32 v15, 1, v15
	v_add_nc_u32_e32 v19, v15, v11
	s_delay_alu instid0(VALU_DEP_1) | instskip(SKIP_1) | instid1(VALU_DEP_2)
	v_not_b32_e32 v15, v19
	v_lshl_add_u32 v16, v19, 3, v12
	v_lshl_add_u32 v17, v15, 3, v14
	ds_load_b64 v[15:16], v16
	ds_load_b64 v[17:18], v17
	s_waitcnt lgkmcnt(0)
	v_cmp_lt_i64_e32 vcc_lo, v[17:18], v[15:16]
	v_add_nc_u32_e32 v15, 1, v19
	v_cndmask_b32_e32 v13, v13, v19, vcc_lo
	s_delay_alu instid0(VALU_DEP_2) | instskip(NEXT) | instid1(VALU_DEP_1)
	v_cndmask_b32_e32 v11, v15, v11, vcc_lo
	v_cmp_ge_i32_e32 vcc_lo, v11, v13
	s_or_b32 s1, vcc_lo, s1
	s_delay_alu instid0(SALU_CYCLE_1)
	s_and_not1_b32 exec_lo, exec_lo, s1
	s_cbranch_execnz .LBB169_14
; %bb.15:
	s_or_b32 exec_lo, exec_lo, s1
.LBB169_16:
	s_delay_alu instid0(SALU_CYCLE_1) | instskip(SKIP_2) | instid1(VALU_DEP_2)
	s_or_b32 exec_lo, exec_lo, s0
	v_add_nc_u32_e32 v10, v8, v10
	v_add_nc_u32_e32 v2, v11, v2
	v_sub_nc_u32_e32 v16, v10, v11
	v_lshl_add_u32 v10, v11, 3, v12
	s_delay_alu instid0(VALU_DEP_3) | instskip(SKIP_1) | instid1(VALU_DEP_4)
	v_cmp_le_i32_e64 s0, v8, v2
	v_min_i32_e32 v8, 16, v6
	v_lshl_add_u32 v14, v16, 3, v5
	v_cmp_gt_i32_e64 s1, v9, v16
	ds_load_b64 v[12:13], v10
	ds_load_b64 v[14:15], v14
	; wave barrier
	s_waitcnt lgkmcnt(3)
	ds_store_b64 v4, v[0:1]
	; wave barrier
	s_waitcnt lgkmcnt(1)
	v_cmp_lt_i64_e32 vcc_lo, v[14:15], v[12:13]
	s_or_b32 s0, s0, vcc_lo
	s_delay_alu instid0(SALU_CYCLE_1) | instskip(SKIP_3) | instid1(VALU_DEP_2)
	s_and_b32 vcc_lo, s1, s0
	v_cmp_lt_i32_e64 s0, 15, v6
	v_cndmask_b32_e32 v2, v2, v16, vcc_lo
	v_dual_cndmask_b32 v10, v13, v15 :: v_dual_cndmask_b32 v9, v12, v14
	v_lshl_add_u32 v2, v2, 3, v5
	ds_load_b64 v[0:1], v2
	v_add_nc_u32_e32 v2, -16, v6
	; wave barrier
	ds_store_b64 v4, v[9:10]
	v_cndmask_b32_e64 v2, 0, v2, s0
	s_mov_b32 s0, exec_lo
	; wave barrier
	s_delay_alu instid0(VALU_DEP_1)
	v_cmpx_lt_i32_e64 v2, v8
	s_cbranch_execz .LBB169_20
; %bb.17:
	v_add3_u32 v7, 0x80, v5, v7
	s_mov_b32 s1, 0
	.p2align	6
.LBB169_18:                             ; =>This Inner Loop Header: Depth=1
	v_sub_nc_u32_e32 v9, v8, v2
	s_delay_alu instid0(VALU_DEP_1) | instskip(NEXT) | instid1(VALU_DEP_1)
	v_lshrrev_b32_e32 v10, 31, v9
	v_add_nc_u32_e32 v9, v9, v10
	s_delay_alu instid0(VALU_DEP_1) | instskip(NEXT) | instid1(VALU_DEP_1)
	v_ashrrev_i32_e32 v9, 1, v9
	v_add_nc_u32_e32 v13, v9, v2
	s_delay_alu instid0(VALU_DEP_1) | instskip(SKIP_1) | instid1(VALU_DEP_2)
	v_not_b32_e32 v9, v13
	v_lshl_add_u32 v10, v13, 3, v5
	v_lshl_add_u32 v11, v9, 3, v7
	ds_load_b64 v[9:10], v10
	ds_load_b64 v[11:12], v11
	s_waitcnt lgkmcnt(0)
	v_cmp_lt_i64_e32 vcc_lo, v[11:12], v[9:10]
	v_add_nc_u32_e32 v9, 1, v13
	v_cndmask_b32_e32 v8, v8, v13, vcc_lo
	s_delay_alu instid0(VALU_DEP_2) | instskip(NEXT) | instid1(VALU_DEP_1)
	v_cndmask_b32_e32 v2, v9, v2, vcc_lo
	v_cmp_ge_i32_e32 vcc_lo, v2, v8
	s_or_b32 s1, vcc_lo, s1
	s_delay_alu instid0(SALU_CYCLE_1)
	s_and_not1_b32 exec_lo, exec_lo, s1
	s_cbranch_execnz .LBB169_18
; %bb.19:
	s_or_b32 exec_lo, exec_lo, s1
.LBB169_20:
	s_delay_alu instid0(SALU_CYCLE_1) | instskip(SKIP_2) | instid1(VALU_DEP_2)
	s_or_b32 exec_lo, exec_lo, s0
	v_add_nc_u32_e32 v6, 16, v6
	v_cmp_le_i32_e64 s0, 16, v2
	v_sub_nc_u32_e32 v10, v6, v2
	v_lshl_add_u32 v6, v2, 3, v5
	s_delay_alu instid0(VALU_DEP_2)
	v_lshl_add_u32 v8, v10, 3, v5
	v_cmp_gt_i32_e64 s1, 32, v10
	ds_load_b64 v[6:7], v6
	ds_load_b64 v[8:9], v8
	; wave barrier
	s_waitcnt lgkmcnt(3)
	ds_store_b64 v4, v[0:1]
	; wave barrier
	s_waitcnt lgkmcnt(1)
	v_cmp_lt_i64_e32 vcc_lo, v[8:9], v[6:7]
	s_or_b32 s0, s0, vcc_lo
	s_delay_alu instid0(SALU_CYCLE_1) | instskip(SKIP_3) | instid1(VALU_DEP_1)
	s_and_b32 vcc_lo, s1, s0
	s_add_u32 s0, s6, s8
	v_dual_cndmask_b32 v7, v7, v9 :: v_dual_cndmask_b32 v2, v2, v10
	s_addc_u32 s1, s7, s9
	v_lshl_add_u32 v2, v2, 3, v5
	ds_load_b64 v[0:1], v2
	v_cndmask_b32_e32 v2, v6, v8, vcc_lo
	s_waitcnt lgkmcnt(0)
	s_delay_alu instid0(VALU_DEP_1)
	v_add_co_u32 v0, vcc_lo, v0, v2
	v_add_co_ci_u32_e32 v1, vcc_lo, v1, v7, vcc_lo
	global_store_b64 v3, v[0:1], s[0:1]
	s_nop 0
	s_sendmsg sendmsg(MSG_DEALLOC_VGPRS)
	s_endpgm
	.section	.rodata,"a",@progbits
	.p2align	6, 0x0
	.amdhsa_kernel _Z10sort_pairsILj256ELj32ELj1ExN10test_utils4lessEEvPKT2_PS2_T3_
		.amdhsa_group_segment_fixed_size 2112
		.amdhsa_private_segment_fixed_size 0
		.amdhsa_kernarg_size 20
		.amdhsa_user_sgpr_count 15
		.amdhsa_user_sgpr_dispatch_ptr 0
		.amdhsa_user_sgpr_queue_ptr 0
		.amdhsa_user_sgpr_kernarg_segment_ptr 1
		.amdhsa_user_sgpr_dispatch_id 0
		.amdhsa_user_sgpr_private_segment_size 0
		.amdhsa_wavefront_size32 1
		.amdhsa_uses_dynamic_stack 0
		.amdhsa_enable_private_segment 0
		.amdhsa_system_sgpr_workgroup_id_x 1
		.amdhsa_system_sgpr_workgroup_id_y 0
		.amdhsa_system_sgpr_workgroup_id_z 0
		.amdhsa_system_sgpr_workgroup_info 0
		.amdhsa_system_vgpr_workitem_id 0
		.amdhsa_next_free_vgpr 20
		.amdhsa_next_free_sgpr 16
		.amdhsa_reserve_vcc 1
		.amdhsa_float_round_mode_32 0
		.amdhsa_float_round_mode_16_64 0
		.amdhsa_float_denorm_mode_32 3
		.amdhsa_float_denorm_mode_16_64 3
		.amdhsa_dx10_clamp 1
		.amdhsa_ieee_mode 1
		.amdhsa_fp16_overflow 0
		.amdhsa_workgroup_processor_mode 1
		.amdhsa_memory_ordered 1
		.amdhsa_forward_progress 0
		.amdhsa_shared_vgpr_count 0
		.amdhsa_exception_fp_ieee_invalid_op 0
		.amdhsa_exception_fp_denorm_src 0
		.amdhsa_exception_fp_ieee_div_zero 0
		.amdhsa_exception_fp_ieee_overflow 0
		.amdhsa_exception_fp_ieee_underflow 0
		.amdhsa_exception_fp_ieee_inexact 0
		.amdhsa_exception_int_div_zero 0
	.end_amdhsa_kernel
	.section	.text._Z10sort_pairsILj256ELj32ELj1ExN10test_utils4lessEEvPKT2_PS2_T3_,"axG",@progbits,_Z10sort_pairsILj256ELj32ELj1ExN10test_utils4lessEEvPKT2_PS2_T3_,comdat
.Lfunc_end169:
	.size	_Z10sort_pairsILj256ELj32ELj1ExN10test_utils4lessEEvPKT2_PS2_T3_, .Lfunc_end169-_Z10sort_pairsILj256ELj32ELj1ExN10test_utils4lessEEvPKT2_PS2_T3_
                                        ; -- End function
	.section	.AMDGPU.csdata,"",@progbits
; Kernel info:
; codeLenInByte = 1900
; NumSgprs: 18
; NumVgprs: 20
; ScratchSize: 0
; MemoryBound: 0
; FloatMode: 240
; IeeeMode: 1
; LDSByteSize: 2112 bytes/workgroup (compile time only)
; SGPRBlocks: 2
; VGPRBlocks: 2
; NumSGPRsForWavesPerEU: 18
; NumVGPRsForWavesPerEU: 20
; Occupancy: 16
; WaveLimiterHint : 0
; COMPUTE_PGM_RSRC2:SCRATCH_EN: 0
; COMPUTE_PGM_RSRC2:USER_SGPR: 15
; COMPUTE_PGM_RSRC2:TRAP_HANDLER: 0
; COMPUTE_PGM_RSRC2:TGID_X_EN: 1
; COMPUTE_PGM_RSRC2:TGID_Y_EN: 0
; COMPUTE_PGM_RSRC2:TGID_Z_EN: 0
; COMPUTE_PGM_RSRC2:TIDIG_COMP_CNT: 0
	.section	.text._Z19sort_keys_segmentedILj256ELj32ELj1ExN10test_utils4lessEEvPKT2_PS2_PKjT3_,"axG",@progbits,_Z19sort_keys_segmentedILj256ELj32ELj1ExN10test_utils4lessEEvPKT2_PS2_PKjT3_,comdat
	.protected	_Z19sort_keys_segmentedILj256ELj32ELj1ExN10test_utils4lessEEvPKT2_PS2_PKjT3_ ; -- Begin function _Z19sort_keys_segmentedILj256ELj32ELj1ExN10test_utils4lessEEvPKT2_PS2_PKjT3_
	.globl	_Z19sort_keys_segmentedILj256ELj32ELj1ExN10test_utils4lessEEvPKT2_PS2_PKjT3_
	.p2align	8
	.type	_Z19sort_keys_segmentedILj256ELj32ELj1ExN10test_utils4lessEEvPKT2_PS2_PKjT3_,@function
_Z19sort_keys_segmentedILj256ELj32ELj1ExN10test_utils4lessEEvPKT2_PS2_PKjT3_: ; @_Z19sort_keys_segmentedILj256ELj32ELj1ExN10test_utils4lessEEvPKT2_PS2_PKjT3_
; %bb.0:
	s_clause 0x1
	s_load_b64 s[2:3], s[0:1], 0x10
	s_load_b128 s[4:7], s[0:1], 0x0
	v_lshrrev_b32_e32 v10, 5, v0
	v_mbcnt_lo_u32_b32 v7, -1, 0
	s_delay_alu instid0(VALU_DEP_2) | instskip(NEXT) | instid1(VALU_DEP_2)
	v_lshl_or_b32 v0, s15, 3, v10
	v_dual_mov_b32 v1, 0 :: v_dual_lshlrev_b32 v4, 3, v7
	s_delay_alu instid0(VALU_DEP_1) | instskip(SKIP_1) | instid1(VALU_DEP_1)
	v_lshlrev_b64 v[2:3], 2, v[0:1]
	v_lshlrev_b32_e32 v0, 5, v0
	v_lshlrev_b64 v[0:1], 3, v[0:1]
	s_waitcnt lgkmcnt(0)
	s_delay_alu instid0(VALU_DEP_3) | instskip(NEXT) | instid1(VALU_DEP_4)
	v_add_co_u32 v2, vcc_lo, s2, v2
	v_add_co_ci_u32_e32 v3, vcc_lo, s3, v3, vcc_lo
	global_load_b32 v6, v[2:3], off
                                        ; implicit-def: $vgpr2_vgpr3
	s_waitcnt vmcnt(0)
	v_cmp_lt_u32_e32 vcc_lo, v7, v6
	s_and_saveexec_b32 s1, vcc_lo
	s_cbranch_execz .LBB170_2
; %bb.1:
	v_add_co_u32 v2, s0, s4, v0
	s_delay_alu instid0(VALU_DEP_1) | instskip(NEXT) | instid1(VALU_DEP_2)
	v_add_co_ci_u32_e64 v3, s0, s5, v1, s0
	v_add_co_u32 v2, s0, v2, v4
	s_delay_alu instid0(VALU_DEP_1)
	v_add_co_ci_u32_e64 v3, s0, 0, v3, s0
	global_load_b64 v[2:3], v[2:3], off
.LBB170_2:
	s_or_b32 exec_lo, exec_lo, s1
	v_and_b32_e32 v5, 30, v7
	v_and_b32_e32 v8, 1, v7
	s_mov_b32 s1, exec_lo
	; wave barrier
	s_delay_alu instid0(VALU_DEP_2) | instskip(NEXT) | instid1(VALU_DEP_2)
	v_min_i32_e32 v13, v6, v5
	v_min_i32_e32 v9, v6, v8
	s_delay_alu instid0(VALU_DEP_2) | instskip(SKIP_1) | instid1(VALU_DEP_2)
	v_add_nc_u32_e32 v5, 1, v13
	v_lshlrev_b32_e32 v16, 3, v13
	v_min_i32_e32 v12, v6, v5
	s_delay_alu instid0(VALU_DEP_1) | instskip(SKIP_1) | instid1(VALU_DEP_2)
	v_add_nc_u32_e32 v5, 1, v12
	v_sub_nc_u32_e32 v15, v12, v13
	v_min_i32_e32 v11, v6, v5
	s_delay_alu instid0(VALU_DEP_2) | instskip(NEXT) | instid1(VALU_DEP_2)
	v_min_i32_e32 v15, v9, v15
	v_sub_nc_u32_e32 v5, v11, v12
	s_delay_alu instid0(VALU_DEP_1) | instskip(SKIP_2) | instid1(VALU_DEP_2)
	v_sub_nc_u32_e32 v8, v9, v5
	v_cmp_ge_i32_e64 s0, v9, v5
	v_mul_u32_u24_e32 v5, 0x108, v10
	v_cndmask_b32_e64 v14, 0, v8, s0
	v_mad_u32_u24 v8, 0x108, v10, v4
	v_mad_u32_u24 v10, 0x108, v10, v16
	s_waitcnt vmcnt(0)
	ds_store_b64 v8, v[2:3]
	; wave barrier
	v_cmpx_lt_i32_e64 v14, v15
	s_cbranch_execz .LBB170_6
; %bb.3:
	v_lshlrev_b32_e32 v2, 3, v12
	v_lshlrev_b32_e32 v3, 3, v9
	s_mov_b32 s2, 0
	s_delay_alu instid0(VALU_DEP_1)
	v_add3_u32 v2, v5, v2, v3
	.p2align	6
.LBB170_4:                              ; =>This Inner Loop Header: Depth=1
	v_sub_nc_u32_e32 v3, v15, v14
	s_delay_alu instid0(VALU_DEP_1) | instskip(NEXT) | instid1(VALU_DEP_1)
	v_lshrrev_b32_e32 v16, 31, v3
	v_add_nc_u32_e32 v3, v3, v16
	s_delay_alu instid0(VALU_DEP_1) | instskip(NEXT) | instid1(VALU_DEP_1)
	v_ashrrev_i32_e32 v3, 1, v3
	v_add_nc_u32_e32 v3, v3, v14
	s_delay_alu instid0(VALU_DEP_1) | instskip(SKIP_1) | instid1(VALU_DEP_2)
	v_not_b32_e32 v16, v3
	v_lshl_add_u32 v17, v3, 3, v10
	v_lshl_add_u32 v18, v16, 3, v2
	ds_load_b64 v[16:17], v17
	ds_load_b64 v[18:19], v18
	s_waitcnt lgkmcnt(0)
	v_cmp_lt_i64_e64 s0, v[18:19], v[16:17]
	v_add_nc_u32_e32 v16, 1, v3
	s_delay_alu instid0(VALU_DEP_2) | instskip(NEXT) | instid1(VALU_DEP_2)
	v_cndmask_b32_e64 v15, v15, v3, s0
	v_cndmask_b32_e64 v14, v16, v14, s0
	s_delay_alu instid0(VALU_DEP_1) | instskip(NEXT) | instid1(VALU_DEP_1)
	v_cmp_ge_i32_e64 s0, v14, v15
	s_or_b32 s2, s0, s2
	s_delay_alu instid0(SALU_CYCLE_1)
	s_and_not1_b32 exec_lo, exec_lo, s2
	s_cbranch_execnz .LBB170_4
; %bb.5:
	s_or_b32 exec_lo, exec_lo, s2
.LBB170_6:
	s_delay_alu instid0(SALU_CYCLE_1) | instskip(SKIP_4) | instid1(VALU_DEP_3)
	s_or_b32 exec_lo, exec_lo, s1
	v_add_nc_u32_e32 v2, v12, v9
	v_and_b32_e32 v3, 28, v7
	v_add_nc_u32_e32 v13, v14, v13
	s_mov_b32 s3, 0
	v_sub_nc_u32_e32 v19, v2, v14
	v_lshl_add_u32 v2, v14, 3, v10
	v_min_i32_e32 v9, v6, v3
	v_cmp_le_i32_e64 s1, v12, v13
	s_delay_alu instid0(VALU_DEP_4) | instskip(SKIP_1) | instid1(VALU_DEP_4)
	v_lshl_add_u32 v3, v19, 3, v5
	v_cmp_gt_i32_e64 s2, v11, v19
	v_add_nc_u32_e32 v10, 2, v9
	ds_load_b64 v[15:16], v2
	ds_load_b64 v[17:18], v3
	v_and_b32_e32 v3, 3, v7
	v_min_i32_e32 v10, v6, v10
	; wave barrier
	s_delay_alu instid0(VALU_DEP_2) | instskip(NEXT) | instid1(VALU_DEP_2)
	v_min_i32_e32 v14, v6, v3
	v_add_nc_u32_e32 v2, 2, v10
	v_sub_nc_u32_e32 v20, v10, v9
	s_delay_alu instid0(VALU_DEP_2) | instskip(NEXT) | instid1(VALU_DEP_2)
	v_min_i32_e32 v2, v6, v2
	v_min_i32_e32 v11, v14, v20
	s_delay_alu instid0(VALU_DEP_2) | instskip(SKIP_2) | instid1(VALU_DEP_2)
	v_sub_nc_u32_e32 v3, v2, v10
	s_waitcnt lgkmcnt(0)
	v_cmp_lt_i64_e64 s0, v[17:18], v[15:16]
	v_sub_nc_u32_e32 v12, v14, v3
	s_delay_alu instid0(VALU_DEP_2) | instskip(SKIP_2) | instid1(VALU_DEP_2)
	s_or_b32 s1, s1, s0
	v_cmp_ge_i32_e64 s0, v14, v3
	v_lshl_add_u32 v3, v9, 3, v5
	v_cndmask_b32_e64 v13, 0, v12, s0
	s_and_b32 s0, s2, s1
	s_mov_b32 s1, exec_lo
	v_cndmask_b32_e64 v16, v16, v18, s0
	v_cndmask_b32_e64 v15, v15, v17, s0
	ds_store_b64 v8, v[15:16]
	; wave barrier
	v_cmpx_lt_i32_e64 v13, v11
	s_cbranch_execz .LBB170_10
; %bb.7:
	v_lshlrev_b32_e32 v12, 3, v10
	v_lshlrev_b32_e32 v15, 3, v14
	s_delay_alu instid0(VALU_DEP_1)
	v_add3_u32 v12, v5, v12, v15
	.p2align	6
.LBB170_8:                              ; =>This Inner Loop Header: Depth=1
	v_sub_nc_u32_e32 v15, v11, v13
	s_delay_alu instid0(VALU_DEP_1) | instskip(NEXT) | instid1(VALU_DEP_1)
	v_lshrrev_b32_e32 v16, 31, v15
	v_add_nc_u32_e32 v15, v15, v16
	s_delay_alu instid0(VALU_DEP_1) | instskip(NEXT) | instid1(VALU_DEP_1)
	v_ashrrev_i32_e32 v15, 1, v15
	v_add_nc_u32_e32 v19, v15, v13
	s_delay_alu instid0(VALU_DEP_1) | instskip(SKIP_1) | instid1(VALU_DEP_2)
	v_not_b32_e32 v15, v19
	v_lshl_add_u32 v16, v19, 3, v3
	v_lshl_add_u32 v17, v15, 3, v12
	ds_load_b64 v[15:16], v16
	ds_load_b64 v[17:18], v17
	s_waitcnt lgkmcnt(0)
	v_cmp_lt_i64_e64 s0, v[17:18], v[15:16]
	v_add_nc_u32_e32 v15, 1, v19
	s_delay_alu instid0(VALU_DEP_2) | instskip(NEXT) | instid1(VALU_DEP_2)
	v_cndmask_b32_e64 v11, v11, v19, s0
	v_cndmask_b32_e64 v13, v15, v13, s0
	s_delay_alu instid0(VALU_DEP_1) | instskip(NEXT) | instid1(VALU_DEP_1)
	v_cmp_ge_i32_e64 s0, v13, v11
	s_or_b32 s3, s0, s3
	s_delay_alu instid0(SALU_CYCLE_1)
	s_and_not1_b32 exec_lo, exec_lo, s3
	s_cbranch_execnz .LBB170_8
; %bb.9:
	s_or_b32 exec_lo, exec_lo, s3
.LBB170_10:
	s_delay_alu instid0(SALU_CYCLE_1) | instskip(SKIP_4) | instid1(VALU_DEP_3)
	s_or_b32 exec_lo, exec_lo, s1
	v_add_nc_u32_e32 v11, v10, v14
	v_and_b32_e32 v12, 24, v7
	v_lshl_add_u32 v3, v13, 3, v3
	s_mov_b32 s3, 0
	v_sub_nc_u32_e32 v18, v11, v13
	s_delay_alu instid0(VALU_DEP_3) | instskip(SKIP_1) | instid1(VALU_DEP_3)
	v_min_i32_e32 v11, v6, v12
	v_add_nc_u32_e32 v13, v13, v9
	v_lshl_add_u32 v12, v18, 3, v5
	s_delay_alu instid0(VALU_DEP_3) | instskip(NEXT) | instid1(VALU_DEP_3)
	v_add_nc_u32_e32 v19, 4, v11
	v_cmp_le_i32_e64 s1, v10, v13
	v_cmp_gt_i32_e64 s2, v2, v18
	ds_load_b64 v[14:15], v3
	ds_load_b64 v[16:17], v12
	v_lshl_add_u32 v2, v11, 3, v5
	v_min_i32_e32 v12, v6, v19
	v_and_b32_e32 v19, 7, v7
	; wave barrier
	s_delay_alu instid0(VALU_DEP_2) | instskip(NEXT) | instid1(VALU_DEP_2)
	v_add_nc_u32_e32 v3, 4, v12
	v_min_i32_e32 v9, v6, v19
	v_sub_nc_u32_e32 v20, v12, v11
	s_delay_alu instid0(VALU_DEP_3) | instskip(NEXT) | instid1(VALU_DEP_2)
	v_min_i32_e32 v3, v6, v3
	v_min_i32_e32 v10, v9, v20
	s_delay_alu instid0(VALU_DEP_2) | instskip(SKIP_2) | instid1(VALU_DEP_2)
	v_sub_nc_u32_e32 v19, v3, v12
	s_waitcnt lgkmcnt(0)
	v_cmp_lt_i64_e64 s0, v[16:17], v[14:15]
	v_sub_nc_u32_e32 v13, v9, v19
	s_delay_alu instid0(VALU_DEP_2) | instskip(SKIP_1) | instid1(VALU_DEP_1)
	s_or_b32 s1, s1, s0
	v_cmp_ge_i32_e64 s0, v9, v19
	v_cndmask_b32_e64 v13, 0, v13, s0
	s_and_b32 s0, s2, s1
	s_mov_b32 s1, exec_lo
	v_cndmask_b32_e64 v15, v15, v17, s0
	v_cndmask_b32_e64 v14, v14, v16, s0
	ds_store_b64 v8, v[14:15]
	; wave barrier
	v_cmpx_lt_i32_e64 v13, v10
	s_cbranch_execz .LBB170_14
; %bb.11:
	v_lshlrev_b32_e32 v14, 3, v12
	v_lshlrev_b32_e32 v15, 3, v9
	s_delay_alu instid0(VALU_DEP_1)
	v_add3_u32 v14, v5, v14, v15
	.p2align	6
.LBB170_12:                             ; =>This Inner Loop Header: Depth=1
	v_sub_nc_u32_e32 v15, v10, v13
	s_delay_alu instid0(VALU_DEP_1) | instskip(NEXT) | instid1(VALU_DEP_1)
	v_lshrrev_b32_e32 v16, 31, v15
	v_add_nc_u32_e32 v15, v15, v16
	s_delay_alu instid0(VALU_DEP_1) | instskip(NEXT) | instid1(VALU_DEP_1)
	v_ashrrev_i32_e32 v15, 1, v15
	v_add_nc_u32_e32 v19, v15, v13
	s_delay_alu instid0(VALU_DEP_1) | instskip(SKIP_1) | instid1(VALU_DEP_2)
	v_not_b32_e32 v15, v19
	v_lshl_add_u32 v16, v19, 3, v2
	v_lshl_add_u32 v17, v15, 3, v14
	ds_load_b64 v[15:16], v16
	ds_load_b64 v[17:18], v17
	s_waitcnt lgkmcnt(0)
	v_cmp_lt_i64_e64 s0, v[17:18], v[15:16]
	v_add_nc_u32_e32 v15, 1, v19
	s_delay_alu instid0(VALU_DEP_2) | instskip(NEXT) | instid1(VALU_DEP_2)
	v_cndmask_b32_e64 v10, v10, v19, s0
	v_cndmask_b32_e64 v13, v15, v13, s0
	s_delay_alu instid0(VALU_DEP_1) | instskip(NEXT) | instid1(VALU_DEP_1)
	v_cmp_ge_i32_e64 s0, v13, v10
	s_or_b32 s3, s0, s3
	s_delay_alu instid0(SALU_CYCLE_1)
	s_and_not1_b32 exec_lo, exec_lo, s3
	s_cbranch_execnz .LBB170_12
; %bb.13:
	s_or_b32 exec_lo, exec_lo, s3
.LBB170_14:
	s_delay_alu instid0(SALU_CYCLE_1)
	s_or_b32 exec_lo, exec_lo, s1
	v_add_nc_u32_e32 v9, v12, v9
	v_and_b32_e32 v10, 16, v7
	v_lshl_add_u32 v2, v13, 3, v2
	v_add_nc_u32_e32 v11, v13, v11
	s_mov_b32 s3, 0
	v_sub_nc_u32_e32 v19, v9, v13
	v_min_i32_e32 v9, v6, v10
	s_delay_alu instid0(VALU_DEP_3) | instskip(NEXT) | instid1(VALU_DEP_3)
	v_cmp_le_i32_e64 s1, v12, v11
	v_lshl_add_u32 v10, v19, 3, v5
	s_delay_alu instid0(VALU_DEP_3)
	v_add_nc_u32_e32 v14, 8, v9
	v_cmp_gt_i32_e64 s2, v3, v19
	ds_load_b64 v[15:16], v2
	ds_load_b64 v[17:18], v10
	v_min_i32_e32 v10, v6, v14
	v_and_b32_e32 v14, 15, v7
	; wave barrier
	s_delay_alu instid0(VALU_DEP_2) | instskip(NEXT) | instid1(VALU_DEP_2)
	v_add_nc_u32_e32 v2, 8, v10
	v_min_i32_e32 v14, v6, v14
	v_sub_nc_u32_e32 v20, v10, v9
	s_delay_alu instid0(VALU_DEP_3) | instskip(NEXT) | instid1(VALU_DEP_2)
	v_min_i32_e32 v2, v6, v2
	v_min_i32_e32 v3, v14, v20
	s_delay_alu instid0(VALU_DEP_2) | instskip(SKIP_2) | instid1(VALU_DEP_2)
	v_sub_nc_u32_e32 v13, v2, v10
	s_waitcnt lgkmcnt(0)
	v_cmp_lt_i64_e64 s0, v[17:18], v[15:16]
	v_sub_nc_u32_e32 v11, v14, v13
	s_delay_alu instid0(VALU_DEP_2) | instskip(SKIP_1) | instid1(VALU_DEP_1)
	s_or_b32 s1, s1, s0
	v_cmp_ge_i32_e64 s0, v14, v13
	v_cndmask_b32_e64 v13, 0, v11, s0
	s_and_b32 s0, s2, s1
	v_lshl_add_u32 v11, v9, 3, v5
	v_cndmask_b32_e64 v16, v16, v18, s0
	v_cndmask_b32_e64 v15, v15, v17, s0
	s_mov_b32 s1, exec_lo
	ds_store_b64 v8, v[15:16]
	; wave barrier
	v_cmpx_lt_i32_e64 v13, v3
	s_cbranch_execz .LBB170_18
; %bb.15:
	v_lshlrev_b32_e32 v12, 3, v10
	v_lshlrev_b32_e32 v15, 3, v14
	s_delay_alu instid0(VALU_DEP_1)
	v_add3_u32 v12, v5, v12, v15
	.p2align	6
.LBB170_16:                             ; =>This Inner Loop Header: Depth=1
	v_sub_nc_u32_e32 v15, v3, v13
	s_delay_alu instid0(VALU_DEP_1) | instskip(NEXT) | instid1(VALU_DEP_1)
	v_lshrrev_b32_e32 v16, 31, v15
	v_add_nc_u32_e32 v15, v15, v16
	s_delay_alu instid0(VALU_DEP_1) | instskip(NEXT) | instid1(VALU_DEP_1)
	v_ashrrev_i32_e32 v15, 1, v15
	v_add_nc_u32_e32 v19, v15, v13
	s_delay_alu instid0(VALU_DEP_1) | instskip(SKIP_1) | instid1(VALU_DEP_2)
	v_not_b32_e32 v15, v19
	v_lshl_add_u32 v16, v19, 3, v11
	v_lshl_add_u32 v17, v15, 3, v12
	ds_load_b64 v[15:16], v16
	ds_load_b64 v[17:18], v17
	s_waitcnt lgkmcnt(0)
	v_cmp_lt_i64_e64 s0, v[17:18], v[15:16]
	v_add_nc_u32_e32 v15, 1, v19
	s_delay_alu instid0(VALU_DEP_2) | instskip(NEXT) | instid1(VALU_DEP_2)
	v_cndmask_b32_e64 v3, v3, v19, s0
	v_cndmask_b32_e64 v13, v15, v13, s0
	s_delay_alu instid0(VALU_DEP_1) | instskip(NEXT) | instid1(VALU_DEP_1)
	v_cmp_ge_i32_e64 s0, v13, v3
	s_or_b32 s3, s0, s3
	s_delay_alu instid0(SALU_CYCLE_1)
	s_and_not1_b32 exec_lo, exec_lo, s3
	s_cbranch_execnz .LBB170_16
; %bb.17:
	s_or_b32 exec_lo, exec_lo, s3
.LBB170_18:
	s_delay_alu instid0(SALU_CYCLE_1) | instskip(SKIP_4) | instid1(VALU_DEP_3)
	s_or_b32 exec_lo, exec_lo, s1
	v_add_nc_u32_e32 v3, v10, v14
	v_lshl_add_u32 v11, v13, 3, v11
	v_add_nc_u32_e32 v9, v13, v9
	s_mov_b32 s3, 0
	v_sub_nc_u32_e32 v18, v3, v13
	v_min_i32_e32 v3, 0, v6
	s_delay_alu instid0(VALU_DEP_3) | instskip(NEXT) | instid1(VALU_DEP_3)
	v_cmp_le_i32_e64 s1, v10, v9
	v_lshl_add_u32 v12, v18, 3, v5
	s_delay_alu instid0(VALU_DEP_3) | instskip(SKIP_4) | instid1(VALU_DEP_1)
	v_add_nc_u32_e32 v19, 16, v3
	v_cmp_gt_i32_e64 s2, v2, v18
	ds_load_b64 v[14:15], v11
	ds_load_b64 v[16:17], v12
	v_min_i32_e32 v12, v6, v19
	; wave barrier
	v_add_nc_u32_e32 v11, 16, v12
	v_sub_nc_u32_e32 v13, v12, v3
	s_delay_alu instid0(VALU_DEP_2) | instskip(SKIP_1) | instid1(VALU_DEP_2)
	v_min_i32_e32 v11, v6, v11
	v_min_i32_e32 v6, v6, v7
	v_sub_nc_u32_e32 v7, v11, v12
	s_delay_alu instid0(VALU_DEP_2) | instskip(SKIP_2) | instid1(VALU_DEP_3)
	v_min_i32_e32 v9, v6, v13
	s_waitcnt lgkmcnt(0)
	v_cmp_lt_i64_e64 s0, v[16:17], v[14:15]
	v_sub_nc_u32_e32 v10, v6, v7
	s_delay_alu instid0(VALU_DEP_2) | instskip(SKIP_2) | instid1(VALU_DEP_2)
	s_or_b32 s1, s1, s0
	v_cmp_ge_i32_e64 s0, v6, v7
	v_lshl_add_u32 v7, v3, 3, v5
	v_cndmask_b32_e64 v2, 0, v10, s0
	s_and_b32 s0, s2, s1
	s_mov_b32 s1, exec_lo
	v_cndmask_b32_e64 v15, v15, v17, s0
	v_cndmask_b32_e64 v14, v14, v16, s0
	ds_store_b64 v8, v[14:15]
	; wave barrier
	v_cmpx_lt_i32_e64 v2, v9
	s_cbranch_execnz .LBB170_21
; %bb.19:
	s_or_b32 exec_lo, exec_lo, s1
	s_and_saveexec_b32 s0, vcc_lo
	s_cbranch_execnz .LBB170_24
.LBB170_20:
	s_endpgm
.LBB170_21:
	v_lshlrev_b32_e32 v8, 3, v12
	v_lshlrev_b32_e32 v10, 3, v6
	s_delay_alu instid0(VALU_DEP_1)
	v_add3_u32 v8, v5, v8, v10
	.p2align	6
.LBB170_22:                             ; =>This Inner Loop Header: Depth=1
	v_sub_nc_u32_e32 v10, v9, v2
	s_delay_alu instid0(VALU_DEP_1) | instskip(NEXT) | instid1(VALU_DEP_1)
	v_lshrrev_b32_e32 v13, 31, v10
	v_add_nc_u32_e32 v10, v10, v13
	s_delay_alu instid0(VALU_DEP_1) | instskip(NEXT) | instid1(VALU_DEP_1)
	v_ashrrev_i32_e32 v10, 1, v10
	v_add_nc_u32_e32 v10, v10, v2
	s_delay_alu instid0(VALU_DEP_1) | instskip(SKIP_1) | instid1(VALU_DEP_2)
	v_not_b32_e32 v13, v10
	v_lshl_add_u32 v14, v10, 3, v7
	v_lshl_add_u32 v15, v13, 3, v8
	ds_load_b64 v[13:14], v14
	ds_load_b64 v[15:16], v15
	s_waitcnt lgkmcnt(0)
	v_cmp_lt_i64_e64 s0, v[15:16], v[13:14]
	v_add_nc_u32_e32 v13, 1, v10
	s_delay_alu instid0(VALU_DEP_2) | instskip(NEXT) | instid1(VALU_DEP_2)
	v_cndmask_b32_e64 v9, v9, v10, s0
	v_cndmask_b32_e64 v2, v13, v2, s0
	s_delay_alu instid0(VALU_DEP_1) | instskip(NEXT) | instid1(VALU_DEP_1)
	v_cmp_ge_i32_e64 s0, v2, v9
	s_or_b32 s3, s0, s3
	s_delay_alu instid0(SALU_CYCLE_1)
	s_and_not1_b32 exec_lo, exec_lo, s3
	s_cbranch_execnz .LBB170_22
; %bb.23:
	s_or_b32 exec_lo, exec_lo, s3
	s_delay_alu instid0(SALU_CYCLE_1)
	s_or_b32 exec_lo, exec_lo, s1
	s_and_saveexec_b32 s0, vcc_lo
	s_cbranch_execz .LBB170_20
.LBB170_24:
	v_add_nc_u32_e32 v6, v12, v6
	v_lshl_add_u32 v7, v2, 3, v7
	v_add_co_u32 v0, s1, s6, v0
	s_delay_alu instid0(VALU_DEP_1) | instskip(NEXT) | instid1(VALU_DEP_4)
	v_add_co_ci_u32_e64 v1, s1, s7, v1, s1
	v_sub_nc_u32_e32 v9, v6, v2
	s_delay_alu instid0(VALU_DEP_1) | instskip(SKIP_4) | instid1(VALU_DEP_1)
	v_lshl_add_u32 v5, v9, 3, v5
	v_cmp_gt_i32_e64 s1, v11, v9
	ds_load_b64 v[5:6], v5
	ds_load_b64 v[7:8], v7
	v_add_nc_u32_e32 v2, v2, v3
	v_cmp_le_i32_e32 vcc_lo, v12, v2
	s_waitcnt lgkmcnt(0)
	v_cmp_lt_i64_e64 s0, v[5:6], v[7:8]
	s_delay_alu instid0(VALU_DEP_1)
	s_or_b32 s0, vcc_lo, s0
	v_add_co_u32 v0, vcc_lo, v0, v4
	v_add_co_ci_u32_e32 v1, vcc_lo, 0, v1, vcc_lo
	s_and_b32 vcc_lo, s1, s0
	v_dual_cndmask_b32 v3, v8, v6 :: v_dual_cndmask_b32 v2, v7, v5
	global_store_b64 v[0:1], v[2:3], off
	s_nop 0
	s_sendmsg sendmsg(MSG_DEALLOC_VGPRS)
	s_endpgm
	.section	.rodata,"a",@progbits
	.p2align	6, 0x0
	.amdhsa_kernel _Z19sort_keys_segmentedILj256ELj32ELj1ExN10test_utils4lessEEvPKT2_PS2_PKjT3_
		.amdhsa_group_segment_fixed_size 2112
		.amdhsa_private_segment_fixed_size 0
		.amdhsa_kernarg_size 28
		.amdhsa_user_sgpr_count 15
		.amdhsa_user_sgpr_dispatch_ptr 0
		.amdhsa_user_sgpr_queue_ptr 0
		.amdhsa_user_sgpr_kernarg_segment_ptr 1
		.amdhsa_user_sgpr_dispatch_id 0
		.amdhsa_user_sgpr_private_segment_size 0
		.amdhsa_wavefront_size32 1
		.amdhsa_uses_dynamic_stack 0
		.amdhsa_enable_private_segment 0
		.amdhsa_system_sgpr_workgroup_id_x 1
		.amdhsa_system_sgpr_workgroup_id_y 0
		.amdhsa_system_sgpr_workgroup_id_z 0
		.amdhsa_system_sgpr_workgroup_info 0
		.amdhsa_system_vgpr_workitem_id 0
		.amdhsa_next_free_vgpr 21
		.amdhsa_next_free_sgpr 16
		.amdhsa_reserve_vcc 1
		.amdhsa_float_round_mode_32 0
		.amdhsa_float_round_mode_16_64 0
		.amdhsa_float_denorm_mode_32 3
		.amdhsa_float_denorm_mode_16_64 3
		.amdhsa_dx10_clamp 1
		.amdhsa_ieee_mode 1
		.amdhsa_fp16_overflow 0
		.amdhsa_workgroup_processor_mode 1
		.amdhsa_memory_ordered 1
		.amdhsa_forward_progress 0
		.amdhsa_shared_vgpr_count 0
		.amdhsa_exception_fp_ieee_invalid_op 0
		.amdhsa_exception_fp_denorm_src 0
		.amdhsa_exception_fp_ieee_div_zero 0
		.amdhsa_exception_fp_ieee_overflow 0
		.amdhsa_exception_fp_ieee_underflow 0
		.amdhsa_exception_fp_ieee_inexact 0
		.amdhsa_exception_int_div_zero 0
	.end_amdhsa_kernel
	.section	.text._Z19sort_keys_segmentedILj256ELj32ELj1ExN10test_utils4lessEEvPKT2_PS2_PKjT3_,"axG",@progbits,_Z19sort_keys_segmentedILj256ELj32ELj1ExN10test_utils4lessEEvPKT2_PS2_PKjT3_,comdat
.Lfunc_end170:
	.size	_Z19sort_keys_segmentedILj256ELj32ELj1ExN10test_utils4lessEEvPKT2_PS2_PKjT3_, .Lfunc_end170-_Z19sort_keys_segmentedILj256ELj32ELj1ExN10test_utils4lessEEvPKT2_PS2_PKjT3_
                                        ; -- End function
	.section	.AMDGPU.csdata,"",@progbits
; Kernel info:
; codeLenInByte = 2176
; NumSgprs: 18
; NumVgprs: 21
; ScratchSize: 0
; MemoryBound: 0
; FloatMode: 240
; IeeeMode: 1
; LDSByteSize: 2112 bytes/workgroup (compile time only)
; SGPRBlocks: 2
; VGPRBlocks: 2
; NumSGPRsForWavesPerEU: 18
; NumVGPRsForWavesPerEU: 21
; Occupancy: 16
; WaveLimiterHint : 0
; COMPUTE_PGM_RSRC2:SCRATCH_EN: 0
; COMPUTE_PGM_RSRC2:USER_SGPR: 15
; COMPUTE_PGM_RSRC2:TRAP_HANDLER: 0
; COMPUTE_PGM_RSRC2:TGID_X_EN: 1
; COMPUTE_PGM_RSRC2:TGID_Y_EN: 0
; COMPUTE_PGM_RSRC2:TGID_Z_EN: 0
; COMPUTE_PGM_RSRC2:TIDIG_COMP_CNT: 0
	.section	.text._Z20sort_pairs_segmentedILj256ELj32ELj1ExN10test_utils4lessEEvPKT2_PS2_PKjT3_,"axG",@progbits,_Z20sort_pairs_segmentedILj256ELj32ELj1ExN10test_utils4lessEEvPKT2_PS2_PKjT3_,comdat
	.protected	_Z20sort_pairs_segmentedILj256ELj32ELj1ExN10test_utils4lessEEvPKT2_PS2_PKjT3_ ; -- Begin function _Z20sort_pairs_segmentedILj256ELj32ELj1ExN10test_utils4lessEEvPKT2_PS2_PKjT3_
	.globl	_Z20sort_pairs_segmentedILj256ELj32ELj1ExN10test_utils4lessEEvPKT2_PS2_PKjT3_
	.p2align	8
	.type	_Z20sort_pairs_segmentedILj256ELj32ELj1ExN10test_utils4lessEEvPKT2_PS2_PKjT3_,@function
_Z20sort_pairs_segmentedILj256ELj32ELj1ExN10test_utils4lessEEvPKT2_PS2_PKjT3_: ; @_Z20sort_pairs_segmentedILj256ELj32ELj1ExN10test_utils4lessEEvPKT2_PS2_PKjT3_
; %bb.0:
	s_clause 0x1
	s_load_b64 s[2:3], s[0:1], 0x10
	s_load_b128 s[4:7], s[0:1], 0x0
	v_lshrrev_b32_e32 v14, 5, v0
	v_mbcnt_lo_u32_b32 v5, -1, 0
	s_delay_alu instid0(VALU_DEP_2) | instskip(NEXT) | instid1(VALU_DEP_2)
	v_lshl_or_b32 v0, s15, 3, v14
	v_dual_mov_b32 v1, 0 :: v_dual_lshlrev_b32 v8, 3, v5
	s_delay_alu instid0(VALU_DEP_1) | instskip(SKIP_1) | instid1(VALU_DEP_1)
	v_lshlrev_b64 v[2:3], 2, v[0:1]
	v_lshlrev_b32_e32 v0, 5, v0
	v_lshlrev_b64 v[0:1], 3, v[0:1]
	s_waitcnt lgkmcnt(0)
	s_delay_alu instid0(VALU_DEP_3) | instskip(NEXT) | instid1(VALU_DEP_4)
	v_add_co_u32 v2, vcc_lo, s2, v2
	v_add_co_ci_u32_e32 v3, vcc_lo, s3, v3, vcc_lo
	global_load_b32 v4, v[2:3], off
                                        ; implicit-def: $vgpr2_vgpr3
	s_waitcnt vmcnt(0)
	v_cmp_lt_u32_e32 vcc_lo, v5, v4
	s_and_saveexec_b32 s1, vcc_lo
	s_cbranch_execz .LBB171_2
; %bb.1:
	v_add_co_u32 v2, s0, s4, v0
	s_delay_alu instid0(VALU_DEP_1) | instskip(NEXT) | instid1(VALU_DEP_2)
	v_add_co_ci_u32_e64 v3, s0, s5, v1, s0
	v_add_co_u32 v2, s0, v2, v8
	s_delay_alu instid0(VALU_DEP_1)
	v_add_co_ci_u32_e64 v3, s0, 0, v3, s0
	global_load_b64 v[2:3], v[2:3], off
.LBB171_2:
	s_or_b32 exec_lo, exec_lo, s1
	v_and_b32_e32 v6, 30, v5
	v_and_b32_e32 v9, 1, v5
	s_mov_b32 s1, exec_lo
	; wave barrier
	s_delay_alu instid0(VALU_DEP_2) | instskip(NEXT) | instid1(VALU_DEP_1)
	v_min_i32_e32 v7, v4, v6
	v_add_nc_u32_e32 v6, 1, v7
	v_lshlrev_b32_e32 v16, 3, v7
	s_delay_alu instid0(VALU_DEP_2) | instskip(NEXT) | instid1(VALU_DEP_1)
	v_min_i32_e32 v11, v4, v6
	v_add_nc_u32_e32 v6, 1, v11
	v_sub_nc_u32_e32 v15, v11, v7
	s_delay_alu instid0(VALU_DEP_2) | instskip(SKIP_1) | instid1(VALU_DEP_2)
	v_min_i32_e32 v12, v4, v6
	v_min_i32_e32 v6, v4, v9
	v_sub_nc_u32_e32 v9, v12, v11
	s_delay_alu instid0(VALU_DEP_2) | instskip(NEXT) | instid1(VALU_DEP_2)
	v_min_i32_e32 v15, v6, v15
	v_sub_nc_u32_e32 v10, v6, v9
	v_cmp_ge_i32_e64 s0, v6, v9
	v_mul_u32_u24_e32 v9, 0x108, v14
	s_delay_alu instid0(VALU_DEP_2)
	v_cndmask_b32_e64 v13, 0, v10, s0
	v_mad_u32_u24 v10, 0x108, v14, v8
	v_mad_u32_u24 v14, 0x108, v14, v16
	s_waitcnt vmcnt(0)
	ds_store_b64 v10, v[2:3]
	; wave barrier
	v_cmpx_lt_i32_e64 v13, v15
	s_cbranch_execz .LBB171_6
; %bb.3:
	v_lshlrev_b32_e32 v16, 3, v11
	v_lshlrev_b32_e32 v17, 3, v6
	s_mov_b32 s2, 0
	s_delay_alu instid0(VALU_DEP_1)
	v_add3_u32 v16, v9, v16, v17
	.p2align	6
.LBB171_4:                              ; =>This Inner Loop Header: Depth=1
	v_sub_nc_u32_e32 v17, v15, v13
	s_delay_alu instid0(VALU_DEP_1) | instskip(NEXT) | instid1(VALU_DEP_1)
	v_lshrrev_b32_e32 v18, 31, v17
	v_add_nc_u32_e32 v17, v17, v18
	s_delay_alu instid0(VALU_DEP_1) | instskip(NEXT) | instid1(VALU_DEP_1)
	v_ashrrev_i32_e32 v17, 1, v17
	v_add_nc_u32_e32 v21, v17, v13
	s_delay_alu instid0(VALU_DEP_1) | instskip(SKIP_1) | instid1(VALU_DEP_2)
	v_not_b32_e32 v17, v21
	v_lshl_add_u32 v18, v21, 3, v14
	v_lshl_add_u32 v19, v17, 3, v16
	ds_load_b64 v[17:18], v18
	ds_load_b64 v[19:20], v19
	s_waitcnt lgkmcnt(0)
	v_cmp_lt_i64_e64 s0, v[19:20], v[17:18]
	v_add_nc_u32_e32 v17, 1, v21
	s_delay_alu instid0(VALU_DEP_2) | instskip(NEXT) | instid1(VALU_DEP_2)
	v_cndmask_b32_e64 v15, v15, v21, s0
	v_cndmask_b32_e64 v13, v17, v13, s0
	s_delay_alu instid0(VALU_DEP_1) | instskip(NEXT) | instid1(VALU_DEP_1)
	v_cmp_ge_i32_e64 s0, v13, v15
	s_or_b32 s2, s0, s2
	s_delay_alu instid0(SALU_CYCLE_1)
	s_and_not1_b32 exec_lo, exec_lo, s2
	s_cbranch_execnz .LBB171_4
; %bb.5:
	s_or_b32 exec_lo, exec_lo, s2
.LBB171_6:
	s_delay_alu instid0(SALU_CYCLE_1) | instskip(SKIP_3) | instid1(VALU_DEP_1)
	s_or_b32 exec_lo, exec_lo, s1
	v_add_nc_u32_e32 v6, v11, v6
	v_add_nc_u32_e32 v7, v13, v7
	v_add_co_u32 v2, s3, v2, 1
	v_add_co_ci_u32_e64 v3, s3, 0, v3, s3
	s_delay_alu instid0(VALU_DEP_4) | instskip(SKIP_2) | instid1(VALU_DEP_3)
	v_sub_nc_u32_e32 v18, v6, v13
	v_lshl_add_u32 v6, v13, 3, v14
	v_cmp_le_i32_e64 s0, v11, v7
	v_lshl_add_u32 v16, v18, 3, v9
	v_cmp_gt_i32_e64 s1, v12, v18
	ds_load_b64 v[14:15], v6
	ds_load_b64 v[16:17], v16
	v_and_b32_e32 v6, 28, v5
	; wave barrier
	ds_store_b64 v10, v[2:3]
	v_and_b32_e32 v2, 3, v5
	v_min_i32_e32 v6, v4, v6
	; wave barrier
	s_delay_alu instid0(VALU_DEP_1) | instskip(NEXT) | instid1(VALU_DEP_1)
	v_add_nc_u32_e32 v13, 2, v6
	v_min_i32_e32 v11, v4, v13
	s_waitcnt lgkmcnt(1)
	v_cmp_lt_i64_e64 s2, v[16:17], v[14:15]
	s_delay_alu instid0(VALU_DEP_2) | instskip(NEXT) | instid1(VALU_DEP_1)
	v_add_nc_u32_e32 v12, 2, v11
	v_min_i32_e32 v12, v4, v12
	s_delay_alu instid0(VALU_DEP_3) | instskip(SKIP_2) | instid1(SALU_CYCLE_1)
	s_or_b32 s0, s0, s2
	s_mov_b32 s2, 0
	s_and_b32 s0, s1, s0
	v_cndmask_b32_e64 v7, v7, v18, s0
	v_sub_nc_u32_e32 v13, v12, v11
	v_cndmask_b32_e64 v17, v15, v17, s0
	v_sub_nc_u32_e32 v18, v11, v6
	v_cndmask_b32_e64 v16, v14, v16, s0
	v_lshl_add_u32 v3, v7, 3, v9
	v_min_i32_e32 v7, v4, v2
	v_lshl_add_u32 v14, v6, 3, v9
	ds_load_b64 v[2:3], v3
	v_sub_nc_u32_e32 v15, v7, v13
	v_cmp_ge_i32_e64 s1, v7, v13
	; wave barrier
	ds_store_b64 v10, v[16:17]
	v_cndmask_b32_e64 v13, 0, v15, s1
	v_min_i32_e32 v15, v7, v18
	s_mov_b32 s1, exec_lo
	; wave barrier
	s_delay_alu instid0(VALU_DEP_1)
	v_cmpx_lt_i32_e64 v13, v15
	s_cbranch_execz .LBB171_10
; %bb.7:
	v_lshlrev_b32_e32 v16, 3, v11
	v_lshlrev_b32_e32 v17, 3, v7
	s_delay_alu instid0(VALU_DEP_1)
	v_add3_u32 v16, v9, v16, v17
	.p2align	6
.LBB171_8:                              ; =>This Inner Loop Header: Depth=1
	v_sub_nc_u32_e32 v17, v15, v13
	s_delay_alu instid0(VALU_DEP_1) | instskip(NEXT) | instid1(VALU_DEP_1)
	v_lshrrev_b32_e32 v18, 31, v17
	v_add_nc_u32_e32 v17, v17, v18
	s_delay_alu instid0(VALU_DEP_1) | instskip(NEXT) | instid1(VALU_DEP_1)
	v_ashrrev_i32_e32 v17, 1, v17
	v_add_nc_u32_e32 v21, v17, v13
	s_delay_alu instid0(VALU_DEP_1) | instskip(SKIP_1) | instid1(VALU_DEP_2)
	v_not_b32_e32 v17, v21
	v_lshl_add_u32 v18, v21, 3, v14
	v_lshl_add_u32 v19, v17, 3, v16
	ds_load_b64 v[17:18], v18
	ds_load_b64 v[19:20], v19
	s_waitcnt lgkmcnt(0)
	v_cmp_lt_i64_e64 s0, v[19:20], v[17:18]
	v_add_nc_u32_e32 v17, 1, v21
	s_delay_alu instid0(VALU_DEP_2) | instskip(NEXT) | instid1(VALU_DEP_2)
	v_cndmask_b32_e64 v15, v15, v21, s0
	v_cndmask_b32_e64 v13, v17, v13, s0
	s_delay_alu instid0(VALU_DEP_1) | instskip(NEXT) | instid1(VALU_DEP_1)
	v_cmp_ge_i32_e64 s0, v13, v15
	s_or_b32 s2, s0, s2
	s_delay_alu instid0(SALU_CYCLE_1)
	s_and_not1_b32 exec_lo, exec_lo, s2
	s_cbranch_execnz .LBB171_8
; %bb.9:
	s_or_b32 exec_lo, exec_lo, s2
.LBB171_10:
	s_delay_alu instid0(SALU_CYCLE_1) | instskip(SKIP_2) | instid1(VALU_DEP_2)
	s_or_b32 exec_lo, exec_lo, s1
	v_add_nc_u32_e32 v7, v11, v7
	v_add_nc_u32_e32 v6, v13, v6
	v_sub_nc_u32_e32 v18, v7, v13
	v_lshl_add_u32 v7, v13, 3, v14
	s_delay_alu instid0(VALU_DEP_3) | instskip(NEXT) | instid1(VALU_DEP_3)
	v_cmp_le_i32_e64 s1, v11, v6
	v_lshl_add_u32 v16, v18, 3, v9
	v_cmp_gt_i32_e64 s2, v12, v18
	ds_load_b64 v[14:15], v7
	ds_load_b64 v[16:17], v16
	v_and_b32_e32 v7, 24, v5
	; wave barrier
	s_waitcnt lgkmcnt(3)
	ds_store_b64 v10, v[2:3]
	v_and_b32_e32 v2, 7, v5
	v_min_i32_e32 v7, v4, v7
	; wave barrier
	s_delay_alu instid0(VALU_DEP_1) | instskip(NEXT) | instid1(VALU_DEP_1)
	v_add_nc_u32_e32 v13, 4, v7
	v_min_i32_e32 v11, v4, v13
	s_waitcnt lgkmcnt(1)
	v_cmp_lt_i64_e64 s0, v[16:17], v[14:15]
	s_delay_alu instid0(VALU_DEP_2) | instskip(NEXT) | instid1(VALU_DEP_1)
	v_add_nc_u32_e32 v12, 4, v11
	v_min_i32_e32 v12, v4, v12
	s_delay_alu instid0(VALU_DEP_3) | instskip(NEXT) | instid1(SALU_CYCLE_1)
	s_or_b32 s0, s1, s0
	s_and_b32 s0, s2, s0
	s_mov_b32 s2, 0
	v_cndmask_b32_e64 v6, v6, v18, s0
	v_sub_nc_u32_e32 v13, v12, v11
	v_cndmask_b32_e64 v17, v15, v17, s0
	v_sub_nc_u32_e32 v18, v11, v7
	v_cndmask_b32_e64 v16, v14, v16, s0
	v_lshl_add_u32 v3, v6, 3, v9
	v_min_i32_e32 v6, v4, v2
	v_lshl_add_u32 v14, v7, 3, v9
	ds_load_b64 v[2:3], v3
	v_sub_nc_u32_e32 v15, v6, v13
	v_cmp_ge_i32_e64 s1, v6, v13
	; wave barrier
	ds_store_b64 v10, v[16:17]
	v_cndmask_b32_e64 v13, 0, v15, s1
	v_min_i32_e32 v15, v6, v18
	s_mov_b32 s1, exec_lo
	; wave barrier
	s_delay_alu instid0(VALU_DEP_1)
	v_cmpx_lt_i32_e64 v13, v15
	s_cbranch_execz .LBB171_14
; %bb.11:
	v_lshlrev_b32_e32 v16, 3, v11
	v_lshlrev_b32_e32 v17, 3, v6
	s_delay_alu instid0(VALU_DEP_1)
	v_add3_u32 v16, v9, v16, v17
	.p2align	6
.LBB171_12:                             ; =>This Inner Loop Header: Depth=1
	v_sub_nc_u32_e32 v17, v15, v13
	s_delay_alu instid0(VALU_DEP_1) | instskip(NEXT) | instid1(VALU_DEP_1)
	v_lshrrev_b32_e32 v18, 31, v17
	v_add_nc_u32_e32 v17, v17, v18
	s_delay_alu instid0(VALU_DEP_1) | instskip(NEXT) | instid1(VALU_DEP_1)
	v_ashrrev_i32_e32 v17, 1, v17
	v_add_nc_u32_e32 v21, v17, v13
	s_delay_alu instid0(VALU_DEP_1) | instskip(SKIP_1) | instid1(VALU_DEP_2)
	v_not_b32_e32 v17, v21
	v_lshl_add_u32 v18, v21, 3, v14
	v_lshl_add_u32 v19, v17, 3, v16
	ds_load_b64 v[17:18], v18
	ds_load_b64 v[19:20], v19
	s_waitcnt lgkmcnt(0)
	v_cmp_lt_i64_e64 s0, v[19:20], v[17:18]
	v_add_nc_u32_e32 v17, 1, v21
	s_delay_alu instid0(VALU_DEP_2) | instskip(NEXT) | instid1(VALU_DEP_2)
	v_cndmask_b32_e64 v15, v15, v21, s0
	v_cndmask_b32_e64 v13, v17, v13, s0
	s_delay_alu instid0(VALU_DEP_1) | instskip(NEXT) | instid1(VALU_DEP_1)
	v_cmp_ge_i32_e64 s0, v13, v15
	s_or_b32 s2, s0, s2
	s_delay_alu instid0(SALU_CYCLE_1)
	s_and_not1_b32 exec_lo, exec_lo, s2
	s_cbranch_execnz .LBB171_12
; %bb.13:
	s_or_b32 exec_lo, exec_lo, s2
.LBB171_14:
	s_delay_alu instid0(SALU_CYCLE_1) | instskip(SKIP_1) | instid1(VALU_DEP_1)
	s_or_b32 exec_lo, exec_lo, s1
	v_add_nc_u32_e32 v6, v11, v6
	v_sub_nc_u32_e32 v18, v6, v13
	v_lshl_add_u32 v6, v13, 3, v14
	v_add_nc_u32_e32 v13, v13, v7
	s_delay_alu instid0(VALU_DEP_3) | instskip(SKIP_1) | instid1(VALU_DEP_3)
	v_lshl_add_u32 v16, v18, 3, v9
	v_cmp_gt_i32_e64 s2, v12, v18
	v_cmp_le_i32_e64 s1, v11, v13
	ds_load_b64 v[14:15], v6
	ds_load_b64 v[16:17], v16
	v_and_b32_e32 v6, 16, v5
	; wave barrier
	s_waitcnt lgkmcnt(3)
	ds_store_b64 v10, v[2:3]
	v_and_b32_e32 v2, 15, v5
	v_min_i32_e32 v6, v4, v6
	; wave barrier
	s_delay_alu instid0(VALU_DEP_1) | instskip(NEXT) | instid1(VALU_DEP_1)
	v_add_nc_u32_e32 v7, 8, v6
	v_min_i32_e32 v7, v4, v7
	s_waitcnt lgkmcnt(1)
	v_cmp_lt_i64_e64 s0, v[16:17], v[14:15]
	s_delay_alu instid0(VALU_DEP_2) | instskip(NEXT) | instid1(VALU_DEP_1)
	v_add_nc_u32_e32 v11, 8, v7
	v_min_i32_e32 v11, v4, v11
	s_delay_alu instid0(VALU_DEP_3) | instskip(NEXT) | instid1(SALU_CYCLE_1)
	s_or_b32 s0, s1, s0
	s_and_b32 s0, s2, s0
	s_mov_b32 s2, 0
	v_cndmask_b32_e64 v12, v13, v18, s0
	v_sub_nc_u32_e32 v13, v11, v7
	v_cndmask_b32_e64 v17, v15, v17, s0
	v_sub_nc_u32_e32 v18, v7, v6
	v_cndmask_b32_e64 v16, v14, v16, s0
	v_lshl_add_u32 v3, v12, 3, v9
	v_min_i32_e32 v12, v4, v2
	v_lshl_add_u32 v14, v6, 3, v9
	ds_load_b64 v[2:3], v3
	v_sub_nc_u32_e32 v15, v12, v13
	v_cmp_ge_i32_e64 s1, v12, v13
	; wave barrier
	ds_store_b64 v10, v[16:17]
	v_cndmask_b32_e64 v13, 0, v15, s1
	v_min_i32_e32 v15, v12, v18
	s_mov_b32 s1, exec_lo
	; wave barrier
	s_delay_alu instid0(VALU_DEP_1)
	v_cmpx_lt_i32_e64 v13, v15
	s_cbranch_execz .LBB171_18
; %bb.15:
	v_lshlrev_b32_e32 v16, 3, v7
	v_lshlrev_b32_e32 v17, 3, v12
	s_delay_alu instid0(VALU_DEP_1)
	v_add3_u32 v16, v9, v16, v17
	.p2align	6
.LBB171_16:                             ; =>This Inner Loop Header: Depth=1
	v_sub_nc_u32_e32 v17, v15, v13
	s_delay_alu instid0(VALU_DEP_1) | instskip(NEXT) | instid1(VALU_DEP_1)
	v_lshrrev_b32_e32 v18, 31, v17
	v_add_nc_u32_e32 v17, v17, v18
	s_delay_alu instid0(VALU_DEP_1) | instskip(NEXT) | instid1(VALU_DEP_1)
	v_ashrrev_i32_e32 v17, 1, v17
	v_add_nc_u32_e32 v21, v17, v13
	s_delay_alu instid0(VALU_DEP_1) | instskip(SKIP_1) | instid1(VALU_DEP_2)
	v_not_b32_e32 v17, v21
	v_lshl_add_u32 v18, v21, 3, v14
	v_lshl_add_u32 v19, v17, 3, v16
	ds_load_b64 v[17:18], v18
	ds_load_b64 v[19:20], v19
	s_waitcnt lgkmcnt(0)
	v_cmp_lt_i64_e64 s0, v[19:20], v[17:18]
	v_add_nc_u32_e32 v17, 1, v21
	s_delay_alu instid0(VALU_DEP_2) | instskip(NEXT) | instid1(VALU_DEP_2)
	v_cndmask_b32_e64 v15, v15, v21, s0
	v_cndmask_b32_e64 v13, v17, v13, s0
	s_delay_alu instid0(VALU_DEP_1) | instskip(NEXT) | instid1(VALU_DEP_1)
	v_cmp_ge_i32_e64 s0, v13, v15
	s_or_b32 s2, s0, s2
	s_delay_alu instid0(SALU_CYCLE_1)
	s_and_not1_b32 exec_lo, exec_lo, s2
	s_cbranch_execnz .LBB171_16
; %bb.17:
	s_or_b32 exec_lo, exec_lo, s2
.LBB171_18:
	s_delay_alu instid0(SALU_CYCLE_1) | instskip(SKIP_2) | instid1(VALU_DEP_2)
	s_or_b32 exec_lo, exec_lo, s1
	v_add_nc_u32_e32 v12, v7, v12
	v_add_nc_u32_e32 v6, v13, v6
	v_sub_nc_u32_e32 v19, v12, v13
	v_lshl_add_u32 v12, v13, 3, v14
	s_delay_alu instid0(VALU_DEP_3) | instskip(NEXT) | instid1(VALU_DEP_3)
	v_cmp_le_i32_e64 s1, v7, v6
	v_lshl_add_u32 v14, v19, 3, v9
	v_cmp_gt_i32_e64 s2, v11, v19
	ds_load_b64 v[15:16], v12
	ds_load_b64 v[17:18], v14
	v_min_i32_e32 v12, 0, v4
	; wave barrier
	s_waitcnt lgkmcnt(3)
	ds_store_b64 v10, v[2:3]
	v_add_nc_u32_e32 v13, 16, v12
	; wave barrier
	s_delay_alu instid0(VALU_DEP_1) | instskip(NEXT) | instid1(VALU_DEP_1)
	v_min_i32_e32 v11, v4, v13
	v_add_nc_u32_e32 v7, 16, v11
	s_waitcnt lgkmcnt(1)
	v_cmp_lt_i64_e64 s0, v[17:18], v[15:16]
	s_delay_alu instid0(VALU_DEP_2) | instskip(SKIP_2) | instid1(VALU_DEP_3)
	v_min_i32_e32 v13, v4, v7
	v_min_i32_e32 v4, v4, v5
	v_sub_nc_u32_e32 v7, v11, v12
	v_sub_nc_u32_e32 v5, v13, v11
	s_or_b32 s0, s1, s0
	s_delay_alu instid0(SALU_CYCLE_1)
	s_and_b32 s0, s2, s0
	s_mov_b32 s2, 0
	v_cndmask_b32_e64 v6, v6, v19, s0
	v_cmp_ge_i32_e64 s1, v4, v5
	v_cndmask_b32_e64 v16, v16, v18, s0
	v_cndmask_b32_e64 v15, v15, v17, s0
	s_delay_alu instid0(VALU_DEP_4)
	v_lshl_add_u32 v2, v6, 3, v9
	v_sub_nc_u32_e32 v6, v4, v5
	v_lshl_add_u32 v5, v12, 3, v9
	ds_load_b64 v[2:3], v2
	v_cndmask_b32_e64 v14, 0, v6, s1
	v_min_i32_e32 v6, v4, v7
	s_mov_b32 s1, exec_lo
	; wave barrier
	ds_store_b64 v10, v[15:16]
	; wave barrier
	v_cmpx_lt_i32_e64 v14, v6
	s_cbranch_execz .LBB171_22
; %bb.19:
	v_lshlrev_b32_e32 v7, 3, v11
	v_lshlrev_b32_e32 v15, 3, v4
	s_delay_alu instid0(VALU_DEP_1)
	v_add3_u32 v7, v9, v7, v15
	.p2align	6
.LBB171_20:                             ; =>This Inner Loop Header: Depth=1
	v_sub_nc_u32_e32 v15, v6, v14
	s_delay_alu instid0(VALU_DEP_1) | instskip(NEXT) | instid1(VALU_DEP_1)
	v_lshrrev_b32_e32 v16, 31, v15
	v_add_nc_u32_e32 v15, v15, v16
	s_delay_alu instid0(VALU_DEP_1) | instskip(NEXT) | instid1(VALU_DEP_1)
	v_ashrrev_i32_e32 v15, 1, v15
	v_add_nc_u32_e32 v19, v15, v14
	s_delay_alu instid0(VALU_DEP_1) | instskip(SKIP_1) | instid1(VALU_DEP_2)
	v_not_b32_e32 v15, v19
	v_lshl_add_u32 v16, v19, 3, v5
	v_lshl_add_u32 v17, v15, 3, v7
	ds_load_b64 v[15:16], v16
	ds_load_b64 v[17:18], v17
	s_waitcnt lgkmcnt(0)
	v_cmp_lt_i64_e64 s0, v[17:18], v[15:16]
	v_add_nc_u32_e32 v15, 1, v19
	s_delay_alu instid0(VALU_DEP_2) | instskip(NEXT) | instid1(VALU_DEP_2)
	v_cndmask_b32_e64 v6, v6, v19, s0
	v_cndmask_b32_e64 v14, v15, v14, s0
	s_delay_alu instid0(VALU_DEP_1) | instskip(NEXT) | instid1(VALU_DEP_1)
	v_cmp_ge_i32_e64 s0, v14, v6
	s_or_b32 s2, s0, s2
	s_delay_alu instid0(SALU_CYCLE_1)
	s_and_not1_b32 exec_lo, exec_lo, s2
	s_cbranch_execnz .LBB171_20
; %bb.21:
	s_or_b32 exec_lo, exec_lo, s2
.LBB171_22:
	s_delay_alu instid0(SALU_CYCLE_1) | instskip(SKIP_1) | instid1(VALU_DEP_1)
	s_or_b32 exec_lo, exec_lo, s1
	v_add_nc_u32_e32 v4, v11, v4
	v_sub_nc_u32_e32 v15, v4, v14
	v_lshl_add_u32 v4, v14, 3, v5
	s_delay_alu instid0(VALU_DEP_2)
	v_lshl_add_u32 v6, v15, 3, v9
	ds_load_b64 v[4:5], v4
	ds_load_b64 v[6:7], v6
	; wave barrier
	s_waitcnt lgkmcnt(3)
	ds_store_b64 v10, v[2:3]
	; wave barrier
	s_and_saveexec_b32 s0, vcc_lo
	s_cbranch_execz .LBB171_24
; %bb.23:
	v_add_nc_u32_e32 v2, v14, v12
	s_waitcnt lgkmcnt(1)
	v_cmp_lt_i64_e32 vcc_lo, v[6:7], v[4:5]
	v_cmp_gt_i32_e64 s1, v13, v15
	s_delay_alu instid0(VALU_DEP_3) | instskip(NEXT) | instid1(VALU_DEP_1)
	v_cmp_le_i32_e64 s0, v11, v2
	s_or_b32 s0, s0, vcc_lo
	s_delay_alu instid0(VALU_DEP_2) | instid1(SALU_CYCLE_1)
	s_and_b32 vcc_lo, s1, s0
	v_add_co_u32 v0, s0, s6, v0
	v_cndmask_b32_e32 v5, v5, v7, vcc_lo
	v_cndmask_b32_e32 v2, v2, v15, vcc_lo
	v_add_co_ci_u32_e64 v1, s0, s7, v1, s0
	v_cndmask_b32_e32 v4, v4, v6, vcc_lo
	v_add_co_u32 v0, vcc_lo, v0, v8
	s_delay_alu instid0(VALU_DEP_4) | instskip(NEXT) | instid1(VALU_DEP_4)
	v_lshl_add_u32 v2, v2, 3, v9
	v_add_co_ci_u32_e32 v1, vcc_lo, 0, v1, vcc_lo
	ds_load_b64 v[2:3], v2
	s_waitcnt lgkmcnt(0)
	v_add_co_u32 v2, vcc_lo, v2, v4
	v_add_co_ci_u32_e32 v3, vcc_lo, v3, v5, vcc_lo
	global_store_b64 v[0:1], v[2:3], off
.LBB171_24:
	s_nop 0
	s_sendmsg sendmsg(MSG_DEALLOC_VGPRS)
	s_endpgm
	.section	.rodata,"a",@progbits
	.p2align	6, 0x0
	.amdhsa_kernel _Z20sort_pairs_segmentedILj256ELj32ELj1ExN10test_utils4lessEEvPKT2_PS2_PKjT3_
		.amdhsa_group_segment_fixed_size 2112
		.amdhsa_private_segment_fixed_size 0
		.amdhsa_kernarg_size 28
		.amdhsa_user_sgpr_count 15
		.amdhsa_user_sgpr_dispatch_ptr 0
		.amdhsa_user_sgpr_queue_ptr 0
		.amdhsa_user_sgpr_kernarg_segment_ptr 1
		.amdhsa_user_sgpr_dispatch_id 0
		.amdhsa_user_sgpr_private_segment_size 0
		.amdhsa_wavefront_size32 1
		.amdhsa_uses_dynamic_stack 0
		.amdhsa_enable_private_segment 0
		.amdhsa_system_sgpr_workgroup_id_x 1
		.amdhsa_system_sgpr_workgroup_id_y 0
		.amdhsa_system_sgpr_workgroup_id_z 0
		.amdhsa_system_sgpr_workgroup_info 0
		.amdhsa_system_vgpr_workitem_id 0
		.amdhsa_next_free_vgpr 22
		.amdhsa_next_free_sgpr 16
		.amdhsa_reserve_vcc 1
		.amdhsa_float_round_mode_32 0
		.amdhsa_float_round_mode_16_64 0
		.amdhsa_float_denorm_mode_32 3
		.amdhsa_float_denorm_mode_16_64 3
		.amdhsa_dx10_clamp 1
		.amdhsa_ieee_mode 1
		.amdhsa_fp16_overflow 0
		.amdhsa_workgroup_processor_mode 1
		.amdhsa_memory_ordered 1
		.amdhsa_forward_progress 0
		.amdhsa_shared_vgpr_count 0
		.amdhsa_exception_fp_ieee_invalid_op 0
		.amdhsa_exception_fp_denorm_src 0
		.amdhsa_exception_fp_ieee_div_zero 0
		.amdhsa_exception_fp_ieee_overflow 0
		.amdhsa_exception_fp_ieee_underflow 0
		.amdhsa_exception_fp_ieee_inexact 0
		.amdhsa_exception_int_div_zero 0
	.end_amdhsa_kernel
	.section	.text._Z20sort_pairs_segmentedILj256ELj32ELj1ExN10test_utils4lessEEvPKT2_PS2_PKjT3_,"axG",@progbits,_Z20sort_pairs_segmentedILj256ELj32ELj1ExN10test_utils4lessEEvPKT2_PS2_PKjT3_,comdat
.Lfunc_end171:
	.size	_Z20sort_pairs_segmentedILj256ELj32ELj1ExN10test_utils4lessEEvPKT2_PS2_PKjT3_, .Lfunc_end171-_Z20sort_pairs_segmentedILj256ELj32ELj1ExN10test_utils4lessEEvPKT2_PS2_PKjT3_
                                        ; -- End function
	.section	.AMDGPU.csdata,"",@progbits
; Kernel info:
; codeLenInByte = 2360
; NumSgprs: 18
; NumVgprs: 22
; ScratchSize: 0
; MemoryBound: 0
; FloatMode: 240
; IeeeMode: 1
; LDSByteSize: 2112 bytes/workgroup (compile time only)
; SGPRBlocks: 2
; VGPRBlocks: 2
; NumSGPRsForWavesPerEU: 18
; NumVGPRsForWavesPerEU: 22
; Occupancy: 16
; WaveLimiterHint : 0
; COMPUTE_PGM_RSRC2:SCRATCH_EN: 0
; COMPUTE_PGM_RSRC2:USER_SGPR: 15
; COMPUTE_PGM_RSRC2:TRAP_HANDLER: 0
; COMPUTE_PGM_RSRC2:TGID_X_EN: 1
; COMPUTE_PGM_RSRC2:TGID_Y_EN: 0
; COMPUTE_PGM_RSRC2:TGID_Z_EN: 0
; COMPUTE_PGM_RSRC2:TIDIG_COMP_CNT: 0
	.section	.text._Z9sort_keysILj256ELj32ELj4ExN10test_utils4lessEEvPKT2_PS2_T3_,"axG",@progbits,_Z9sort_keysILj256ELj32ELj4ExN10test_utils4lessEEvPKT2_PS2_T3_,comdat
	.protected	_Z9sort_keysILj256ELj32ELj4ExN10test_utils4lessEEvPKT2_PS2_T3_ ; -- Begin function _Z9sort_keysILj256ELj32ELj4ExN10test_utils4lessEEvPKT2_PS2_T3_
	.globl	_Z9sort_keysILj256ELj32ELj4ExN10test_utils4lessEEvPKT2_PS2_T3_
	.p2align	8
	.type	_Z9sort_keysILj256ELj32ELj4ExN10test_utils4lessEEvPKT2_PS2_T3_,@function
_Z9sort_keysILj256ELj32ELj4ExN10test_utils4lessEEvPKT2_PS2_T3_: ; @_Z9sort_keysILj256ELj32ELj4ExN10test_utils4lessEEvPKT2_PS2_T3_
; %bb.0:
	s_load_b128 s[4:7], s[0:1], 0x0
	s_mov_b32 s3, 0
	s_lshl_b32 s2, s15, 10
	v_lshlrev_b32_e32 v1, 5, v0
	s_lshl_b64 s[8:9], s[2:3], 3
	v_lshlrev_b32_e32 v16, 2, v0
	v_lshrrev_b32_e32 v2, 5, v0
	s_delay_alu instid0(VALU_DEP_1)
	v_mul_u32_u24_e32 v17, 0x408, v2
	s_waitcnt lgkmcnt(0)
	s_add_u32 s0, s4, s8
	s_addc_u32 s1, s5, s9
	s_clause 0x1
	global_load_b128 v[6:9], v1, s[0:1]
	global_load_b128 v[10:13], v1, s[0:1] offset:16
	v_mbcnt_lo_u32_b32 v1, -1, 0
	; wave barrier
	s_delay_alu instid0(VALU_DEP_1) | instskip(SKIP_1) | instid1(VALU_DEP_2)
	v_lshlrev_b32_e32 v18, 2, v1
	v_lshlrev_b32_e32 v1, 5, v1
	v_and_b32_e32 v4, 0x78, v18
	v_and_b32_e32 v0, 4, v18
	s_delay_alu instid0(VALU_DEP_3) | instskip(NEXT) | instid1(VALU_DEP_3)
	v_mad_u32_u24 v19, 0x408, v2, v1
	v_or_b32_e32 v21, 4, v4
	v_add_nc_u32_e32 v20, 8, v4
	v_lshlrev_b32_e32 v5, 3, v4
	s_delay_alu instid0(VALU_DEP_2) | instskip(NEXT) | instid1(VALU_DEP_2)
	v_sub_nc_u32_e32 v3, v20, v21
	v_mad_u32_u24 v1, 0x408, v2, v5
	s_delay_alu instid0(VALU_DEP_2) | instskip(SKIP_1) | instid1(VALU_DEP_2)
	v_sub_nc_u32_e32 v15, v0, v3
	v_cmp_ge_i32_e32 vcc_lo, v0, v3
	v_cndmask_b32_e32 v5, 0, v15, vcc_lo
	s_waitcnt vmcnt(1)
	v_cmp_gt_i64_e32 vcc_lo, v[8:9], v[6:7]
	s_waitcnt vmcnt(0)
	v_cmp_lt_i64_e64 s0, v[12:13], v[10:11]
	v_cmp_lt_i64_e64 s1, v[8:9], v[6:7]
	v_cndmask_b32_e32 v15, v7, v9, vcc_lo
	v_sub_nc_u32_e32 v14, v21, v4
	s_delay_alu instid0(VALU_DEP_4)
	v_cndmask_b32_e64 v23, v11, v13, s0
	v_cndmask_b32_e64 v22, v10, v12, s0
	;; [unrolled: 1-line block ×4, first 2 shown]
	v_min_i32_e32 v2, v0, v14
	v_cndmask_b32_e32 v14, v6, v8, vcc_lo
	v_cmp_gt_i64_e32 vcc_lo, v[12:13], v[10:11]
	v_cndmask_b32_e64 v7, v7, v9, s1
	v_cndmask_b32_e64 v6, v6, v8, s1
	;; [unrolled: 1-line block ×3, first 2 shown]
	v_cmp_gt_i64_e64 s1, v[22:23], v[14:15]
	v_cmp_lt_i64_e64 s2, v[22:23], v[14:15]
	v_dual_cndmask_b32 v25, v11, v13 :: v_dual_cndmask_b32 v24, v10, v12
	v_cmp_lt_i64_e32 vcc_lo, v[22:23], v[6:7]
	v_cndmask_b32_e64 v8, v13, v11, s0
	v_cndmask_b32_e64 v29, v15, v23, s1
	;; [unrolled: 1-line block ×8, first 2 shown]
	v_cndmask_b32_e32 v9, v7, v12, vcc_lo
	v_cndmask_b32_e32 v23, v23, v7, vcc_lo
	v_cmp_gt_i64_e64 s0, v[14:15], v[24:25]
	v_dual_cndmask_b32 v13, v12, v7 :: v_dual_cndmask_b32 v12, v30, v6
	v_cndmask_b32_e64 v3, v3, v22, s2
	s_delay_alu instid0(VALU_DEP_3) | instskip(SKIP_1) | instid1(VALU_DEP_3)
	v_cndmask_b32_e64 v15, v29, v25, s0
	v_cndmask_b32_e64 v14, v28, v24, s0
	v_cndmask_b32_e32 v3, v3, v6, vcc_lo
	v_cndmask_b32_e64 v11, v8, v29, s0
	v_cndmask_b32_e32 v8, v6, v30, vcc_lo
	v_cndmask_b32_e64 v22, v10, v25, s0
	v_cmp_lt_i64_e64 s1, v[14:15], v[12:13]
	v_cndmask_b32_e64 v6, v31, v24, s0
	v_cndmask_b32_e64 v10, v26, v28, s0
	s_mov_b32 s0, exec_lo
	s_delay_alu instid0(VALU_DEP_3)
	v_cndmask_b32_e64 v15, v23, v15, s1
	v_cndmask_b32_e64 v14, v3, v14, s1
	;; [unrolled: 1-line block ×4, first 2 shown]
	ds_store_2addr_b64 v19, v[8:9], v[14:15] offset1:1
	ds_store_2addr_b64 v19, v[6:7], v[10:11] offset0:2 offset1:3
	; wave barrier
	v_cmpx_lt_i32_e64 v5, v2
	s_cbranch_execz .LBB172_4
; %bb.1:
	v_lshlrev_b32_e32 v3, 3, v21
	v_lshlrev_b32_e32 v6, 3, v0
	s_delay_alu instid0(VALU_DEP_1)
	v_add3_u32 v3, v17, v3, v6
	.p2align	6
.LBB172_2:                              ; =>This Inner Loop Header: Depth=1
	v_sub_nc_u32_e32 v6, v2, v5
	s_delay_alu instid0(VALU_DEP_1) | instskip(NEXT) | instid1(VALU_DEP_1)
	v_lshrrev_b32_e32 v7, 31, v6
	v_add_nc_u32_e32 v6, v6, v7
	s_delay_alu instid0(VALU_DEP_1) | instskip(NEXT) | instid1(VALU_DEP_1)
	v_ashrrev_i32_e32 v6, 1, v6
	v_add_nc_u32_e32 v10, v6, v5
	s_delay_alu instid0(VALU_DEP_1) | instskip(SKIP_1) | instid1(VALU_DEP_2)
	v_not_b32_e32 v6, v10
	v_lshl_add_u32 v7, v10, 3, v1
	v_lshl_add_u32 v8, v6, 3, v3
	ds_load_b64 v[6:7], v7
	ds_load_b64 v[8:9], v8
	s_waitcnt lgkmcnt(0)
	v_cmp_lt_i64_e32 vcc_lo, v[8:9], v[6:7]
	v_add_nc_u32_e32 v6, 1, v10
	v_cndmask_b32_e32 v2, v2, v10, vcc_lo
	s_delay_alu instid0(VALU_DEP_2) | instskip(NEXT) | instid1(VALU_DEP_1)
	v_cndmask_b32_e32 v5, v6, v5, vcc_lo
	v_cmp_ge_i32_e32 vcc_lo, v5, v2
	s_or_b32 s3, vcc_lo, s3
	s_delay_alu instid0(SALU_CYCLE_1)
	s_and_not1_b32 exec_lo, exec_lo, s3
	s_cbranch_execnz .LBB172_2
; %bb.3:
	s_or_b32 exec_lo, exec_lo, s3
.LBB172_4:
	s_delay_alu instid0(SALU_CYCLE_1) | instskip(SKIP_3) | instid1(VALU_DEP_3)
	s_or_b32 exec_lo, exec_lo, s0
	v_add_nc_u32_e32 v0, v21, v0
	v_lshl_add_u32 v6, v5, 3, v1
	v_add_nc_u32_e32 v9, v5, v4
	v_sub_nc_u32_e32 v8, v0, v5
                                        ; implicit-def: $vgpr4_vgpr5
	s_delay_alu instid0(VALU_DEP_2) | instskip(NEXT) | instid1(VALU_DEP_2)
	v_cmp_le_i32_e64 s0, v21, v9
	v_lshl_add_u32 v10, v8, 3, v17
	v_cmp_gt_i32_e64 s1, v20, v8
	ds_load_b64 v[0:1], v6
	ds_load_b64 v[2:3], v10
	s_waitcnt lgkmcnt(0)
	v_cmp_lt_i64_e32 vcc_lo, v[2:3], v[0:1]
	s_or_b32 s0, s0, vcc_lo
	s_delay_alu instid0(SALU_CYCLE_1) | instskip(NEXT) | instid1(SALU_CYCLE_1)
	s_and_b32 vcc_lo, s1, s0
	s_xor_b32 s0, vcc_lo, -1
	s_delay_alu instid0(SALU_CYCLE_1) | instskip(NEXT) | instid1(SALU_CYCLE_1)
	s_and_saveexec_b32 s1, s0
	s_xor_b32 s0, exec_lo, s1
	s_cbranch_execz .LBB172_6
; %bb.5:
	ds_load_b64 v[4:5], v6 offset:8
                                        ; implicit-def: $vgpr10
.LBB172_6:
	s_or_saveexec_b32 s0, s0
	v_dual_mov_b32 v7, v3 :: v_dual_mov_b32 v6, v2
	s_xor_b32 exec_lo, exec_lo, s0
	s_cbranch_execz .LBB172_8
; %bb.7:
	ds_load_b64 v[6:7], v10 offset:8
	s_waitcnt lgkmcnt(1)
	v_dual_mov_b32 v5, v1 :: v_dual_mov_b32 v4, v0
.LBB172_8:
	s_or_b32 exec_lo, exec_lo, s0
	v_add_nc_u32_e32 v10, 1, v9
	v_add_nc_u32_e32 v11, 1, v8
	s_waitcnt lgkmcnt(0)
	v_cmp_lt_i64_e64 s0, v[6:7], v[4:5]
	s_delay_alu instid0(VALU_DEP_2) | instskip(NEXT) | instid1(VALU_DEP_1)
	v_dual_cndmask_b32 v13, v10, v9 :: v_dual_cndmask_b32 v12, v8, v11
                                        ; implicit-def: $vgpr8_vgpr9
	v_cmp_ge_i32_e64 s1, v13, v21
	s_delay_alu instid0(VALU_DEP_2) | instskip(NEXT) | instid1(VALU_DEP_2)
	v_cmp_lt_i32_e64 s2, v12, v20
	s_or_b32 s0, s1, s0
	s_delay_alu instid0(VALU_DEP_1) | instid1(SALU_CYCLE_1)
	s_and_b32 s0, s2, s0
	s_delay_alu instid0(SALU_CYCLE_1) | instskip(NEXT) | instid1(SALU_CYCLE_1)
	s_xor_b32 s1, s0, -1
	s_and_saveexec_b32 s2, s1
	s_delay_alu instid0(SALU_CYCLE_1)
	s_xor_b32 s1, exec_lo, s2
	s_cbranch_execz .LBB172_10
; %bb.9:
	v_lshl_add_u32 v8, v13, 3, v17
	ds_load_b64 v[8:9], v8 offset:8
.LBB172_10:
	s_or_saveexec_b32 s1, s1
	v_dual_mov_b32 v11, v7 :: v_dual_mov_b32 v10, v6
	s_xor_b32 exec_lo, exec_lo, s1
	s_cbranch_execz .LBB172_12
; %bb.11:
	s_waitcnt lgkmcnt(0)
	v_lshl_add_u32 v8, v12, 3, v17
	ds_load_b64 v[10:11], v8 offset:8
	v_dual_mov_b32 v9, v5 :: v_dual_mov_b32 v8, v4
.LBB172_12:
	s_or_b32 exec_lo, exec_lo, s1
	v_add_nc_u32_e32 v14, 1, v13
	v_add_nc_u32_e32 v15, 1, v12
	s_waitcnt lgkmcnt(0)
	v_cmp_lt_i64_e64 s1, v[10:11], v[8:9]
	s_delay_alu instid0(VALU_DEP_3) | instskip(NEXT) | instid1(VALU_DEP_3)
	v_cndmask_b32_e64 v22, v14, v13, s0
	v_cndmask_b32_e64 v23, v12, v15, s0
                                        ; implicit-def: $vgpr12_vgpr13
	s_delay_alu instid0(VALU_DEP_2) | instskip(NEXT) | instid1(VALU_DEP_2)
	v_cmp_ge_i32_e64 s2, v22, v21
	v_cmp_lt_i32_e64 s3, v23, v20
	s_delay_alu instid0(VALU_DEP_2)
	s_or_b32 s1, s2, s1
	s_delay_alu instid0(VALU_DEP_1) | instid1(SALU_CYCLE_1)
	s_and_b32 s1, s3, s1
	s_delay_alu instid0(SALU_CYCLE_1) | instskip(NEXT) | instid1(SALU_CYCLE_1)
	s_xor_b32 s2, s1, -1
	s_and_saveexec_b32 s3, s2
	s_delay_alu instid0(SALU_CYCLE_1)
	s_xor_b32 s2, exec_lo, s3
	s_cbranch_execz .LBB172_14
; %bb.13:
	v_lshl_add_u32 v12, v22, 3, v17
	ds_load_b64 v[12:13], v12 offset:8
.LBB172_14:
	s_or_saveexec_b32 s2, s2
	v_dual_mov_b32 v15, v11 :: v_dual_mov_b32 v14, v10
	s_xor_b32 exec_lo, exec_lo, s2
	s_cbranch_execz .LBB172_16
; %bb.15:
	s_waitcnt lgkmcnt(0)
	v_lshl_add_u32 v12, v23, 3, v17
	ds_load_b64 v[14:15], v12 offset:8
	v_dual_mov_b32 v13, v9 :: v_dual_mov_b32 v12, v8
.LBB172_16:
	s_or_b32 exec_lo, exec_lo, s2
	v_add_nc_u32_e32 v24, 1, v23
	v_add_nc_u32_e32 v25, 1, v22
	v_cndmask_b32_e64 v10, v8, v10, s1
	v_cndmask_b32_e64 v11, v9, v11, s1
	v_and_b32_e32 v9, 0x70, v18
	v_cndmask_b32_e64 v8, v23, v24, s1
	v_cndmask_b32_e64 v24, v25, v22, s1
	s_waitcnt lgkmcnt(0)
	v_cmp_lt_i64_e64 s1, v[14:15], v[12:13]
	v_cndmask_b32_e64 v7, v5, v7, s0
	v_cndmask_b32_e64 v6, v4, v6, s0
	v_or_b32_e32 v23, 8, v9
	v_cmp_ge_i32_e64 s0, v24, v21
	v_dual_cndmask_b32 v3, v1, v3 :: v_dual_add_nc_u32 v22, 16, v9
	v_cmp_lt_i32_e64 s2, v8, v20
	v_cndmask_b32_e32 v2, v0, v2, vcc_lo
	s_delay_alu instid0(VALU_DEP_4) | instskip(NEXT) | instid1(VALU_DEP_3)
	s_or_b32 s0, s0, s1
	v_sub_nc_u32_e32 v5, v22, v23
	v_sub_nc_u32_e32 v1, v23, v9
	s_and_b32 vcc_lo, s2, s0
	v_dual_cndmask_b32 v13, v13, v15 :: v_dual_and_b32 v4, 12, v18
	v_cndmask_b32_e32 v12, v12, v14, vcc_lo
	s_mov_b32 s1, 0
	s_delay_alu instid0(VALU_DEP_2)
	v_sub_nc_u32_e32 v0, v4, v5
	v_cmp_ge_i32_e64 s0, v4, v5
	v_min_i32_e32 v1, v4, v1
	; wave barrier
	ds_store_2addr_b64 v19, v[2:3], v[6:7] offset1:1
	ds_store_2addr_b64 v19, v[10:11], v[12:13] offset0:2 offset1:3
	v_cndmask_b32_e64 v5, 0, v0, s0
	v_lshl_add_u32 v0, v9, 3, v17
	s_mov_b32 s0, exec_lo
	; wave barrier
	s_delay_alu instid0(VALU_DEP_2)
	v_cmpx_lt_i32_e64 v5, v1
	s_cbranch_execz .LBB172_20
; %bb.17:
	v_lshlrev_b32_e32 v2, 3, v23
	v_lshlrev_b32_e32 v3, 3, v4
	s_delay_alu instid0(VALU_DEP_1)
	v_add3_u32 v2, v17, v2, v3
	.p2align	6
.LBB172_18:                             ; =>This Inner Loop Header: Depth=1
	v_sub_nc_u32_e32 v3, v1, v5
	s_delay_alu instid0(VALU_DEP_1) | instskip(NEXT) | instid1(VALU_DEP_1)
	v_lshrrev_b32_e32 v6, 31, v3
	v_add_nc_u32_e32 v3, v3, v6
	s_delay_alu instid0(VALU_DEP_1) | instskip(NEXT) | instid1(VALU_DEP_1)
	v_ashrrev_i32_e32 v3, 1, v3
	v_add_nc_u32_e32 v3, v3, v5
	s_delay_alu instid0(VALU_DEP_1) | instskip(SKIP_1) | instid1(VALU_DEP_2)
	v_not_b32_e32 v6, v3
	v_lshl_add_u32 v7, v3, 3, v0
	v_lshl_add_u32 v8, v6, 3, v2
	ds_load_b64 v[6:7], v7
	ds_load_b64 v[10:11], v8
	s_waitcnt lgkmcnt(0)
	v_cmp_lt_i64_e32 vcc_lo, v[10:11], v[6:7]
	v_add_nc_u32_e32 v6, 1, v3
	v_cndmask_b32_e32 v1, v1, v3, vcc_lo
	s_delay_alu instid0(VALU_DEP_2) | instskip(NEXT) | instid1(VALU_DEP_1)
	v_cndmask_b32_e32 v5, v6, v5, vcc_lo
	v_cmp_ge_i32_e32 vcc_lo, v5, v1
	s_or_b32 s1, vcc_lo, s1
	s_delay_alu instid0(SALU_CYCLE_1)
	s_and_not1_b32 exec_lo, exec_lo, s1
	s_cbranch_execnz .LBB172_18
; %bb.19:
	s_or_b32 exec_lo, exec_lo, s1
.LBB172_20:
	s_delay_alu instid0(SALU_CYCLE_1) | instskip(SKIP_3) | instid1(VALU_DEP_3)
	s_or_b32 exec_lo, exec_lo, s0
	v_add_nc_u32_e32 v1, v23, v4
	v_lshl_add_u32 v6, v5, 3, v0
	v_add_nc_u32_e32 v9, v5, v9
	v_sub_nc_u32_e32 v8, v1, v5
                                        ; implicit-def: $vgpr4_vgpr5
	s_delay_alu instid0(VALU_DEP_2) | instskip(NEXT) | instid1(VALU_DEP_2)
	v_cmp_le_i32_e64 s0, v23, v9
	v_lshl_add_u32 v10, v8, 3, v17
	v_cmp_gt_i32_e64 s1, v22, v8
	ds_load_b64 v[0:1], v6
	ds_load_b64 v[2:3], v10
	s_waitcnt lgkmcnt(0)
	v_cmp_lt_i64_e32 vcc_lo, v[2:3], v[0:1]
	s_or_b32 s0, s0, vcc_lo
	s_delay_alu instid0(SALU_CYCLE_1) | instskip(NEXT) | instid1(SALU_CYCLE_1)
	s_and_b32 vcc_lo, s1, s0
	s_xor_b32 s0, vcc_lo, -1
	s_delay_alu instid0(SALU_CYCLE_1) | instskip(NEXT) | instid1(SALU_CYCLE_1)
	s_and_saveexec_b32 s1, s0
	s_xor_b32 s0, exec_lo, s1
	s_cbranch_execz .LBB172_22
; %bb.21:
	ds_load_b64 v[4:5], v6 offset:8
                                        ; implicit-def: $vgpr10
.LBB172_22:
	s_or_saveexec_b32 s0, s0
	v_dual_mov_b32 v7, v3 :: v_dual_mov_b32 v6, v2
	s_xor_b32 exec_lo, exec_lo, s0
	s_cbranch_execz .LBB172_24
; %bb.23:
	ds_load_b64 v[6:7], v10 offset:8
	s_waitcnt lgkmcnt(1)
	v_dual_mov_b32 v5, v1 :: v_dual_mov_b32 v4, v0
.LBB172_24:
	s_or_b32 exec_lo, exec_lo, s0
	v_add_nc_u32_e32 v10, 1, v9
	v_add_nc_u32_e32 v11, 1, v8
	s_waitcnt lgkmcnt(0)
	v_cmp_lt_i64_e64 s0, v[6:7], v[4:5]
	s_delay_alu instid0(VALU_DEP_2) | instskip(NEXT) | instid1(VALU_DEP_1)
	v_dual_cndmask_b32 v13, v10, v9 :: v_dual_cndmask_b32 v12, v8, v11
                                        ; implicit-def: $vgpr8_vgpr9
	v_cmp_ge_i32_e64 s1, v13, v23
	s_delay_alu instid0(VALU_DEP_2) | instskip(NEXT) | instid1(VALU_DEP_2)
	v_cmp_lt_i32_e64 s2, v12, v22
	s_or_b32 s0, s1, s0
	s_delay_alu instid0(VALU_DEP_1) | instid1(SALU_CYCLE_1)
	s_and_b32 s0, s2, s0
	s_delay_alu instid0(SALU_CYCLE_1) | instskip(NEXT) | instid1(SALU_CYCLE_1)
	s_xor_b32 s1, s0, -1
	s_and_saveexec_b32 s2, s1
	s_delay_alu instid0(SALU_CYCLE_1)
	s_xor_b32 s1, exec_lo, s2
	s_cbranch_execz .LBB172_26
; %bb.25:
	v_lshl_add_u32 v8, v13, 3, v17
	ds_load_b64 v[8:9], v8 offset:8
.LBB172_26:
	s_or_saveexec_b32 s1, s1
	v_dual_mov_b32 v11, v7 :: v_dual_mov_b32 v10, v6
	s_xor_b32 exec_lo, exec_lo, s1
	s_cbranch_execz .LBB172_28
; %bb.27:
	s_waitcnt lgkmcnt(0)
	v_lshl_add_u32 v8, v12, 3, v17
	ds_load_b64 v[10:11], v8 offset:8
	v_dual_mov_b32 v9, v5 :: v_dual_mov_b32 v8, v4
.LBB172_28:
	s_or_b32 exec_lo, exec_lo, s1
	v_add_nc_u32_e32 v14, 1, v13
	v_add_nc_u32_e32 v15, 1, v12
	s_waitcnt lgkmcnt(0)
	v_cmp_lt_i64_e64 s1, v[10:11], v[8:9]
	s_delay_alu instid0(VALU_DEP_3) | instskip(NEXT) | instid1(VALU_DEP_3)
	v_cndmask_b32_e64 v20, v14, v13, s0
	v_cndmask_b32_e64 v21, v12, v15, s0
                                        ; implicit-def: $vgpr12_vgpr13
	s_delay_alu instid0(VALU_DEP_2) | instskip(NEXT) | instid1(VALU_DEP_2)
	v_cmp_ge_i32_e64 s2, v20, v23
	v_cmp_lt_i32_e64 s3, v21, v22
	s_delay_alu instid0(VALU_DEP_2)
	s_or_b32 s1, s2, s1
	s_delay_alu instid0(VALU_DEP_1) | instid1(SALU_CYCLE_1)
	s_and_b32 s1, s3, s1
	s_delay_alu instid0(SALU_CYCLE_1) | instskip(NEXT) | instid1(SALU_CYCLE_1)
	s_xor_b32 s2, s1, -1
	s_and_saveexec_b32 s3, s2
	s_delay_alu instid0(SALU_CYCLE_1)
	s_xor_b32 s2, exec_lo, s3
	s_cbranch_execz .LBB172_30
; %bb.29:
	v_lshl_add_u32 v12, v20, 3, v17
	ds_load_b64 v[12:13], v12 offset:8
.LBB172_30:
	s_or_saveexec_b32 s2, s2
	v_dual_mov_b32 v15, v11 :: v_dual_mov_b32 v14, v10
	s_xor_b32 exec_lo, exec_lo, s2
	s_cbranch_execz .LBB172_32
; %bb.31:
	s_waitcnt lgkmcnt(0)
	v_lshl_add_u32 v12, v21, 3, v17
	ds_load_b64 v[14:15], v12 offset:8
	v_dual_mov_b32 v13, v9 :: v_dual_mov_b32 v12, v8
.LBB172_32:
	s_or_b32 exec_lo, exec_lo, s2
	v_dual_cndmask_b32 v3, v1, v3 :: v_dual_add_nc_u32 v24, 1, v21
	v_dual_cndmask_b32 v2, v0, v2 :: v_dual_add_nc_u32 v25, 1, v20
	v_cndmask_b32_e64 v10, v8, v10, s1
	s_delay_alu instid0(VALU_DEP_3) | instskip(SKIP_1) | instid1(VALU_DEP_4)
	v_cndmask_b32_e64 v8, v21, v24, s1
	v_cndmask_b32_e64 v11, v9, v11, s1
	;; [unrolled: 1-line block ×3, first 2 shown]
	s_waitcnt lgkmcnt(0)
	v_cmp_lt_i64_e64 s1, v[14:15], v[12:13]
	v_cndmask_b32_e64 v7, v5, v7, s0
	v_cndmask_b32_e64 v6, v4, v6, s0
	v_and_b32_e32 v9, 0x60, v18
	v_cmp_ge_i32_e64 s0, v24, v23
	v_cmp_lt_i32_e64 s2, v8, v22
	v_and_b32_e32 v4, 28, v18
	s_delay_alu instid0(VALU_DEP_4) | instskip(NEXT) | instid1(VALU_DEP_4)
	v_or_b32_e32 v21, 16, v9
	s_or_b32 s0, s0, s1
	s_mov_b32 s1, 0
	s_and_b32 vcc_lo, s2, s0
	v_dual_cndmask_b32 v13, v13, v15 :: v_dual_add_nc_u32 v20, 32, v9
	v_sub_nc_u32_e32 v1, v21, v9
	v_cndmask_b32_e32 v12, v12, v14, vcc_lo
	; wave barrier
	s_delay_alu instid0(VALU_DEP_3)
	v_sub_nc_u32_e32 v5, v20, v21
	ds_store_2addr_b64 v19, v[2:3], v[6:7] offset1:1
	ds_store_2addr_b64 v19, v[10:11], v[12:13] offset0:2 offset1:3
	v_min_i32_e32 v1, v4, v1
	v_sub_nc_u32_e32 v0, v4, v5
	v_cmp_ge_i32_e64 s0, v4, v5
	; wave barrier
	s_delay_alu instid0(VALU_DEP_1) | instskip(SKIP_2) | instid1(VALU_DEP_2)
	v_cndmask_b32_e64 v5, 0, v0, s0
	v_lshl_add_u32 v0, v9, 3, v17
	s_mov_b32 s0, exec_lo
	v_cmpx_lt_i32_e64 v5, v1
	s_cbranch_execz .LBB172_36
; %bb.33:
	v_lshlrev_b32_e32 v2, 3, v21
	v_lshlrev_b32_e32 v3, 3, v4
	s_delay_alu instid0(VALU_DEP_1)
	v_add3_u32 v2, v17, v2, v3
	.p2align	6
.LBB172_34:                             ; =>This Inner Loop Header: Depth=1
	v_sub_nc_u32_e32 v3, v1, v5
	s_delay_alu instid0(VALU_DEP_1) | instskip(NEXT) | instid1(VALU_DEP_1)
	v_lshrrev_b32_e32 v6, 31, v3
	v_add_nc_u32_e32 v3, v3, v6
	s_delay_alu instid0(VALU_DEP_1) | instskip(NEXT) | instid1(VALU_DEP_1)
	v_ashrrev_i32_e32 v3, 1, v3
	v_add_nc_u32_e32 v3, v3, v5
	s_delay_alu instid0(VALU_DEP_1) | instskip(SKIP_1) | instid1(VALU_DEP_2)
	v_not_b32_e32 v6, v3
	v_lshl_add_u32 v7, v3, 3, v0
	v_lshl_add_u32 v8, v6, 3, v2
	ds_load_b64 v[6:7], v7
	ds_load_b64 v[10:11], v8
	s_waitcnt lgkmcnt(0)
	v_cmp_lt_i64_e32 vcc_lo, v[10:11], v[6:7]
	v_add_nc_u32_e32 v6, 1, v3
	v_cndmask_b32_e32 v1, v1, v3, vcc_lo
	s_delay_alu instid0(VALU_DEP_2) | instskip(NEXT) | instid1(VALU_DEP_1)
	v_cndmask_b32_e32 v5, v6, v5, vcc_lo
	v_cmp_ge_i32_e32 vcc_lo, v5, v1
	s_or_b32 s1, vcc_lo, s1
	s_delay_alu instid0(SALU_CYCLE_1)
	s_and_not1_b32 exec_lo, exec_lo, s1
	s_cbranch_execnz .LBB172_34
; %bb.35:
	s_or_b32 exec_lo, exec_lo, s1
.LBB172_36:
	s_delay_alu instid0(SALU_CYCLE_1) | instskip(SKIP_3) | instid1(VALU_DEP_3)
	s_or_b32 exec_lo, exec_lo, s0
	v_add_nc_u32_e32 v1, v21, v4
	v_lshl_add_u32 v6, v5, 3, v0
	v_add_nc_u32_e32 v9, v5, v9
	v_sub_nc_u32_e32 v8, v1, v5
                                        ; implicit-def: $vgpr4_vgpr5
	s_delay_alu instid0(VALU_DEP_2) | instskip(NEXT) | instid1(VALU_DEP_2)
	v_cmp_le_i32_e64 s0, v21, v9
	v_lshl_add_u32 v10, v8, 3, v17
	v_cmp_gt_i32_e64 s1, v20, v8
	ds_load_b64 v[0:1], v6
	ds_load_b64 v[2:3], v10
	s_waitcnt lgkmcnt(0)
	v_cmp_lt_i64_e32 vcc_lo, v[2:3], v[0:1]
	s_or_b32 s0, s0, vcc_lo
	s_delay_alu instid0(SALU_CYCLE_1) | instskip(NEXT) | instid1(SALU_CYCLE_1)
	s_and_b32 vcc_lo, s1, s0
	s_xor_b32 s0, vcc_lo, -1
	s_delay_alu instid0(SALU_CYCLE_1) | instskip(NEXT) | instid1(SALU_CYCLE_1)
	s_and_saveexec_b32 s1, s0
	s_xor_b32 s0, exec_lo, s1
	s_cbranch_execz .LBB172_38
; %bb.37:
	ds_load_b64 v[4:5], v6 offset:8
                                        ; implicit-def: $vgpr10
.LBB172_38:
	s_or_saveexec_b32 s0, s0
	v_dual_mov_b32 v7, v3 :: v_dual_mov_b32 v6, v2
	s_xor_b32 exec_lo, exec_lo, s0
	s_cbranch_execz .LBB172_40
; %bb.39:
	ds_load_b64 v[6:7], v10 offset:8
	s_waitcnt lgkmcnt(1)
	v_dual_mov_b32 v5, v1 :: v_dual_mov_b32 v4, v0
.LBB172_40:
	s_or_b32 exec_lo, exec_lo, s0
	v_add_nc_u32_e32 v10, 1, v9
	v_add_nc_u32_e32 v11, 1, v8
	s_waitcnt lgkmcnt(0)
	v_cmp_lt_i64_e64 s0, v[6:7], v[4:5]
	s_delay_alu instid0(VALU_DEP_2) | instskip(NEXT) | instid1(VALU_DEP_1)
	v_dual_cndmask_b32 v13, v10, v9 :: v_dual_cndmask_b32 v12, v8, v11
                                        ; implicit-def: $vgpr8_vgpr9
	v_cmp_ge_i32_e64 s1, v13, v21
	s_delay_alu instid0(VALU_DEP_2) | instskip(NEXT) | instid1(VALU_DEP_2)
	v_cmp_lt_i32_e64 s2, v12, v20
	s_or_b32 s0, s1, s0
	s_delay_alu instid0(VALU_DEP_1) | instid1(SALU_CYCLE_1)
	s_and_b32 s0, s2, s0
	s_delay_alu instid0(SALU_CYCLE_1) | instskip(NEXT) | instid1(SALU_CYCLE_1)
	s_xor_b32 s1, s0, -1
	s_and_saveexec_b32 s2, s1
	s_delay_alu instid0(SALU_CYCLE_1)
	s_xor_b32 s1, exec_lo, s2
	s_cbranch_execz .LBB172_42
; %bb.41:
	v_lshl_add_u32 v8, v13, 3, v17
	ds_load_b64 v[8:9], v8 offset:8
.LBB172_42:
	s_or_saveexec_b32 s1, s1
	v_dual_mov_b32 v11, v7 :: v_dual_mov_b32 v10, v6
	s_xor_b32 exec_lo, exec_lo, s1
	s_cbranch_execz .LBB172_44
; %bb.43:
	s_waitcnt lgkmcnt(0)
	v_lshl_add_u32 v8, v12, 3, v17
	ds_load_b64 v[10:11], v8 offset:8
	v_dual_mov_b32 v9, v5 :: v_dual_mov_b32 v8, v4
.LBB172_44:
	s_or_b32 exec_lo, exec_lo, s1
	v_add_nc_u32_e32 v14, 1, v13
	v_add_nc_u32_e32 v15, 1, v12
	s_waitcnt lgkmcnt(0)
	v_cmp_lt_i64_e64 s1, v[10:11], v[8:9]
	s_delay_alu instid0(VALU_DEP_3) | instskip(NEXT) | instid1(VALU_DEP_3)
	v_cndmask_b32_e64 v22, v14, v13, s0
	v_cndmask_b32_e64 v23, v12, v15, s0
                                        ; implicit-def: $vgpr12_vgpr13
	s_delay_alu instid0(VALU_DEP_2) | instskip(NEXT) | instid1(VALU_DEP_2)
	v_cmp_ge_i32_e64 s2, v22, v21
	v_cmp_lt_i32_e64 s3, v23, v20
	s_delay_alu instid0(VALU_DEP_2)
	s_or_b32 s1, s2, s1
	s_delay_alu instid0(VALU_DEP_1) | instid1(SALU_CYCLE_1)
	s_and_b32 s1, s3, s1
	s_delay_alu instid0(SALU_CYCLE_1) | instskip(NEXT) | instid1(SALU_CYCLE_1)
	s_xor_b32 s2, s1, -1
	s_and_saveexec_b32 s3, s2
	s_delay_alu instid0(SALU_CYCLE_1)
	s_xor_b32 s2, exec_lo, s3
	s_cbranch_execz .LBB172_46
; %bb.45:
	v_lshl_add_u32 v12, v22, 3, v17
	ds_load_b64 v[12:13], v12 offset:8
.LBB172_46:
	s_or_saveexec_b32 s2, s2
	v_dual_mov_b32 v15, v11 :: v_dual_mov_b32 v14, v10
	s_xor_b32 exec_lo, exec_lo, s2
	s_cbranch_execz .LBB172_48
; %bb.47:
	s_waitcnt lgkmcnt(0)
	v_lshl_add_u32 v12, v23, 3, v17
	ds_load_b64 v[14:15], v12 offset:8
	v_dual_mov_b32 v13, v9 :: v_dual_mov_b32 v12, v8
.LBB172_48:
	s_or_b32 exec_lo, exec_lo, s2
	v_add_nc_u32_e32 v24, 1, v23
	v_add_nc_u32_e32 v25, 1, v22
	v_cndmask_b32_e64 v10, v8, v10, s1
	v_cndmask_b32_e64 v11, v9, v11, s1
	v_and_b32_e32 v9, 64, v18
	v_cndmask_b32_e64 v8, v23, v24, s1
	v_cndmask_b32_e64 v24, v25, v22, s1
	s_waitcnt lgkmcnt(0)
	v_cmp_lt_i64_e64 s1, v[14:15], v[12:13]
	v_cndmask_b32_e64 v7, v5, v7, s0
	v_cndmask_b32_e64 v6, v4, v6, s0
	v_or_b32_e32 v23, 32, v9
	v_cmp_ge_i32_e64 s0, v24, v21
	v_dual_cndmask_b32 v3, v1, v3 :: v_dual_add_nc_u32 v22, 64, v9
	v_cmp_lt_i32_e64 s2, v8, v20
	v_cndmask_b32_e32 v2, v0, v2, vcc_lo
	s_delay_alu instid0(VALU_DEP_4) | instskip(NEXT) | instid1(VALU_DEP_3)
	s_or_b32 s0, s0, s1
	v_sub_nc_u32_e32 v5, v22, v23
	v_sub_nc_u32_e32 v1, v23, v9
	s_and_b32 vcc_lo, s2, s0
	v_dual_cndmask_b32 v13, v13, v15 :: v_dual_and_b32 v4, 60, v18
	v_cndmask_b32_e32 v12, v12, v14, vcc_lo
	s_mov_b32 s1, 0
	s_delay_alu instid0(VALU_DEP_2)
	v_sub_nc_u32_e32 v0, v4, v5
	v_cmp_ge_i32_e64 s0, v4, v5
	v_min_i32_e32 v1, v4, v1
	; wave barrier
	ds_store_2addr_b64 v19, v[2:3], v[6:7] offset1:1
	ds_store_2addr_b64 v19, v[10:11], v[12:13] offset0:2 offset1:3
	v_cndmask_b32_e64 v5, 0, v0, s0
	v_lshl_add_u32 v0, v9, 3, v17
	s_mov_b32 s0, exec_lo
	; wave barrier
	s_delay_alu instid0(VALU_DEP_2)
	v_cmpx_lt_i32_e64 v5, v1
	s_cbranch_execz .LBB172_52
; %bb.49:
	v_lshlrev_b32_e32 v2, 3, v23
	v_lshlrev_b32_e32 v3, 3, v4
	s_delay_alu instid0(VALU_DEP_1)
	v_add3_u32 v2, v17, v2, v3
	.p2align	6
.LBB172_50:                             ; =>This Inner Loop Header: Depth=1
	v_sub_nc_u32_e32 v3, v1, v5
	s_delay_alu instid0(VALU_DEP_1) | instskip(NEXT) | instid1(VALU_DEP_1)
	v_lshrrev_b32_e32 v6, 31, v3
	v_add_nc_u32_e32 v3, v3, v6
	s_delay_alu instid0(VALU_DEP_1) | instskip(NEXT) | instid1(VALU_DEP_1)
	v_ashrrev_i32_e32 v3, 1, v3
	v_add_nc_u32_e32 v3, v3, v5
	s_delay_alu instid0(VALU_DEP_1) | instskip(SKIP_1) | instid1(VALU_DEP_2)
	v_not_b32_e32 v6, v3
	v_lshl_add_u32 v7, v3, 3, v0
	v_lshl_add_u32 v8, v6, 3, v2
	ds_load_b64 v[6:7], v7
	ds_load_b64 v[10:11], v8
	s_waitcnt lgkmcnt(0)
	v_cmp_lt_i64_e32 vcc_lo, v[10:11], v[6:7]
	v_add_nc_u32_e32 v6, 1, v3
	v_cndmask_b32_e32 v1, v1, v3, vcc_lo
	s_delay_alu instid0(VALU_DEP_2) | instskip(NEXT) | instid1(VALU_DEP_1)
	v_cndmask_b32_e32 v5, v6, v5, vcc_lo
	v_cmp_ge_i32_e32 vcc_lo, v5, v1
	s_or_b32 s1, vcc_lo, s1
	s_delay_alu instid0(SALU_CYCLE_1)
	s_and_not1_b32 exec_lo, exec_lo, s1
	s_cbranch_execnz .LBB172_50
; %bb.51:
	s_or_b32 exec_lo, exec_lo, s1
.LBB172_52:
	s_delay_alu instid0(SALU_CYCLE_1) | instskip(SKIP_3) | instid1(VALU_DEP_3)
	s_or_b32 exec_lo, exec_lo, s0
	v_add_nc_u32_e32 v1, v23, v4
	v_lshl_add_u32 v6, v5, 3, v0
	v_add_nc_u32_e32 v9, v5, v9
	v_sub_nc_u32_e32 v8, v1, v5
                                        ; implicit-def: $vgpr4_vgpr5
	s_delay_alu instid0(VALU_DEP_2) | instskip(NEXT) | instid1(VALU_DEP_2)
	v_cmp_le_i32_e64 s0, v23, v9
	v_lshl_add_u32 v10, v8, 3, v17
	v_cmp_gt_i32_e64 s1, v22, v8
	ds_load_b64 v[0:1], v6
	ds_load_b64 v[2:3], v10
	s_waitcnt lgkmcnt(0)
	v_cmp_lt_i64_e32 vcc_lo, v[2:3], v[0:1]
	s_or_b32 s0, s0, vcc_lo
	s_delay_alu instid0(SALU_CYCLE_1) | instskip(NEXT) | instid1(SALU_CYCLE_1)
	s_and_b32 vcc_lo, s1, s0
	s_xor_b32 s0, vcc_lo, -1
	s_delay_alu instid0(SALU_CYCLE_1) | instskip(NEXT) | instid1(SALU_CYCLE_1)
	s_and_saveexec_b32 s1, s0
	s_xor_b32 s0, exec_lo, s1
	s_cbranch_execz .LBB172_54
; %bb.53:
	ds_load_b64 v[4:5], v6 offset:8
                                        ; implicit-def: $vgpr10
.LBB172_54:
	s_or_saveexec_b32 s0, s0
	v_dual_mov_b32 v7, v3 :: v_dual_mov_b32 v6, v2
	s_xor_b32 exec_lo, exec_lo, s0
	s_cbranch_execz .LBB172_56
; %bb.55:
	ds_load_b64 v[6:7], v10 offset:8
	s_waitcnt lgkmcnt(1)
	v_dual_mov_b32 v5, v1 :: v_dual_mov_b32 v4, v0
.LBB172_56:
	s_or_b32 exec_lo, exec_lo, s0
	v_add_nc_u32_e32 v10, 1, v9
	v_add_nc_u32_e32 v12, 1, v8
	s_waitcnt lgkmcnt(0)
	v_cmp_lt_i64_e64 s0, v[6:7], v[4:5]
	s_delay_alu instid0(VALU_DEP_2) | instskip(NEXT) | instid1(VALU_DEP_1)
	v_dual_cndmask_b32 v11, v10, v9 :: v_dual_cndmask_b32 v10, v8, v12
                                        ; implicit-def: $vgpr8_vgpr9
	v_cmp_ge_i32_e64 s1, v11, v23
	s_delay_alu instid0(VALU_DEP_2) | instskip(NEXT) | instid1(VALU_DEP_2)
	v_cmp_lt_i32_e64 s2, v10, v22
	s_or_b32 s0, s1, s0
	s_delay_alu instid0(VALU_DEP_1) | instid1(SALU_CYCLE_1)
	s_and_b32 s0, s2, s0
	s_delay_alu instid0(SALU_CYCLE_1) | instskip(NEXT) | instid1(SALU_CYCLE_1)
	s_xor_b32 s1, s0, -1
	s_and_saveexec_b32 s2, s1
	s_delay_alu instid0(SALU_CYCLE_1)
	s_xor_b32 s1, exec_lo, s2
	s_cbranch_execz .LBB172_58
; %bb.57:
	v_lshl_add_u32 v8, v11, 3, v17
	ds_load_b64 v[8:9], v8 offset:8
.LBB172_58:
	s_or_saveexec_b32 s1, s1
	v_dual_mov_b32 v13, v7 :: v_dual_mov_b32 v12, v6
	s_xor_b32 exec_lo, exec_lo, s1
	s_cbranch_execz .LBB172_60
; %bb.59:
	s_waitcnt lgkmcnt(0)
	v_lshl_add_u32 v8, v10, 3, v17
	ds_load_b64 v[12:13], v8 offset:8
	v_dual_mov_b32 v9, v5 :: v_dual_mov_b32 v8, v4
.LBB172_60:
	s_or_b32 exec_lo, exec_lo, s1
	v_add_nc_u32_e32 v14, 1, v11
	v_add_nc_u32_e32 v15, 1, v10
	s_waitcnt lgkmcnt(0)
	v_cmp_lt_i64_e64 s1, v[12:13], v[8:9]
	s_delay_alu instid0(VALU_DEP_3) | instskip(NEXT) | instid1(VALU_DEP_3)
	v_cndmask_b32_e64 v21, v14, v11, s0
	v_cndmask_b32_e64 v20, v10, v15, s0
                                        ; implicit-def: $vgpr10_vgpr11
	s_delay_alu instid0(VALU_DEP_2) | instskip(NEXT) | instid1(VALU_DEP_2)
	v_cmp_ge_i32_e64 s2, v21, v23
	v_cmp_lt_i32_e64 s3, v20, v22
	s_delay_alu instid0(VALU_DEP_2)
	s_or_b32 s1, s2, s1
	s_delay_alu instid0(VALU_DEP_1) | instid1(SALU_CYCLE_1)
	s_and_b32 s1, s3, s1
	s_delay_alu instid0(SALU_CYCLE_1) | instskip(NEXT) | instid1(SALU_CYCLE_1)
	s_xor_b32 s2, s1, -1
	s_and_saveexec_b32 s3, s2
	s_delay_alu instid0(SALU_CYCLE_1)
	s_xor_b32 s2, exec_lo, s3
	s_cbranch_execz .LBB172_62
; %bb.61:
	v_lshl_add_u32 v10, v21, 3, v17
	ds_load_b64 v[10:11], v10 offset:8
.LBB172_62:
	s_or_saveexec_b32 s2, s2
	v_dual_mov_b32 v15, v13 :: v_dual_mov_b32 v14, v12
	s_xor_b32 exec_lo, exec_lo, s2
	s_cbranch_execz .LBB172_64
; %bb.63:
	s_waitcnt lgkmcnt(0)
	v_lshl_add_u32 v10, v20, 3, v17
	ds_load_b64 v[14:15], v10 offset:8
	v_dual_mov_b32 v11, v9 :: v_dual_mov_b32 v10, v8
.LBB172_64:
	s_or_b32 exec_lo, exec_lo, s2
	v_dual_cndmask_b32 v3, v1, v3 :: v_dual_add_nc_u32 v24, 1, v21
	v_cndmask_b32_e64 v8, v8, v12, s1
	v_add_nc_u32_e32 v12, 1, v20
	v_cndmask_b32_e64 v7, v5, v7, s0
	s_delay_alu instid0(VALU_DEP_4)
	v_cndmask_b32_e64 v5, v24, v21, s1
	v_cndmask_b32_e64 v6, v4, v6, s0
	s_waitcnt lgkmcnt(0)
	v_cmp_lt_i64_e64 s0, v[14:15], v[10:11]
	v_cndmask_b32_e64 v12, v20, v12, s1
	v_cndmask_b32_e64 v9, v9, v13, s1
	v_and_b32_e32 v4, 0x7c, v18
	v_cmp_ge_i32_e64 s1, v5, v23
	v_cndmask_b32_e32 v2, v0, v2, vcc_lo
	v_cmp_lt_i32_e32 vcc_lo, v12, v22
	s_delay_alu instid0(VALU_DEP_4) | instskip(NEXT) | instid1(VALU_DEP_4)
	v_subrev_nc_u32_e32 v1, 64, v4
	s_or_b32 s1, s1, s0
	v_cmp_lt_i32_e64 s0, 63, v4
	s_and_b32 vcc_lo, vcc_lo, s1
	; wave barrier
	v_dual_cndmask_b32 v11, v11, v15 :: v_dual_cndmask_b32 v10, v10, v14
	s_delay_alu instid0(VALU_DEP_2)
	v_cndmask_b32_e64 v0, 0, v1, s0
	v_min_i32_e32 v1, 64, v4
	s_mov_b32 s0, exec_lo
	ds_store_2addr_b64 v19, v[2:3], v[6:7] offset1:1
	ds_store_2addr_b64 v19, v[8:9], v[10:11] offset0:2 offset1:3
	; wave barrier
	v_cmpx_lt_i32_e64 v0, v1
	s_cbranch_execz .LBB172_68
; %bb.65:
	v_lshlrev_b32_e32 v2, 3, v4
	s_mov_b32 s1, 0
	s_delay_alu instid0(VALU_DEP_1)
	v_add3_u32 v2, 0x200, v17, v2
	.p2align	6
.LBB172_66:                             ; =>This Inner Loop Header: Depth=1
	v_sub_nc_u32_e32 v3, v1, v0
	s_delay_alu instid0(VALU_DEP_1) | instskip(NEXT) | instid1(VALU_DEP_1)
	v_lshrrev_b32_e32 v5, 31, v3
	v_add_nc_u32_e32 v3, v3, v5
	s_delay_alu instid0(VALU_DEP_1) | instskip(NEXT) | instid1(VALU_DEP_1)
	v_ashrrev_i32_e32 v3, 1, v3
	v_add_nc_u32_e32 v3, v3, v0
	s_delay_alu instid0(VALU_DEP_1) | instskip(SKIP_1) | instid1(VALU_DEP_2)
	v_not_b32_e32 v5, v3
	v_lshl_add_u32 v6, v3, 3, v17
	v_lshl_add_u32 v7, v5, 3, v2
	ds_load_b64 v[5:6], v6
	ds_load_b64 v[7:8], v7
	s_waitcnt lgkmcnt(0)
	v_cmp_lt_i64_e32 vcc_lo, v[7:8], v[5:6]
	v_add_nc_u32_e32 v5, 1, v3
	s_delay_alu instid0(VALU_DEP_1) | instskip(SKIP_1) | instid1(VALU_DEP_1)
	v_cndmask_b32_e32 v0, v5, v0, vcc_lo
	v_cndmask_b32_e32 v1, v1, v3, vcc_lo
	v_cmp_ge_i32_e32 vcc_lo, v0, v1
	s_or_b32 s1, vcc_lo, s1
	s_delay_alu instid0(SALU_CYCLE_1)
	s_and_not1_b32 exec_lo, exec_lo, s1
	s_cbranch_execnz .LBB172_66
; %bb.67:
	s_or_b32 exec_lo, exec_lo, s1
.LBB172_68:
	s_delay_alu instid0(SALU_CYCLE_1) | instskip(SKIP_3) | instid1(VALU_DEP_3)
	s_or_b32 exec_lo, exec_lo, s0
	v_add_nc_u32_e32 v1, 64, v4
	v_lshl_add_u32 v8, v0, 3, v17
	v_cmp_le_i32_e64 s0, 64, v0
                                        ; implicit-def: $vgpr6_vgpr7
	v_sub_nc_u32_e32 v1, v1, v0
	s_delay_alu instid0(VALU_DEP_1)
	v_lshl_add_u32 v10, v1, 3, v17
	v_cmp_gt_i32_e64 s1, 0x80, v1
	ds_load_b64 v[2:3], v8
	ds_load_b64 v[4:5], v10
	s_waitcnt lgkmcnt(0)
	v_cmp_lt_i64_e32 vcc_lo, v[4:5], v[2:3]
	s_or_b32 s0, s0, vcc_lo
	s_delay_alu instid0(SALU_CYCLE_1) | instskip(NEXT) | instid1(SALU_CYCLE_1)
	s_and_b32 vcc_lo, s1, s0
	s_xor_b32 s0, vcc_lo, -1
	s_delay_alu instid0(SALU_CYCLE_1) | instskip(NEXT) | instid1(SALU_CYCLE_1)
	s_and_saveexec_b32 s1, s0
	s_xor_b32 s0, exec_lo, s1
	s_cbranch_execz .LBB172_70
; %bb.69:
	ds_load_b64 v[6:7], v8 offset:8
                                        ; implicit-def: $vgpr10
.LBB172_70:
	s_or_saveexec_b32 s0, s0
	v_dual_mov_b32 v9, v5 :: v_dual_mov_b32 v8, v4
	s_xor_b32 exec_lo, exec_lo, s0
	s_cbranch_execz .LBB172_72
; %bb.71:
	ds_load_b64 v[8:9], v10 offset:8
	s_waitcnt lgkmcnt(1)
	v_dual_mov_b32 v7, v3 :: v_dual_mov_b32 v6, v2
.LBB172_72:
	s_or_b32 exec_lo, exec_lo, s0
	v_add_nc_u32_e32 v10, 1, v0
	v_add_nc_u32_e32 v11, 1, v1
	s_waitcnt lgkmcnt(0)
	v_cmp_lt_i64_e64 s0, v[8:9], v[6:7]
                                        ; implicit-def: $vgpr12_vgpr13
	s_delay_alu instid0(VALU_DEP_3) | instskip(NEXT) | instid1(VALU_DEP_3)
	v_cndmask_b32_e32 v14, v10, v0, vcc_lo
	v_cndmask_b32_e32 v0, v1, v11, vcc_lo
	s_delay_alu instid0(VALU_DEP_2) | instskip(NEXT) | instid1(VALU_DEP_2)
	v_cmp_le_i32_e64 s1, 64, v14
	v_cmp_gt_i32_e64 s2, 0x80, v0
	s_delay_alu instid0(VALU_DEP_2)
	s_or_b32 s0, s1, s0
	s_delay_alu instid0(VALU_DEP_1) | instid1(SALU_CYCLE_1)
	s_and_b32 s0, s2, s0
	s_delay_alu instid0(SALU_CYCLE_1) | instskip(NEXT) | instid1(SALU_CYCLE_1)
	s_xor_b32 s1, s0, -1
	s_and_saveexec_b32 s2, s1
	s_delay_alu instid0(SALU_CYCLE_1)
	s_xor_b32 s1, exec_lo, s2
	s_cbranch_execz .LBB172_74
; %bb.73:
	v_lshl_add_u32 v1, v14, 3, v17
	ds_load_b64 v[12:13], v1 offset:8
.LBB172_74:
	s_or_saveexec_b32 s1, s1
	v_dual_mov_b32 v11, v9 :: v_dual_mov_b32 v10, v8
	s_xor_b32 exec_lo, exec_lo, s1
	s_cbranch_execz .LBB172_76
; %bb.75:
	v_lshl_add_u32 v1, v0, 3, v17
	s_waitcnt lgkmcnt(0)
	v_dual_mov_b32 v13, v7 :: v_dual_mov_b32 v12, v6
	ds_load_b64 v[10:11], v1 offset:8
.LBB172_76:
	s_or_b32 exec_lo, exec_lo, s1
	v_add_nc_u32_e32 v1, 1, v14
	v_add_nc_u32_e32 v15, 1, v0
	s_waitcnt lgkmcnt(0)
	v_cmp_ge_i64_e64 s1, v[10:11], v[12:13]
                                        ; implicit-def: $vgpr19
	s_delay_alu instid0(VALU_DEP_3) | instskip(NEXT) | instid1(VALU_DEP_3)
	v_cndmask_b32_e64 v20, v1, v14, s0
	v_cndmask_b32_e64 v18, v0, v15, s0
                                        ; implicit-def: $vgpr14_vgpr15
	s_delay_alu instid0(VALU_DEP_2) | instskip(NEXT) | instid1(VALU_DEP_2)
	v_cmp_gt_i32_e64 s2, 64, v20
	v_cmp_le_i32_e64 s3, 0x80, v18
	s_delay_alu instid0(VALU_DEP_2)
	s_and_b32 s1, s2, s1
	s_delay_alu instid0(VALU_DEP_1) | instid1(SALU_CYCLE_1)
	s_or_b32 s1, s3, s1
	s_delay_alu instid0(SALU_CYCLE_1) | instskip(NEXT) | instid1(SALU_CYCLE_1)
	s_and_saveexec_b32 s2, s1
	s_xor_b32 s1, exec_lo, s2
	s_cbranch_execz .LBB172_78
; %bb.77:
	v_lshl_add_u32 v0, v20, 3, v17
	v_add_nc_u32_e32 v19, 1, v20
                                        ; implicit-def: $vgpr20
                                        ; implicit-def: $vgpr17
	ds_load_b64 v[14:15], v0 offset:8
.LBB172_78:
	s_or_saveexec_b32 s1, s1
	v_dual_mov_b32 v0, v12 :: v_dual_mov_b32 v1, v13
	s_xor_b32 exec_lo, exec_lo, s1
	s_cbranch_execz .LBB172_80
; %bb.79:
	v_lshl_add_u32 v0, v18, 3, v17
	s_waitcnt lgkmcnt(0)
	v_dual_mov_b32 v15, v13 :: v_dual_add_nc_u32 v18, 1, v18
	v_mov_b32_e32 v14, v12
	v_mov_b32_e32 v19, v20
	ds_load_b64 v[21:22], v0 offset:8
	v_dual_mov_b32 v0, v10 :: v_dual_mov_b32 v1, v11
	s_waitcnt lgkmcnt(0)
	v_dual_mov_b32 v10, v21 :: v_dual_mov_b32 v11, v22
.LBB172_80:
	s_or_b32 exec_lo, exec_lo, s1
	s_waitcnt lgkmcnt(0)
	s_delay_alu instid0(VALU_DEP_1)
	v_cmp_lt_i64_e64 s1, v[10:11], v[14:15]
	v_cmp_le_i32_e64 s2, 64, v19
	v_cmp_gt_i32_e64 s3, 0x80, v18
	v_cndmask_b32_e64 v7, v7, v9, s0
	v_cndmask_b32_e64 v6, v6, v8, s0
	v_dual_cndmask_b32 v5, v3, v5 :: v_dual_cndmask_b32 v4, v2, v4
	s_or_b32 s0, s2, s1
	v_lshlrev_b32_e32 v8, 3, v16
	s_and_b32 vcc_lo, s3, s0
	s_add_u32 s0, s6, s8
	v_dual_cndmask_b32 v3, v15, v11 :: v_dual_cndmask_b32 v2, v14, v10
	s_addc_u32 s1, s7, s9
	s_clause 0x1
	global_store_b128 v8, v[4:7], s[0:1]
	global_store_b128 v8, v[0:3], s[0:1] offset:16
	s_nop 0
	s_sendmsg sendmsg(MSG_DEALLOC_VGPRS)
	s_endpgm
	.section	.rodata,"a",@progbits
	.p2align	6, 0x0
	.amdhsa_kernel _Z9sort_keysILj256ELj32ELj4ExN10test_utils4lessEEvPKT2_PS2_T3_
		.amdhsa_group_segment_fixed_size 8256
		.amdhsa_private_segment_fixed_size 0
		.amdhsa_kernarg_size 20
		.amdhsa_user_sgpr_count 15
		.amdhsa_user_sgpr_dispatch_ptr 0
		.amdhsa_user_sgpr_queue_ptr 0
		.amdhsa_user_sgpr_kernarg_segment_ptr 1
		.amdhsa_user_sgpr_dispatch_id 0
		.amdhsa_user_sgpr_private_segment_size 0
		.amdhsa_wavefront_size32 1
		.amdhsa_uses_dynamic_stack 0
		.amdhsa_enable_private_segment 0
		.amdhsa_system_sgpr_workgroup_id_x 1
		.amdhsa_system_sgpr_workgroup_id_y 0
		.amdhsa_system_sgpr_workgroup_id_z 0
		.amdhsa_system_sgpr_workgroup_info 0
		.amdhsa_system_vgpr_workitem_id 0
		.amdhsa_next_free_vgpr 32
		.amdhsa_next_free_sgpr 16
		.amdhsa_reserve_vcc 1
		.amdhsa_float_round_mode_32 0
		.amdhsa_float_round_mode_16_64 0
		.amdhsa_float_denorm_mode_32 3
		.amdhsa_float_denorm_mode_16_64 3
		.amdhsa_dx10_clamp 1
		.amdhsa_ieee_mode 1
		.amdhsa_fp16_overflow 0
		.amdhsa_workgroup_processor_mode 1
		.amdhsa_memory_ordered 1
		.amdhsa_forward_progress 0
		.amdhsa_shared_vgpr_count 0
		.amdhsa_exception_fp_ieee_invalid_op 0
		.amdhsa_exception_fp_denorm_src 0
		.amdhsa_exception_fp_ieee_div_zero 0
		.amdhsa_exception_fp_ieee_overflow 0
		.amdhsa_exception_fp_ieee_underflow 0
		.amdhsa_exception_fp_ieee_inexact 0
		.amdhsa_exception_int_div_zero 0
	.end_amdhsa_kernel
	.section	.text._Z9sort_keysILj256ELj32ELj4ExN10test_utils4lessEEvPKT2_PS2_T3_,"axG",@progbits,_Z9sort_keysILj256ELj32ELj4ExN10test_utils4lessEEvPKT2_PS2_T3_,comdat
.Lfunc_end172:
	.size	_Z9sort_keysILj256ELj32ELj4ExN10test_utils4lessEEvPKT2_PS2_T3_, .Lfunc_end172-_Z9sort_keysILj256ELj32ELj4ExN10test_utils4lessEEvPKT2_PS2_T3_
                                        ; -- End function
	.section	.AMDGPU.csdata,"",@progbits
; Kernel info:
; codeLenInByte = 4648
; NumSgprs: 18
; NumVgprs: 32
; ScratchSize: 0
; MemoryBound: 0
; FloatMode: 240
; IeeeMode: 1
; LDSByteSize: 8256 bytes/workgroup (compile time only)
; SGPRBlocks: 2
; VGPRBlocks: 3
; NumSGPRsForWavesPerEU: 18
; NumVGPRsForWavesPerEU: 32
; Occupancy: 16
; WaveLimiterHint : 0
; COMPUTE_PGM_RSRC2:SCRATCH_EN: 0
; COMPUTE_PGM_RSRC2:USER_SGPR: 15
; COMPUTE_PGM_RSRC2:TRAP_HANDLER: 0
; COMPUTE_PGM_RSRC2:TGID_X_EN: 1
; COMPUTE_PGM_RSRC2:TGID_Y_EN: 0
; COMPUTE_PGM_RSRC2:TGID_Z_EN: 0
; COMPUTE_PGM_RSRC2:TIDIG_COMP_CNT: 0
	.section	.text._Z10sort_pairsILj256ELj32ELj4ExN10test_utils4lessEEvPKT2_PS2_T3_,"axG",@progbits,_Z10sort_pairsILj256ELj32ELj4ExN10test_utils4lessEEvPKT2_PS2_T3_,comdat
	.protected	_Z10sort_pairsILj256ELj32ELj4ExN10test_utils4lessEEvPKT2_PS2_T3_ ; -- Begin function _Z10sort_pairsILj256ELj32ELj4ExN10test_utils4lessEEvPKT2_PS2_T3_
	.globl	_Z10sort_pairsILj256ELj32ELj4ExN10test_utils4lessEEvPKT2_PS2_T3_
	.p2align	8
	.type	_Z10sort_pairsILj256ELj32ELj4ExN10test_utils4lessEEvPKT2_PS2_T3_,@function
_Z10sort_pairsILj256ELj32ELj4ExN10test_utils4lessEEvPKT2_PS2_T3_: ; @_Z10sort_pairsILj256ELj32ELj4ExN10test_utils4lessEEvPKT2_PS2_T3_
; %bb.0:
	s_load_b128 s[4:7], s[0:1], 0x0
	s_mov_b32 s1, 0
	s_lshl_b32 s0, s15, 10
	v_lshlrev_b32_e32 v1, 5, v0
	s_lshl_b64 s[8:9], s[0:1], 3
	s_waitcnt lgkmcnt(0)
	s_add_u32 s0, s4, s8
	s_addc_u32 s1, s5, s9
	s_clause 0x1
	global_load_b128 v[17:20], v1, s[0:1] offset:16
	global_load_b128 v[1:4], v1, s[0:1]
	s_mov_b32 s1, exec_lo
	s_waitcnt vmcnt(1)
	v_add_co_u32 v5, vcc_lo, v19, 1
	v_add_co_ci_u32_e32 v6, vcc_lo, 0, v20, vcc_lo
	s_waitcnt vmcnt(0)
	v_cmp_lt_i64_e64 s0, v[3:4], v[1:2]
	v_add_co_u32 v23, vcc_lo, v17, 1
	s_delay_alu instid0(VALU_DEP_3)
	v_dual_mov_b32 v15, v19 :: v_dual_mov_b32 v22, v6
	v_mov_b32_e32 v13, v17
	v_add_co_ci_u32_e32 v24, vcc_lo, 0, v18, vcc_lo
	v_cndmask_b32_e64 v12, v4, v2, s0
	v_dual_mov_b32 v16, v20 :: v_dual_mov_b32 v21, v5
	v_mov_b32_e32 v14, v18
	v_cndmask_b32_e64 v11, v3, v1, s0
	v_cndmask_b32_e64 v10, v2, v4, s0
	v_cndmask_b32_e64 v9, v1, v3, s0
	v_cmpx_lt_i64_e64 v[19:20], v[17:18]
; %bb.1:
	v_dual_mov_b32 v7, v17 :: v_dual_mov_b32 v8, v18
	v_dual_mov_b32 v21, v23 :: v_dual_mov_b32 v22, v24
	;; [unrolled: 1-line block ×6, first 2 shown]
; %bb.2:
	s_or_b32 exec_lo, exec_lo, s1
	v_add_co_u32 v25, vcc_lo, v1, 1
	v_add_co_ci_u32_e32 v26, vcc_lo, 0, v2, vcc_lo
	v_add_co_u32 v27, vcc_lo, v3, 1
	v_add_co_ci_u32_e32 v28, vcc_lo, 0, v4, vcc_lo
	v_dual_mov_b32 v1, v9 :: v_dual_mov_b32 v2, v10
	s_delay_alu instid0(VALU_DEP_3) | instskip(NEXT) | instid1(VALU_DEP_3)
	v_cndmask_b32_e64 v19, v27, v25, s0
	v_cndmask_b32_e64 v20, v28, v26, s0
	v_dual_mov_b32 v3, v11 :: v_dual_mov_b32 v4, v12
	v_dual_mov_b32 v5, v13 :: v_dual_mov_b32 v6, v14
	;; [unrolled: 1-line block ×4, first 2 shown]
	s_mov_b32 s1, exec_lo
	v_cmpx_lt_i64_e64 v[17:18], v[11:12]
	s_xor_b32 s1, exec_lo, s1
; %bb.3:
	v_dual_mov_b32 v1, v9 :: v_dual_mov_b32 v2, v10
	v_dual_mov_b32 v3, v11 :: v_dual_mov_b32 v4, v12
	;; [unrolled: 1-line block ×10, first 2 shown]
; %bb.4:
	s_or_b32 exec_lo, exec_lo, s1
	s_delay_alu instid0(VALU_DEP_1)
	v_cmp_lt_i64_e32 vcc_lo, v[11:12], v[9:10]
	v_dual_mov_b32 v16, v6 :: v_dual_mov_b32 v15, v5
	s_mov_b32 s2, exec_lo
	v_dual_mov_b32 v9, v21 :: v_dual_mov_b32 v10, v22
	v_dual_cndmask_b32 v17, v3, v1 :: v_dual_cndmask_b32 v18, v4, v2
	v_dual_cndmask_b32 v12, v2, v12 :: v_dual_cndmask_b32 v11, v1, v11
	v_cmpx_lt_i64_e64 v[7:8], v[5:6]
; %bb.5:
	v_dual_mov_b32 v1, v5 :: v_dual_mov_b32 v2, v6
	v_dual_mov_b32 v9, v13 :: v_dual_mov_b32 v10, v14
	v_dual_mov_b32 v13, v21 :: v_dual_mov_b32 v14, v22
	v_dual_mov_b32 v5, v7 :: v_dual_mov_b32 v6, v8
	v_dual_mov_b32 v16, v8 :: v_dual_mov_b32 v15, v7
	v_dual_mov_b32 v8, v2 :: v_dual_mov_b32 v7, v1
; %bb.6:
	s_or_b32 exec_lo, exec_lo, s2
	v_cndmask_b32_e64 v30, v26, v28, s0
	v_cndmask_b32_e64 v29, v25, v27, s0
	v_dual_mov_b32 v22, v18 :: v_dual_mov_b32 v21, v17
	v_dual_mov_b32 v3, v13 :: v_dual_mov_b32 v4, v14
	s_delay_alu instid0(VALU_DEP_3)
	v_dual_cndmask_b32 v2, v20, v30 :: v_dual_cndmask_b32 v1, v19, v29
	s_mov_b32 s1, exec_lo
	v_cmpx_lt_i64_e64 v[5:6], v[17:18]
; %bb.7:
	v_dual_mov_b32 v22, v6 :: v_dual_mov_b32 v21, v5
	s_delay_alu instid0(VALU_DEP_3)
	v_dual_mov_b32 v4, v2 :: v_dual_mov_b32 v3, v1
	v_dual_mov_b32 v1, v13 :: v_dual_mov_b32 v2, v14
	;; [unrolled: 1-line block ×3, first 2 shown]
; %bb.8:
	s_or_b32 exec_lo, exec_lo, s1
	v_mbcnt_lo_u32_b32 v6, -1, 0
	v_lshlrev_b32_e32 v25, 2, v0
	v_lshrrev_b32_e32 v14, 5, v0
	s_mov_b32 s1, 0
	s_mov_b32 s2, exec_lo
	v_lshlrev_b32_e32 v28, 2, v6
	v_lshlrev_b32_e32 v6, 5, v6
	v_mul_u32_u24_e32 v26, 0x408, v14
	; wave barrier
	s_delay_alu instid0(VALU_DEP_3) | instskip(SKIP_1) | instid1(VALU_DEP_4)
	v_and_b32_e32 v5, 0x78, v28
	v_and_b32_e32 v0, 4, v28
	v_mad_u32_u24 v27, 0x408, v14, v6
	s_delay_alu instid0(VALU_DEP_3) | instskip(SKIP_1) | instid1(VALU_DEP_2)
	v_or_b32_e32 v32, 4, v5
	v_add_nc_u32_e32 v31, 8, v5
	v_sub_nc_u32_e32 v18, v32, v5
	s_delay_alu instid0(VALU_DEP_2) | instskip(NEXT) | instid1(VALU_DEP_1)
	v_sub_nc_u32_e32 v13, v31, v32
	v_sub_nc_u32_e32 v17, v0, v13
	v_cmp_ge_i32_e64 s0, v0, v13
	s_delay_alu instid0(VALU_DEP_4) | instskip(SKIP_1) | instid1(VALU_DEP_3)
	v_min_i32_e32 v13, v0, v18
	v_dual_mov_b32 v18, v8 :: v_dual_lshlrev_b32 v23, 3, v5
	v_cndmask_b32_e64 v6, 0, v17, s0
	v_mov_b32_e32 v17, v7
	ds_store_2addr_b64 v27, v[11:12], v[21:22] offset1:1
	ds_store_2addr_b64 v27, v[15:16], v[17:18] offset0:2 offset1:3
	v_mad_u32_u24 v7, 0x408, v14, v23
	; wave barrier
	v_cmpx_lt_i32_e64 v6, v13
	s_cbranch_execz .LBB173_12
; %bb.9:
	v_lshlrev_b32_e32 v8, 3, v32
	v_lshlrev_b32_e32 v11, 3, v0
	s_delay_alu instid0(VALU_DEP_1)
	v_add3_u32 v8, v26, v8, v11
	.p2align	6
.LBB173_10:                             ; =>This Inner Loop Header: Depth=1
	v_sub_nc_u32_e32 v11, v13, v6
	s_delay_alu instid0(VALU_DEP_1) | instskip(NEXT) | instid1(VALU_DEP_1)
	v_lshrrev_b32_e32 v12, 31, v11
	v_add_nc_u32_e32 v11, v11, v12
	s_delay_alu instid0(VALU_DEP_1) | instskip(NEXT) | instid1(VALU_DEP_1)
	v_ashrrev_i32_e32 v11, 1, v11
	v_add_nc_u32_e32 v16, v11, v6
	s_delay_alu instid0(VALU_DEP_1) | instskip(SKIP_1) | instid1(VALU_DEP_2)
	v_not_b32_e32 v11, v16
	v_lshl_add_u32 v12, v16, 3, v7
	v_lshl_add_u32 v14, v11, 3, v8
	ds_load_b64 v[11:12], v12
	ds_load_b64 v[14:15], v14
	s_waitcnt lgkmcnt(0)
	v_cmp_lt_i64_e64 s0, v[14:15], v[11:12]
	v_add_nc_u32_e32 v11, 1, v16
	s_delay_alu instid0(VALU_DEP_2) | instskip(NEXT) | instid1(VALU_DEP_2)
	v_cndmask_b32_e64 v13, v13, v16, s0
	v_cndmask_b32_e64 v6, v11, v6, s0
	s_delay_alu instid0(VALU_DEP_1) | instskip(NEXT) | instid1(VALU_DEP_1)
	v_cmp_ge_i32_e64 s0, v6, v13
	s_or_b32 s1, s0, s1
	s_delay_alu instid0(SALU_CYCLE_1)
	s_and_not1_b32 exec_lo, exec_lo, s1
	s_cbranch_execnz .LBB173_10
; %bb.11:
	s_or_b32 exec_lo, exec_lo, s1
.LBB173_12:
	s_delay_alu instid0(SALU_CYCLE_1) | instskip(SKIP_3) | instid1(VALU_DEP_3)
	s_or_b32 exec_lo, exec_lo, s2
	v_add_nc_u32_e32 v0, v32, v0
	v_lshl_add_u32 v8, v6, 3, v7
	v_add_nc_u32_e32 v33, v6, v5
                                        ; implicit-def: $vgpr15_vgpr16
	v_sub_nc_u32_e32 v0, v0, v6
	s_delay_alu instid0(VALU_DEP_2) | instskip(NEXT) | instid1(VALU_DEP_2)
	v_cmp_le_i32_e64 s1, v32, v33
	v_lshl_add_u32 v7, v0, 3, v26
	v_cmp_gt_i32_e64 s2, v31, v0
	ds_load_b64 v[11:12], v8
	ds_load_b64 v[13:14], v7
	s_waitcnt lgkmcnt(0)
	v_cmp_lt_i64_e64 s0, v[13:14], v[11:12]
	s_delay_alu instid0(VALU_DEP_1) | instskip(NEXT) | instid1(SALU_CYCLE_1)
	s_or_b32 s0, s1, s0
	s_and_b32 s0, s2, s0
	s_delay_alu instid0(SALU_CYCLE_1) | instskip(NEXT) | instid1(SALU_CYCLE_1)
	s_xor_b32 s1, s0, -1
	s_and_saveexec_b32 s2, s1
	s_delay_alu instid0(SALU_CYCLE_1)
	s_xor_b32 s1, exec_lo, s2
	s_cbranch_execz .LBB173_14
; %bb.13:
	ds_load_b64 v[15:16], v8 offset:8
                                        ; implicit-def: $vgpr7
.LBB173_14:
	s_or_saveexec_b32 s1, s1
	v_dual_mov_b32 v18, v14 :: v_dual_mov_b32 v17, v13
	s_xor_b32 exec_lo, exec_lo, s1
	s_cbranch_execz .LBB173_16
; %bb.15:
	ds_load_b64 v[17:18], v7 offset:8
	s_waitcnt lgkmcnt(1)
	v_dual_mov_b32 v16, v12 :: v_dual_mov_b32 v15, v11
.LBB173_16:
	s_or_b32 exec_lo, exec_lo, s1
	v_add_nc_u32_e32 v5, 1, v33
	v_add_nc_u32_e32 v6, 1, v0
	s_waitcnt lgkmcnt(0)
	v_cmp_lt_i64_e64 s1, v[17:18], v[15:16]
	s_delay_alu instid0(VALU_DEP_3) | instskip(NEXT) | instid1(VALU_DEP_3)
	v_cndmask_b32_e64 v34, v5, v33, s0
	v_cndmask_b32_e64 v35, v0, v6, s0
                                        ; implicit-def: $vgpr5_vgpr6
	s_delay_alu instid0(VALU_DEP_2) | instskip(NEXT) | instid1(VALU_DEP_2)
	v_cmp_ge_i32_e64 s2, v34, v32
	v_cmp_lt_i32_e64 s3, v35, v31
	s_delay_alu instid0(VALU_DEP_2)
	s_or_b32 s1, s2, s1
	s_delay_alu instid0(VALU_DEP_1) | instid1(SALU_CYCLE_1)
	s_and_b32 s1, s3, s1
	s_delay_alu instid0(SALU_CYCLE_1) | instskip(NEXT) | instid1(SALU_CYCLE_1)
	s_xor_b32 s2, s1, -1
	s_and_saveexec_b32 s3, s2
	s_delay_alu instid0(SALU_CYCLE_1)
	s_xor_b32 s2, exec_lo, s3
	s_cbranch_execz .LBB173_18
; %bb.17:
	v_lshl_add_u32 v5, v34, 3, v26
	ds_load_b64 v[5:6], v5 offset:8
.LBB173_18:
	s_or_saveexec_b32 s2, s2
	v_dual_mov_b32 v7, v17 :: v_dual_mov_b32 v8, v18
	s_xor_b32 exec_lo, exec_lo, s2
	s_cbranch_execz .LBB173_20
; %bb.19:
	s_waitcnt lgkmcnt(0)
	v_lshl_add_u32 v5, v35, 3, v26
	ds_load_b64 v[7:8], v5 offset:8
	v_dual_mov_b32 v5, v15 :: v_dual_mov_b32 v6, v16
.LBB173_20:
	s_or_b32 exec_lo, exec_lo, s2
	v_add_nc_u32_e32 v21, 1, v34
	v_add_nc_u32_e32 v22, 1, v35
	s_waitcnt lgkmcnt(0)
	v_cmp_lt_i64_e64 s2, v[7:8], v[5:6]
	s_delay_alu instid0(VALU_DEP_3) | instskip(NEXT) | instid1(VALU_DEP_3)
	v_cndmask_b32_e64 v37, v21, v34, s1
	v_cndmask_b32_e64 v36, v35, v22, s1
                                        ; implicit-def: $vgpr21_vgpr22
	s_delay_alu instid0(VALU_DEP_2) | instskip(NEXT) | instid1(VALU_DEP_2)
	v_cmp_ge_i32_e64 s3, v37, v32
	v_cmp_lt_i32_e64 s4, v36, v31
	s_delay_alu instid0(VALU_DEP_2)
	s_or_b32 s2, s3, s2
	s_delay_alu instid0(VALU_DEP_1) | instid1(SALU_CYCLE_1)
	s_and_b32 s2, s4, s2
	s_delay_alu instid0(SALU_CYCLE_1) | instskip(NEXT) | instid1(SALU_CYCLE_1)
	s_xor_b32 s3, s2, -1
	s_and_saveexec_b32 s4, s3
	s_delay_alu instid0(SALU_CYCLE_1)
	s_xor_b32 s3, exec_lo, s4
	s_cbranch_execz .LBB173_22
; %bb.21:
	v_lshl_add_u32 v21, v37, 3, v26
	ds_load_b64 v[21:22], v21 offset:8
.LBB173_22:
	s_or_saveexec_b32 s3, s3
	v_dual_mov_b32 v24, v8 :: v_dual_mov_b32 v23, v7
	s_xor_b32 exec_lo, exec_lo, s3
	s_cbranch_execz .LBB173_24
; %bb.23:
	s_waitcnt lgkmcnt(0)
	v_lshl_add_u32 v21, v36, 3, v26
	ds_load_b64 v[23:24], v21 offset:8
	v_dual_mov_b32 v22, v6 :: v_dual_mov_b32 v21, v5
.LBB173_24:
	s_or_b32 exec_lo, exec_lo, s3
	v_add_nc_u32_e32 v40, 1, v37
	v_cndmask_b32_e64 v39, v6, v8, s2
	v_add_nc_u32_e32 v6, 1, v36
	v_cndmask_b32_e64 v38, v5, v7, s2
	v_cndmask_b32_e32 v5, v29, v19, vcc_lo
	v_cndmask_b32_e64 v8, v40, v37, s2
	v_cndmask_b32_e64 v34, v34, v35, s1
	;; [unrolled: 1-line block ×4, first 2 shown]
	s_waitcnt lgkmcnt(0)
	v_cmp_lt_i64_e64 s2, v[23:24], v[21:22]
	v_cmp_ge_i32_e64 s3, v8, v32
	v_cndmask_b32_e64 v0, v33, v0, s0
	v_cmp_lt_i32_e64 s4, v35, v31
	v_cndmask_b32_e32 v6, v30, v20, vcc_lo
	s_delay_alu instid0(VALU_DEP_4) | instskip(NEXT) | instid1(VALU_DEP_3)
	s_or_b32 s2, s3, s2
	v_lshl_add_u32 v0, v0, 3, v26
	s_delay_alu instid0(VALU_DEP_3)
	s_and_b32 vcc_lo, s4, s2
	; wave barrier
	v_cndmask_b32_e32 v21, v21, v23, vcc_lo
	v_dual_cndmask_b32 v8, v8, v35 :: v_dual_and_b32 v19, 0x70, v28
	ds_store_2addr_b64 v27, v[5:6], v[1:2] offset1:1
	ds_store_2addr_b64 v27, v[3:4], v[9:10] offset0:2 offset1:3
	v_lshl_add_u32 v2, v34, 3, v26
	v_lshl_add_u32 v3, v7, 3, v26
	;; [unrolled: 1-line block ×3, first 2 shown]
	; wave barrier
	ds_load_b64 v[0:1], v0
	ds_load_b64 v[4:5], v2
	;; [unrolled: 1-line block ×4, first 2 shown]
	v_cndmask_b32_e32 v22, v22, v24, vcc_lo
	v_or_b32_e32 v29, 8, v19
	v_add_nc_u32_e32 v24, 16, v19
	v_and_b32_e32 v8, 12, v28
	v_cndmask_b32_e64 v15, v15, v17, s1
	v_cndmask_b32_e64 v14, v12, v14, s0
	v_sub_nc_u32_e32 v17, v29, v19
	v_sub_nc_u32_e32 v9, v24, v29
	v_cndmask_b32_e64 v13, v11, v13, s0
	v_cndmask_b32_e64 v16, v16, v18, s1
	s_mov_b32 s1, 0
	s_delay_alu instid0(VALU_DEP_3)
	v_sub_nc_u32_e32 v10, v8, v9
	v_cmp_ge_i32_e64 s0, v8, v9
	v_lshl_add_u32 v9, v19, 3, v26
	; wave barrier
	ds_store_2addr_b64 v27, v[13:14], v[15:16] offset1:1
	ds_store_2addr_b64 v27, v[38:39], v[21:22] offset0:2 offset1:3
	v_cndmask_b32_e64 v12, 0, v10, s0
	v_min_i32_e32 v10, v8, v17
	s_mov_b32 s0, exec_lo
	; wave barrier
	s_delay_alu instid0(VALU_DEP_1)
	v_cmpx_lt_i32_e64 v12, v10
	s_cbranch_execz .LBB173_28
; %bb.25:
	v_lshlrev_b32_e32 v11, 3, v29
	v_lshlrev_b32_e32 v13, 3, v8
	s_delay_alu instid0(VALU_DEP_1)
	v_add3_u32 v11, v26, v11, v13
	.p2align	6
.LBB173_26:                             ; =>This Inner Loop Header: Depth=1
	v_sub_nc_u32_e32 v13, v10, v12
	s_delay_alu instid0(VALU_DEP_1) | instskip(NEXT) | instid1(VALU_DEP_1)
	v_lshrrev_b32_e32 v14, 31, v13
	v_add_nc_u32_e32 v13, v13, v14
	s_delay_alu instid0(VALU_DEP_1) | instskip(NEXT) | instid1(VALU_DEP_1)
	v_ashrrev_i32_e32 v13, 1, v13
	v_add_nc_u32_e32 v17, v13, v12
	s_delay_alu instid0(VALU_DEP_1) | instskip(SKIP_1) | instid1(VALU_DEP_2)
	v_not_b32_e32 v13, v17
	v_lshl_add_u32 v14, v17, 3, v9
	v_lshl_add_u32 v15, v13, 3, v11
	ds_load_b64 v[13:14], v14
	ds_load_b64 v[15:16], v15
	s_waitcnt lgkmcnt(0)
	v_cmp_lt_i64_e32 vcc_lo, v[15:16], v[13:14]
	v_add_nc_u32_e32 v13, 1, v17
	v_cndmask_b32_e32 v10, v10, v17, vcc_lo
	s_delay_alu instid0(VALU_DEP_2) | instskip(NEXT) | instid1(VALU_DEP_1)
	v_cndmask_b32_e32 v12, v13, v12, vcc_lo
	v_cmp_ge_i32_e32 vcc_lo, v12, v10
	s_or_b32 s1, vcc_lo, s1
	s_delay_alu instid0(SALU_CYCLE_1)
	s_and_not1_b32 exec_lo, exec_lo, s1
	s_cbranch_execnz .LBB173_26
; %bb.27:
	s_or_b32 exec_lo, exec_lo, s1
.LBB173_28:
	s_delay_alu instid0(SALU_CYCLE_1) | instskip(SKIP_3) | instid1(VALU_DEP_3)
	s_or_b32 exec_lo, exec_lo, s0
	v_add_nc_u32_e32 v8, v29, v8
	v_lshl_add_u32 v14, v12, 3, v9
	v_add_nc_u32_e32 v31, v12, v19
	v_sub_nc_u32_e32 v30, v8, v12
                                        ; implicit-def: $vgpr12_vgpr13
	s_delay_alu instid0(VALU_DEP_2) | instskip(NEXT) | instid1(VALU_DEP_2)
	v_cmp_le_i32_e64 s0, v29, v31
	v_lshl_add_u32 v16, v30, 3, v26
	v_cmp_gt_i32_e64 s1, v24, v30
	ds_load_b64 v[8:9], v14
	ds_load_b64 v[10:11], v16
	s_waitcnt lgkmcnt(0)
	v_cmp_lt_i64_e32 vcc_lo, v[10:11], v[8:9]
	s_or_b32 s0, s0, vcc_lo
	s_delay_alu instid0(SALU_CYCLE_1) | instskip(NEXT) | instid1(SALU_CYCLE_1)
	s_and_b32 vcc_lo, s1, s0
	s_xor_b32 s0, vcc_lo, -1
	s_delay_alu instid0(SALU_CYCLE_1) | instskip(NEXT) | instid1(SALU_CYCLE_1)
	s_and_saveexec_b32 s1, s0
	s_xor_b32 s0, exec_lo, s1
	s_cbranch_execz .LBB173_30
; %bb.29:
	ds_load_b64 v[12:13], v14 offset:8
                                        ; implicit-def: $vgpr16
.LBB173_30:
	s_or_saveexec_b32 s0, s0
	v_dual_mov_b32 v15, v11 :: v_dual_mov_b32 v14, v10
	s_xor_b32 exec_lo, exec_lo, s0
	s_cbranch_execz .LBB173_32
; %bb.31:
	ds_load_b64 v[14:15], v16 offset:8
	s_waitcnt lgkmcnt(1)
	v_dual_mov_b32 v13, v9 :: v_dual_mov_b32 v12, v8
.LBB173_32:
	s_or_b32 exec_lo, exec_lo, s0
	v_add_nc_u32_e32 v17, 1, v30
	v_add_nc_u32_e32 v16, 1, v31
	s_waitcnt lgkmcnt(0)
	v_cmp_lt_i64_e64 s0, v[14:15], v[12:13]
                                        ; implicit-def: $vgpr20_vgpr21
	s_delay_alu instid0(VALU_DEP_2) | instskip(NEXT) | instid1(VALU_DEP_1)
	v_dual_cndmask_b32 v33, v30, v17 :: v_dual_cndmask_b32 v32, v16, v31
	v_cmp_lt_i32_e64 s2, v33, v24
	s_delay_alu instid0(VALU_DEP_2) | instskip(NEXT) | instid1(VALU_DEP_1)
	v_cmp_ge_i32_e64 s1, v32, v29
	s_or_b32 s0, s1, s0
	s_delay_alu instid0(VALU_DEP_2) | instid1(SALU_CYCLE_1)
	s_and_b32 s0, s2, s0
	s_delay_alu instid0(SALU_CYCLE_1) | instskip(NEXT) | instid1(SALU_CYCLE_1)
	s_xor_b32 s1, s0, -1
	s_and_saveexec_b32 s2, s1
	s_delay_alu instid0(SALU_CYCLE_1)
	s_xor_b32 s1, exec_lo, s2
	s_cbranch_execz .LBB173_34
; %bb.33:
	v_lshl_add_u32 v16, v32, 3, v26
	ds_load_b64 v[20:21], v16 offset:8
.LBB173_34:
	s_or_saveexec_b32 s1, s1
	v_dual_mov_b32 v23, v15 :: v_dual_mov_b32 v22, v14
	s_xor_b32 exec_lo, exec_lo, s1
	s_cbranch_execz .LBB173_36
; %bb.35:
	v_lshl_add_u32 v16, v33, 3, v26
	s_waitcnt lgkmcnt(0)
	v_dual_mov_b32 v21, v13 :: v_dual_mov_b32 v20, v12
	ds_load_b64 v[22:23], v16 offset:8
.LBB173_36:
	s_or_b32 exec_lo, exec_lo, s1
	v_add_nc_u32_e32 v16, 1, v32
	v_add_nc_u32_e32 v17, 1, v33
	s_waitcnt lgkmcnt(0)
	v_cmp_lt_i64_e64 s1, v[22:23], v[20:21]
	s_delay_alu instid0(VALU_DEP_3) | instskip(NEXT) | instid1(VALU_DEP_3)
	v_cndmask_b32_e64 v35, v16, v32, s0
	v_cndmask_b32_e64 v34, v33, v17, s0
                                        ; implicit-def: $vgpr16_vgpr17
	s_delay_alu instid0(VALU_DEP_2) | instskip(NEXT) | instid1(VALU_DEP_2)
	v_cmp_ge_i32_e64 s2, v35, v29
	v_cmp_lt_i32_e64 s3, v34, v24
	s_delay_alu instid0(VALU_DEP_2)
	s_or_b32 s1, s2, s1
	s_delay_alu instid0(VALU_DEP_1) | instid1(SALU_CYCLE_1)
	s_and_b32 s1, s3, s1
	s_delay_alu instid0(SALU_CYCLE_1) | instskip(NEXT) | instid1(SALU_CYCLE_1)
	s_xor_b32 s2, s1, -1
	s_and_saveexec_b32 s3, s2
	s_delay_alu instid0(SALU_CYCLE_1)
	s_xor_b32 s2, exec_lo, s3
	s_cbranch_execz .LBB173_38
; %bb.37:
	v_lshl_add_u32 v16, v35, 3, v26
	ds_load_b64 v[16:17], v16 offset:8
.LBB173_38:
	s_or_saveexec_b32 s2, s2
	v_dual_mov_b32 v18, v22 :: v_dual_mov_b32 v19, v23
	s_xor_b32 exec_lo, exec_lo, s2
	s_cbranch_execz .LBB173_40
; %bb.39:
	s_waitcnt lgkmcnt(0)
	v_lshl_add_u32 v16, v34, 3, v26
	ds_load_b64 v[18:19], v16 offset:8
	v_dual_mov_b32 v16, v20 :: v_dual_mov_b32 v17, v21
.LBB173_40:
	s_or_b32 exec_lo, exec_lo, s2
	v_add_nc_u32_e32 v36, 1, v35
	v_add_nc_u32_e32 v37, 1, v34
	v_cndmask_b32_e64 v23, v21, v23, s1
	v_cndmask_b32_e64 v22, v20, v22, s1
	;; [unrolled: 1-line block ×6, first 2 shown]
	s_waitcnt lgkmcnt(0)
	v_cmp_lt_i64_e64 s1, v[18:19], v[16:17]
	v_cmp_ge_i32_e64 s2, v21, v29
	v_cndmask_b32_e32 v29, v31, v30, vcc_lo
	v_cmp_lt_i32_e64 s3, v34, v24
	; wave barrier
	ds_store_2addr_b64 v27, v[0:1], v[4:5] offset1:1
	ds_store_2addr_b64 v27, v[2:3], v[6:7] offset0:2 offset1:3
	s_or_b32 s1, s2, s1
	v_lshl_add_u32 v0, v29, 3, v26
	s_and_b32 s1, s3, s1
	v_lshl_add_u32 v2, v32, 3, v26
	v_cndmask_b32_e64 v19, v17, v19, s1
	v_cndmask_b32_e64 v17, v21, v34, s1
	v_dual_cndmask_b32 v11, v9, v11 :: v_dual_and_b32 v20, 0x60, v28
	v_lshl_add_u32 v3, v35, 3, v26
	s_delay_alu instid0(VALU_DEP_3)
	v_lshl_add_u32 v6, v17, 3, v26
	; wave barrier
	ds_load_b64 v[0:1], v0
	ds_load_b64 v[4:5], v2
	;; [unrolled: 1-line block ×4, first 2 shown]
	v_or_b32_e32 v29, 16, v20
	v_add_nc_u32_e32 v24, 32, v20
	v_dual_cndmask_b32 v10, v8, v10 :: v_dual_and_b32 v17, 28, v28
	v_cndmask_b32_e64 v15, v13, v15, s0
	v_cndmask_b32_e64 v14, v12, v14, s0
	s_delay_alu instid0(VALU_DEP_4)
	v_sub_nc_u32_e32 v21, v24, v29
	v_sub_nc_u32_e32 v13, v29, v20
	v_lshl_add_u32 v8, v20, 3, v26
	v_cndmask_b32_e64 v18, v16, v18, s1
	s_mov_b32 s1, 0
	v_sub_nc_u32_e32 v12, v17, v21
	v_cmp_ge_i32_e32 vcc_lo, v17, v21
	v_min_i32_e32 v9, v17, v13
	s_mov_b32 s0, exec_lo
	; wave barrier
	s_delay_alu instid0(VALU_DEP_3)
	v_cndmask_b32_e32 v12, 0, v12, vcc_lo
	ds_store_2addr_b64 v27, v[10:11], v[14:15] offset1:1
	ds_store_2addr_b64 v27, v[22:23], v[18:19] offset0:2 offset1:3
	; wave barrier
	v_cmpx_lt_i32_e64 v12, v9
	s_cbranch_execz .LBB173_44
; %bb.41:
	v_lshlrev_b32_e32 v10, 3, v29
	v_lshlrev_b32_e32 v11, 3, v17
	s_delay_alu instid0(VALU_DEP_1)
	v_add3_u32 v10, v26, v10, v11
	.p2align	6
.LBB173_42:                             ; =>This Inner Loop Header: Depth=1
	v_sub_nc_u32_e32 v11, v9, v12
	s_delay_alu instid0(VALU_DEP_1) | instskip(NEXT) | instid1(VALU_DEP_1)
	v_lshrrev_b32_e32 v13, 31, v11
	v_add_nc_u32_e32 v11, v11, v13
	s_delay_alu instid0(VALU_DEP_1) | instskip(NEXT) | instid1(VALU_DEP_1)
	v_ashrrev_i32_e32 v11, 1, v11
	v_add_nc_u32_e32 v11, v11, v12
	s_delay_alu instid0(VALU_DEP_1) | instskip(SKIP_1) | instid1(VALU_DEP_2)
	v_not_b32_e32 v13, v11
	v_lshl_add_u32 v14, v11, 3, v8
	v_lshl_add_u32 v15, v13, 3, v10
	ds_load_b64 v[13:14], v14
	ds_load_b64 v[15:16], v15
	s_waitcnt lgkmcnt(0)
	v_cmp_lt_i64_e32 vcc_lo, v[15:16], v[13:14]
	v_add_nc_u32_e32 v13, 1, v11
	s_delay_alu instid0(VALU_DEP_1) | instskip(SKIP_1) | instid1(VALU_DEP_1)
	v_cndmask_b32_e32 v12, v13, v12, vcc_lo
	v_cndmask_b32_e32 v9, v9, v11, vcc_lo
	v_cmp_ge_i32_e32 vcc_lo, v12, v9
	s_or_b32 s1, vcc_lo, s1
	s_delay_alu instid0(SALU_CYCLE_1)
	s_and_not1_b32 exec_lo, exec_lo, s1
	s_cbranch_execnz .LBB173_42
; %bb.43:
	s_or_b32 exec_lo, exec_lo, s1
.LBB173_44:
	s_delay_alu instid0(SALU_CYCLE_1) | instskip(SKIP_3) | instid1(VALU_DEP_3)
	s_or_b32 exec_lo, exec_lo, s0
	v_add_nc_u32_e32 v9, v29, v17
	v_lshl_add_u32 v14, v12, 3, v8
	v_add_nc_u32_e32 v31, v12, v20
	v_sub_nc_u32_e32 v30, v9, v12
                                        ; implicit-def: $vgpr12_vgpr13
	s_delay_alu instid0(VALU_DEP_2) | instskip(NEXT) | instid1(VALU_DEP_2)
	v_cmp_le_i32_e64 s0, v29, v31
	v_lshl_add_u32 v16, v30, 3, v26
	v_cmp_gt_i32_e64 s1, v24, v30
	ds_load_b64 v[8:9], v14
	ds_load_b64 v[10:11], v16
	s_waitcnt lgkmcnt(0)
	v_cmp_lt_i64_e32 vcc_lo, v[10:11], v[8:9]
	s_or_b32 s0, s0, vcc_lo
	s_delay_alu instid0(SALU_CYCLE_1) | instskip(NEXT) | instid1(SALU_CYCLE_1)
	s_and_b32 vcc_lo, s1, s0
	s_xor_b32 s0, vcc_lo, -1
	s_delay_alu instid0(SALU_CYCLE_1) | instskip(NEXT) | instid1(SALU_CYCLE_1)
	s_and_saveexec_b32 s1, s0
	s_xor_b32 s0, exec_lo, s1
	s_cbranch_execz .LBB173_46
; %bb.45:
	ds_load_b64 v[12:13], v14 offset:8
                                        ; implicit-def: $vgpr16
.LBB173_46:
	s_or_saveexec_b32 s0, s0
	v_dual_mov_b32 v15, v11 :: v_dual_mov_b32 v14, v10
	s_xor_b32 exec_lo, exec_lo, s0
	s_cbranch_execz .LBB173_48
; %bb.47:
	ds_load_b64 v[14:15], v16 offset:8
	s_waitcnt lgkmcnt(1)
	v_dual_mov_b32 v13, v9 :: v_dual_mov_b32 v12, v8
.LBB173_48:
	s_or_b32 exec_lo, exec_lo, s0
	v_add_nc_u32_e32 v17, 1, v30
	v_add_nc_u32_e32 v16, 1, v31
	s_waitcnt lgkmcnt(0)
	v_cmp_lt_i64_e64 s0, v[14:15], v[12:13]
                                        ; implicit-def: $vgpr20_vgpr21
	s_delay_alu instid0(VALU_DEP_2) | instskip(NEXT) | instid1(VALU_DEP_1)
	v_dual_cndmask_b32 v33, v30, v17 :: v_dual_cndmask_b32 v32, v16, v31
	v_cmp_lt_i32_e64 s2, v33, v24
	s_delay_alu instid0(VALU_DEP_2) | instskip(NEXT) | instid1(VALU_DEP_1)
	v_cmp_ge_i32_e64 s1, v32, v29
	s_or_b32 s0, s1, s0
	s_delay_alu instid0(VALU_DEP_2) | instid1(SALU_CYCLE_1)
	s_and_b32 s0, s2, s0
	s_delay_alu instid0(SALU_CYCLE_1) | instskip(NEXT) | instid1(SALU_CYCLE_1)
	s_xor_b32 s1, s0, -1
	s_and_saveexec_b32 s2, s1
	s_delay_alu instid0(SALU_CYCLE_1)
	s_xor_b32 s1, exec_lo, s2
	s_cbranch_execz .LBB173_50
; %bb.49:
	v_lshl_add_u32 v16, v32, 3, v26
	ds_load_b64 v[20:21], v16 offset:8
.LBB173_50:
	s_or_saveexec_b32 s1, s1
	v_dual_mov_b32 v23, v15 :: v_dual_mov_b32 v22, v14
	s_xor_b32 exec_lo, exec_lo, s1
	s_cbranch_execz .LBB173_52
; %bb.51:
	v_lshl_add_u32 v16, v33, 3, v26
	s_waitcnt lgkmcnt(0)
	v_dual_mov_b32 v21, v13 :: v_dual_mov_b32 v20, v12
	ds_load_b64 v[22:23], v16 offset:8
.LBB173_52:
	s_or_b32 exec_lo, exec_lo, s1
	v_add_nc_u32_e32 v16, 1, v32
	v_add_nc_u32_e32 v17, 1, v33
	s_waitcnt lgkmcnt(0)
	v_cmp_lt_i64_e64 s1, v[22:23], v[20:21]
	s_delay_alu instid0(VALU_DEP_3) | instskip(NEXT) | instid1(VALU_DEP_3)
	v_cndmask_b32_e64 v35, v16, v32, s0
	v_cndmask_b32_e64 v34, v33, v17, s0
                                        ; implicit-def: $vgpr16_vgpr17
	s_delay_alu instid0(VALU_DEP_2) | instskip(NEXT) | instid1(VALU_DEP_2)
	v_cmp_ge_i32_e64 s2, v35, v29
	v_cmp_lt_i32_e64 s3, v34, v24
	s_delay_alu instid0(VALU_DEP_2)
	s_or_b32 s1, s2, s1
	s_delay_alu instid0(VALU_DEP_1) | instid1(SALU_CYCLE_1)
	s_and_b32 s1, s3, s1
	s_delay_alu instid0(SALU_CYCLE_1) | instskip(NEXT) | instid1(SALU_CYCLE_1)
	s_xor_b32 s2, s1, -1
	s_and_saveexec_b32 s3, s2
	s_delay_alu instid0(SALU_CYCLE_1)
	s_xor_b32 s2, exec_lo, s3
	s_cbranch_execz .LBB173_54
; %bb.53:
	v_lshl_add_u32 v16, v35, 3, v26
	ds_load_b64 v[16:17], v16 offset:8
.LBB173_54:
	s_or_saveexec_b32 s2, s2
	v_dual_mov_b32 v18, v22 :: v_dual_mov_b32 v19, v23
	s_xor_b32 exec_lo, exec_lo, s2
	s_cbranch_execz .LBB173_56
; %bb.55:
	s_waitcnt lgkmcnt(0)
	v_lshl_add_u32 v16, v34, 3, v26
	ds_load_b64 v[18:19], v16 offset:8
	v_dual_mov_b32 v16, v20 :: v_dual_mov_b32 v17, v21
.LBB173_56:
	s_or_b32 exec_lo, exec_lo, s2
	v_add_nc_u32_e32 v36, 1, v35
	v_add_nc_u32_e32 v37, 1, v34
	v_cndmask_b32_e64 v23, v21, v23, s1
	v_cndmask_b32_e64 v22, v20, v22, s1
	;; [unrolled: 1-line block ×6, first 2 shown]
	s_waitcnt lgkmcnt(0)
	v_cmp_lt_i64_e64 s1, v[18:19], v[16:17]
	v_cmp_ge_i32_e64 s2, v21, v29
	v_cndmask_b32_e32 v29, v31, v30, vcc_lo
	v_cmp_lt_i32_e64 s3, v34, v24
	; wave barrier
	ds_store_2addr_b64 v27, v[0:1], v[4:5] offset1:1
	ds_store_2addr_b64 v27, v[2:3], v[6:7] offset0:2 offset1:3
	s_or_b32 s1, s2, s1
	v_lshl_add_u32 v0, v29, 3, v26
	s_and_b32 s1, s3, s1
	v_lshl_add_u32 v1, v32, 3, v26
	v_cndmask_b32_e64 v19, v17, v19, s1
	v_cndmask_b32_e64 v17, v21, v34, s1
	v_dual_cndmask_b32 v11, v9, v11 :: v_dual_and_b32 v20, 64, v28
	v_lshl_add_u32 v2, v35, 3, v26
	s_delay_alu instid0(VALU_DEP_3)
	v_lshl_add_u32 v3, v17, 3, v26
	; wave barrier
	ds_load_b64 v[4:5], v0
	ds_load_b64 v[6:7], v1
	;; [unrolled: 1-line block ×4, first 2 shown]
	v_or_b32_e32 v29, 32, v20
	v_add_nc_u32_e32 v24, 64, v20
	v_dual_cndmask_b32 v10, v8, v10 :: v_dual_and_b32 v17, 60, v28
	v_cndmask_b32_e64 v15, v13, v15, s0
	v_cndmask_b32_e64 v14, v12, v14, s0
	s_delay_alu instid0(VALU_DEP_4)
	v_sub_nc_u32_e32 v21, v24, v29
	v_sub_nc_u32_e32 v13, v29, v20
	v_lshl_add_u32 v8, v20, 3, v26
	v_cndmask_b32_e64 v18, v16, v18, s1
	s_mov_b32 s1, 0
	v_sub_nc_u32_e32 v12, v17, v21
	v_cmp_ge_i32_e32 vcc_lo, v17, v21
	v_min_i32_e32 v9, v17, v13
	s_mov_b32 s0, exec_lo
	; wave barrier
	s_delay_alu instid0(VALU_DEP_3)
	v_cndmask_b32_e32 v12, 0, v12, vcc_lo
	ds_store_2addr_b64 v27, v[10:11], v[14:15] offset1:1
	ds_store_2addr_b64 v27, v[22:23], v[18:19] offset0:2 offset1:3
	; wave barrier
	v_cmpx_lt_i32_e64 v12, v9
	s_cbranch_execz .LBB173_60
; %bb.57:
	v_lshlrev_b32_e32 v10, 3, v29
	v_lshlrev_b32_e32 v11, 3, v17
	s_delay_alu instid0(VALU_DEP_1)
	v_add3_u32 v10, v26, v10, v11
	.p2align	6
.LBB173_58:                             ; =>This Inner Loop Header: Depth=1
	v_sub_nc_u32_e32 v11, v9, v12
	s_delay_alu instid0(VALU_DEP_1) | instskip(NEXT) | instid1(VALU_DEP_1)
	v_lshrrev_b32_e32 v13, 31, v11
	v_add_nc_u32_e32 v11, v11, v13
	s_delay_alu instid0(VALU_DEP_1) | instskip(NEXT) | instid1(VALU_DEP_1)
	v_ashrrev_i32_e32 v11, 1, v11
	v_add_nc_u32_e32 v11, v11, v12
	s_delay_alu instid0(VALU_DEP_1) | instskip(SKIP_1) | instid1(VALU_DEP_2)
	v_not_b32_e32 v13, v11
	v_lshl_add_u32 v14, v11, 3, v8
	v_lshl_add_u32 v15, v13, 3, v10
	ds_load_b64 v[13:14], v14
	ds_load_b64 v[15:16], v15
	s_waitcnt lgkmcnt(0)
	v_cmp_lt_i64_e32 vcc_lo, v[15:16], v[13:14]
	v_add_nc_u32_e32 v13, 1, v11
	s_delay_alu instid0(VALU_DEP_1) | instskip(SKIP_1) | instid1(VALU_DEP_1)
	v_cndmask_b32_e32 v12, v13, v12, vcc_lo
	v_cndmask_b32_e32 v9, v9, v11, vcc_lo
	v_cmp_ge_i32_e32 vcc_lo, v12, v9
	s_or_b32 s1, vcc_lo, s1
	s_delay_alu instid0(SALU_CYCLE_1)
	s_and_not1_b32 exec_lo, exec_lo, s1
	s_cbranch_execnz .LBB173_58
; %bb.59:
	s_or_b32 exec_lo, exec_lo, s1
.LBB173_60:
	s_delay_alu instid0(SALU_CYCLE_1) | instskip(SKIP_3) | instid1(VALU_DEP_3)
	s_or_b32 exec_lo, exec_lo, s0
	v_add_nc_u32_e32 v9, v29, v17
	v_lshl_add_u32 v14, v12, 3, v8
	v_add_nc_u32_e32 v31, v12, v20
	v_sub_nc_u32_e32 v30, v9, v12
                                        ; implicit-def: $vgpr12_vgpr13
	s_delay_alu instid0(VALU_DEP_2) | instskip(NEXT) | instid1(VALU_DEP_2)
	v_cmp_le_i32_e64 s0, v29, v31
	v_lshl_add_u32 v16, v30, 3, v26
	v_cmp_gt_i32_e64 s1, v24, v30
	ds_load_b64 v[8:9], v14
	ds_load_b64 v[10:11], v16
	s_waitcnt lgkmcnt(0)
	v_cmp_lt_i64_e32 vcc_lo, v[10:11], v[8:9]
	s_or_b32 s0, s0, vcc_lo
	s_delay_alu instid0(SALU_CYCLE_1) | instskip(NEXT) | instid1(SALU_CYCLE_1)
	s_and_b32 vcc_lo, s1, s0
	s_xor_b32 s0, vcc_lo, -1
	s_delay_alu instid0(SALU_CYCLE_1) | instskip(NEXT) | instid1(SALU_CYCLE_1)
	s_and_saveexec_b32 s1, s0
	s_xor_b32 s0, exec_lo, s1
	s_cbranch_execz .LBB173_62
; %bb.61:
	ds_load_b64 v[12:13], v14 offset:8
                                        ; implicit-def: $vgpr16
.LBB173_62:
	s_or_saveexec_b32 s0, s0
	v_dual_mov_b32 v15, v11 :: v_dual_mov_b32 v14, v10
	s_xor_b32 exec_lo, exec_lo, s0
	s_cbranch_execz .LBB173_64
; %bb.63:
	ds_load_b64 v[14:15], v16 offset:8
	s_waitcnt lgkmcnt(1)
	v_dual_mov_b32 v13, v9 :: v_dual_mov_b32 v12, v8
.LBB173_64:
	s_or_b32 exec_lo, exec_lo, s0
	v_add_nc_u32_e32 v17, 1, v30
	v_add_nc_u32_e32 v16, 1, v31
	s_waitcnt lgkmcnt(0)
	v_cmp_lt_i64_e64 s0, v[14:15], v[12:13]
	s_delay_alu instid0(VALU_DEP_2) | instskip(NEXT) | instid1(VALU_DEP_1)
	v_dual_cndmask_b32 v33, v30, v17 :: v_dual_cndmask_b32 v32, v16, v31
                                        ; implicit-def: $vgpr16_vgpr17
	v_cmp_lt_i32_e64 s2, v33, v24
	s_delay_alu instid0(VALU_DEP_2) | instskip(NEXT) | instid1(VALU_DEP_1)
	v_cmp_ge_i32_e64 s1, v32, v29
	s_or_b32 s0, s1, s0
	s_delay_alu instid0(VALU_DEP_2) | instid1(SALU_CYCLE_1)
	s_and_b32 s0, s2, s0
	s_delay_alu instid0(SALU_CYCLE_1) | instskip(NEXT) | instid1(SALU_CYCLE_1)
	s_xor_b32 s1, s0, -1
	s_and_saveexec_b32 s2, s1
	s_delay_alu instid0(SALU_CYCLE_1)
	s_xor_b32 s1, exec_lo, s2
	s_cbranch_execz .LBB173_66
; %bb.65:
	v_lshl_add_u32 v16, v32, 3, v26
	ds_load_b64 v[16:17], v16 offset:8
.LBB173_66:
	s_or_saveexec_b32 s1, s1
	v_dual_mov_b32 v19, v15 :: v_dual_mov_b32 v18, v14
	s_xor_b32 exec_lo, exec_lo, s1
	s_cbranch_execz .LBB173_68
; %bb.67:
	s_waitcnt lgkmcnt(0)
	v_lshl_add_u32 v16, v33, 3, v26
	ds_load_b64 v[18:19], v16 offset:8
	v_dual_mov_b32 v17, v13 :: v_dual_mov_b32 v16, v12
.LBB173_68:
	s_or_b32 exec_lo, exec_lo, s1
	v_add_nc_u32_e32 v20, 1, v32
	v_add_nc_u32_e32 v21, 1, v33
	s_waitcnt lgkmcnt(0)
	v_cmp_lt_i64_e64 s1, v[18:19], v[16:17]
	s_delay_alu instid0(VALU_DEP_3) | instskip(NEXT) | instid1(VALU_DEP_3)
	v_cndmask_b32_e64 v35, v20, v32, s0
	v_cndmask_b32_e64 v34, v33, v21, s0
                                        ; implicit-def: $vgpr20_vgpr21
	s_delay_alu instid0(VALU_DEP_2) | instskip(NEXT) | instid1(VALU_DEP_2)
	v_cmp_ge_i32_e64 s2, v35, v29
	v_cmp_lt_i32_e64 s3, v34, v24
	s_delay_alu instid0(VALU_DEP_2)
	s_or_b32 s1, s2, s1
	s_delay_alu instid0(VALU_DEP_1) | instid1(SALU_CYCLE_1)
	s_and_b32 s1, s3, s1
	s_delay_alu instid0(SALU_CYCLE_1) | instskip(NEXT) | instid1(SALU_CYCLE_1)
	s_xor_b32 s2, s1, -1
	s_and_saveexec_b32 s3, s2
	s_delay_alu instid0(SALU_CYCLE_1)
	s_xor_b32 s2, exec_lo, s3
	s_cbranch_execz .LBB173_70
; %bb.69:
	v_lshl_add_u32 v20, v35, 3, v26
	ds_load_b64 v[20:21], v20 offset:8
.LBB173_70:
	s_or_saveexec_b32 s2, s2
	v_dual_mov_b32 v23, v19 :: v_dual_mov_b32 v22, v18
	s_xor_b32 exec_lo, exec_lo, s2
	s_cbranch_execz .LBB173_72
; %bb.71:
	s_waitcnt lgkmcnt(0)
	v_lshl_add_u32 v20, v34, 3, v26
	ds_load_b64 v[22:23], v20 offset:8
	v_dual_mov_b32 v21, v17 :: v_dual_mov_b32 v20, v16
.LBB173_72:
	s_or_b32 exec_lo, exec_lo, s2
	v_add_nc_u32_e32 v36, 1, v35
	v_add_nc_u32_e32 v37, 1, v34
	v_cndmask_b32_e64 v32, v32, v33, s0
	s_waitcnt lgkmcnt(0)
	v_cmp_lt_i64_e64 s2, v[22:23], v[20:21]
	v_cndmask_b32_e64 v36, v36, v35, s1
	v_cndmask_b32_e64 v33, v34, v37, s1
	;; [unrolled: 1-line block ×3, first 2 shown]
	; wave barrier
	ds_store_2addr_b64 v27, v[4:5], v[6:7] offset1:1
	ds_store_2addr_b64 v27, v[0:1], v[2:3] offset0:2 offset1:3
	v_cmp_ge_i32_e64 s3, v36, v29
	v_cndmask_b32_e32 v29, v31, v30, vcc_lo
	v_cmp_lt_i32_e64 s4, v33, v24
	v_lshl_add_u32 v2, v32, 3, v26
	v_lshl_add_u32 v3, v35, 3, v26
	s_or_b32 s2, s3, s2
	v_lshl_add_u32 v1, v29, 3, v26
	s_and_b32 s2, s4, s2
	s_delay_alu instid0(SALU_CYCLE_1) | instskip(SKIP_2) | instid1(VALU_DEP_3)
	v_cndmask_b32_e64 v0, v36, v33, s2
	; wave barrier
	v_cndmask_b32_e64 v23, v21, v23, s2
	v_dual_cndmask_b32 v10, v8, v10 :: v_dual_and_b32 v21, 0x7c, v28
	v_lshl_add_u32 v6, v0, 3, v26
	v_cndmask_b32_e64 v16, v16, v18, s1
	ds_load_b64 v[0:1], v1
	ds_load_b64 v[4:5], v2
	;; [unrolled: 1-line block ×4, first 2 shown]
	v_subrev_nc_u32_e32 v18, 64, v21
	v_cndmask_b32_e64 v13, v13, v15, s0
	v_cndmask_b32_e64 v12, v12, v14, s0
	v_cmp_lt_i32_e64 s0, 63, v21
	v_cndmask_b32_e32 v11, v9, v11, vcc_lo
	v_min_i32_e32 v9, 64, v21
	v_cndmask_b32_e64 v17, v17, v19, s1
	v_cndmask_b32_e64 v22, v20, v22, s2
	;; [unrolled: 1-line block ×3, first 2 shown]
	s_mov_b32 s0, exec_lo
	; wave barrier
	ds_store_2addr_b64 v27, v[10:11], v[12:13] offset1:1
	ds_store_2addr_b64 v27, v[16:17], v[22:23] offset0:2 offset1:3
	; wave barrier
	v_cmpx_lt_i32_e64 v24, v9
	s_cbranch_execz .LBB173_76
; %bb.73:
	v_lshlrev_b32_e32 v8, 3, v21
	s_mov_b32 s1, 0
	s_delay_alu instid0(VALU_DEP_1)
	v_add3_u32 v8, 0x200, v26, v8
	.p2align	6
.LBB173_74:                             ; =>This Inner Loop Header: Depth=1
	v_sub_nc_u32_e32 v10, v9, v24
	s_delay_alu instid0(VALU_DEP_1) | instskip(NEXT) | instid1(VALU_DEP_1)
	v_lshrrev_b32_e32 v11, 31, v10
	v_add_nc_u32_e32 v10, v10, v11
	s_delay_alu instid0(VALU_DEP_1) | instskip(NEXT) | instid1(VALU_DEP_1)
	v_ashrrev_i32_e32 v10, 1, v10
	v_add_nc_u32_e32 v14, v10, v24
	s_delay_alu instid0(VALU_DEP_1) | instskip(SKIP_1) | instid1(VALU_DEP_2)
	v_not_b32_e32 v10, v14
	v_lshl_add_u32 v11, v14, 3, v26
	v_lshl_add_u32 v12, v10, 3, v8
	ds_load_b64 v[10:11], v11
	ds_load_b64 v[12:13], v12
	s_waitcnt lgkmcnt(0)
	v_cmp_lt_i64_e32 vcc_lo, v[12:13], v[10:11]
	v_add_nc_u32_e32 v10, 1, v14
	s_delay_alu instid0(VALU_DEP_1) | instskip(NEXT) | instid1(VALU_DEP_1)
	v_dual_cndmask_b32 v9, v9, v14 :: v_dual_cndmask_b32 v24, v10, v24
	v_cmp_ge_i32_e32 vcc_lo, v24, v9
	s_or_b32 s1, vcc_lo, s1
	s_delay_alu instid0(SALU_CYCLE_1)
	s_and_not1_b32 exec_lo, exec_lo, s1
	s_cbranch_execnz .LBB173_74
; %bb.75:
	s_or_b32 exec_lo, exec_lo, s1
.LBB173_76:
	s_delay_alu instid0(SALU_CYCLE_1) | instskip(SKIP_3) | instid1(VALU_DEP_3)
	s_or_b32 exec_lo, exec_lo, s0
	v_add_nc_u32_e32 v8, 64, v21
	v_lshl_add_u32 v14, v24, 3, v26
	v_cmp_le_i32_e64 s0, 64, v24
                                        ; implicit-def: $vgpr12_vgpr13
	v_sub_nc_u32_e32 v28, v8, v24
	s_delay_alu instid0(VALU_DEP_1)
	v_lshl_add_u32 v16, v28, 3, v26
	v_cmp_gt_i32_e64 s1, 0x80, v28
	ds_load_b64 v[8:9], v14
	ds_load_b64 v[10:11], v16
	s_waitcnt lgkmcnt(0)
	v_cmp_lt_i64_e32 vcc_lo, v[10:11], v[8:9]
	s_or_b32 s0, s0, vcc_lo
	s_delay_alu instid0(SALU_CYCLE_1) | instskip(NEXT) | instid1(SALU_CYCLE_1)
	s_and_b32 vcc_lo, s1, s0
	s_xor_b32 s0, vcc_lo, -1
	s_delay_alu instid0(SALU_CYCLE_1) | instskip(NEXT) | instid1(SALU_CYCLE_1)
	s_and_saveexec_b32 s1, s0
	s_xor_b32 s0, exec_lo, s1
	s_cbranch_execz .LBB173_78
; %bb.77:
	ds_load_b64 v[12:13], v14 offset:8
                                        ; implicit-def: $vgpr16
.LBB173_78:
	s_or_saveexec_b32 s0, s0
	v_dual_mov_b32 v15, v11 :: v_dual_mov_b32 v14, v10
	s_xor_b32 exec_lo, exec_lo, s0
	s_cbranch_execz .LBB173_80
; %bb.79:
	ds_load_b64 v[14:15], v16 offset:8
	s_waitcnt lgkmcnt(1)
	v_dual_mov_b32 v13, v9 :: v_dual_mov_b32 v12, v8
.LBB173_80:
	s_or_b32 exec_lo, exec_lo, s0
	v_add_nc_u32_e32 v16, 1, v24
	v_add_nc_u32_e32 v17, 1, v28
	s_waitcnt lgkmcnt(0)
	v_cmp_lt_i64_e64 s0, v[14:15], v[12:13]
                                        ; implicit-def: $vgpr22_vgpr23
	s_delay_alu instid0(VALU_DEP_3) | instskip(NEXT) | instid1(VALU_DEP_3)
	v_cndmask_b32_e32 v29, v16, v24, vcc_lo
	v_cndmask_b32_e32 v30, v28, v17, vcc_lo
	s_delay_alu instid0(VALU_DEP_2) | instskip(NEXT) | instid1(VALU_DEP_2)
	v_cmp_le_i32_e64 s1, 64, v29
	v_cmp_gt_i32_e64 s2, 0x80, v30
	s_delay_alu instid0(VALU_DEP_2)
	s_or_b32 s0, s1, s0
	s_delay_alu instid0(VALU_DEP_1) | instid1(SALU_CYCLE_1)
	s_and_b32 s0, s2, s0
	s_delay_alu instid0(SALU_CYCLE_1) | instskip(NEXT) | instid1(SALU_CYCLE_1)
	s_xor_b32 s1, s0, -1
	s_and_saveexec_b32 s2, s1
	s_delay_alu instid0(SALU_CYCLE_1)
	s_xor_b32 s1, exec_lo, s2
	s_cbranch_execz .LBB173_82
; %bb.81:
	v_lshl_add_u32 v16, v29, 3, v26
	ds_load_b64 v[22:23], v16 offset:8
.LBB173_82:
	s_or_saveexec_b32 s1, s1
	v_dual_mov_b32 v17, v15 :: v_dual_mov_b32 v16, v14
	s_xor_b32 exec_lo, exec_lo, s1
	s_cbranch_execz .LBB173_84
; %bb.83:
	v_lshl_add_u32 v16, v30, 3, v26
	s_waitcnt lgkmcnt(0)
	v_dual_mov_b32 v23, v13 :: v_dual_mov_b32 v22, v12
	ds_load_b64 v[16:17], v16 offset:8
.LBB173_84:
	s_or_b32 exec_lo, exec_lo, s1
	v_add_nc_u32_e32 v18, 1, v29
	v_add_nc_u32_e32 v19, 1, v30
	s_waitcnt lgkmcnt(0)
	v_cmp_ge_i64_e64 s1, v[16:17], v[22:23]
                                        ; implicit-def: $vgpr32
	s_delay_alu instid0(VALU_DEP_3) | instskip(NEXT) | instid1(VALU_DEP_3)
	v_cndmask_b32_e64 v34, v18, v29, s0
	v_cndmask_b32_e64 v31, v30, v19, s0
                                        ; implicit-def: $vgpr18_vgpr19
	s_delay_alu instid0(VALU_DEP_2) | instskip(NEXT) | instid1(VALU_DEP_2)
	v_cmp_gt_i32_e64 s2, 64, v34
	v_cmp_le_i32_e64 s3, 0x80, v31
	s_delay_alu instid0(VALU_DEP_2)
	s_and_b32 s1, s2, s1
	s_delay_alu instid0(VALU_DEP_1) | instid1(SALU_CYCLE_1)
	s_or_b32 s1, s3, s1
	s_delay_alu instid0(SALU_CYCLE_1) | instskip(NEXT) | instid1(SALU_CYCLE_1)
	s_and_saveexec_b32 s2, s1
	s_xor_b32 s1, exec_lo, s2
	s_cbranch_execz .LBB173_86
; %bb.85:
	v_lshl_add_u32 v18, v34, 3, v26
	v_add_nc_u32_e32 v32, 1, v34
	ds_load_b64 v[18:19], v18 offset:8
.LBB173_86:
	s_or_saveexec_b32 s1, s1
	v_dual_mov_b32 v20, v22 :: v_dual_mov_b32 v21, v23
	v_mov_b32_e32 v33, v34
	s_xor_b32 exec_lo, exec_lo, s1
	s_cbranch_execz .LBB173_88
; %bb.87:
	s_waitcnt lgkmcnt(0)
	v_lshl_add_u32 v18, v31, 3, v26
	v_dual_mov_b32 v32, v34 :: v_dual_mov_b32 v21, v17
	v_dual_mov_b32 v20, v16 :: v_dual_mov_b32 v33, v31
	ds_load_b64 v[35:36], v18 offset:8
	v_add_nc_u32_e32 v18, 1, v31
	s_delay_alu instid0(VALU_DEP_1)
	v_mov_b32_e32 v31, v18
	v_dual_mov_b32 v18, v22 :: v_dual_mov_b32 v19, v23
	s_waitcnt lgkmcnt(0)
	v_dual_mov_b32 v16, v35 :: v_dual_mov_b32 v17, v36
.LBB173_88:
	s_or_b32 exec_lo, exec_lo, s1
	s_waitcnt lgkmcnt(0)
	s_delay_alu instid0(VALU_DEP_1) | instskip(SKIP_4) | instid1(VALU_DEP_4)
	v_cmp_lt_i64_e64 s1, v[16:17], v[18:19]
	v_cmp_le_i32_e64 s2, 64, v32
	v_cndmask_b32_e32 v23, v24, v28, vcc_lo
	v_cmp_gt_i32_e64 s3, 0x80, v31
	v_cndmask_b32_e64 v22, v29, v30, s0
	s_or_b32 s1, s2, s1
	s_delay_alu instid0(VALU_DEP_3) | instskip(NEXT) | instid1(VALU_DEP_3)
	v_lshl_add_u32 v23, v23, 3, v26
	s_and_b32 s1, s3, s1
	; wave barrier
	ds_store_2addr_b64 v27, v[0:1], v[4:5] offset1:1
	ds_store_2addr_b64 v27, v[2:3], v[6:7] offset0:2 offset1:3
	v_lshl_add_u32 v2, v22, 3, v26
	v_cndmask_b32_e64 v4, v32, v31, s1
	; wave barrier
	ds_load_b64 v[0:1], v23
	ds_load_b64 v[2:3], v2
	v_lshl_add_u32 v5, v33, 3, v26
	v_lshl_add_u32 v6, v4, 3, v26
	ds_load_b64 v[4:5], v5
	ds_load_b64 v[6:7], v6
	v_dual_cndmask_b32 v8, v8, v10 :: v_dual_cndmask_b32 v9, v9, v11
	v_cndmask_b32_e64 v10, v12, v14, s0
	v_cndmask_b32_e64 v13, v13, v15, s0
	;; [unrolled: 1-line block ×4, first 2 shown]
	s_add_u32 s0, s6, s8
	s_addc_u32 s1, s7, s9
	s_waitcnt lgkmcnt(3)
	v_add_co_u32 v0, vcc_lo, v0, v8
	v_add_co_ci_u32_e32 v1, vcc_lo, v1, v9, vcc_lo
	s_waitcnt lgkmcnt(2)
	v_add_co_u32 v2, vcc_lo, v2, v10
	v_add_co_ci_u32_e32 v3, vcc_lo, v3, v13, vcc_lo
	s_waitcnt lgkmcnt(1)
	v_add_co_u32 v4, vcc_lo, v4, v20
	v_add_co_ci_u32_e32 v5, vcc_lo, v5, v21, vcc_lo
	s_waitcnt lgkmcnt(0)
	v_add_co_u32 v6, vcc_lo, v6, v11
	v_lshlrev_b32_e32 v8, 3, v25
	v_add_co_ci_u32_e32 v7, vcc_lo, v7, v17, vcc_lo
	s_clause 0x1
	global_store_b128 v8, v[0:3], s[0:1]
	global_store_b128 v8, v[4:7], s[0:1] offset:16
	s_nop 0
	s_sendmsg sendmsg(MSG_DEALLOC_VGPRS)
	s_endpgm
	.section	.rodata,"a",@progbits
	.p2align	6, 0x0
	.amdhsa_kernel _Z10sort_pairsILj256ELj32ELj4ExN10test_utils4lessEEvPKT2_PS2_T3_
		.amdhsa_group_segment_fixed_size 8256
		.amdhsa_private_segment_fixed_size 0
		.amdhsa_kernarg_size 20
		.amdhsa_user_sgpr_count 15
		.amdhsa_user_sgpr_dispatch_ptr 0
		.amdhsa_user_sgpr_queue_ptr 0
		.amdhsa_user_sgpr_kernarg_segment_ptr 1
		.amdhsa_user_sgpr_dispatch_id 0
		.amdhsa_user_sgpr_private_segment_size 0
		.amdhsa_wavefront_size32 1
		.amdhsa_uses_dynamic_stack 0
		.amdhsa_enable_private_segment 0
		.amdhsa_system_sgpr_workgroup_id_x 1
		.amdhsa_system_sgpr_workgroup_id_y 0
		.amdhsa_system_sgpr_workgroup_id_z 0
		.amdhsa_system_sgpr_workgroup_info 0
		.amdhsa_system_vgpr_workitem_id 0
		.amdhsa_next_free_vgpr 41
		.amdhsa_next_free_sgpr 16
		.amdhsa_reserve_vcc 1
		.amdhsa_float_round_mode_32 0
		.amdhsa_float_round_mode_16_64 0
		.amdhsa_float_denorm_mode_32 3
		.amdhsa_float_denorm_mode_16_64 3
		.amdhsa_dx10_clamp 1
		.amdhsa_ieee_mode 1
		.amdhsa_fp16_overflow 0
		.amdhsa_workgroup_processor_mode 1
		.amdhsa_memory_ordered 1
		.amdhsa_forward_progress 0
		.amdhsa_shared_vgpr_count 0
		.amdhsa_exception_fp_ieee_invalid_op 0
		.amdhsa_exception_fp_denorm_src 0
		.amdhsa_exception_fp_ieee_div_zero 0
		.amdhsa_exception_fp_ieee_overflow 0
		.amdhsa_exception_fp_ieee_underflow 0
		.amdhsa_exception_fp_ieee_inexact 0
		.amdhsa_exception_int_div_zero 0
	.end_amdhsa_kernel
	.section	.text._Z10sort_pairsILj256ELj32ELj4ExN10test_utils4lessEEvPKT2_PS2_T3_,"axG",@progbits,_Z10sort_pairsILj256ELj32ELj4ExN10test_utils4lessEEvPKT2_PS2_T3_,comdat
.Lfunc_end173:
	.size	_Z10sort_pairsILj256ELj32ELj4ExN10test_utils4lessEEvPKT2_PS2_T3_, .Lfunc_end173-_Z10sort_pairsILj256ELj32ELj4ExN10test_utils4lessEEvPKT2_PS2_T3_
                                        ; -- End function
	.section	.AMDGPU.csdata,"",@progbits
; Kernel info:
; codeLenInByte = 5568
; NumSgprs: 18
; NumVgprs: 41
; ScratchSize: 0
; MemoryBound: 0
; FloatMode: 240
; IeeeMode: 1
; LDSByteSize: 8256 bytes/workgroup (compile time only)
; SGPRBlocks: 2
; VGPRBlocks: 5
; NumSGPRsForWavesPerEU: 18
; NumVGPRsForWavesPerEU: 41
; Occupancy: 16
; WaveLimiterHint : 0
; COMPUTE_PGM_RSRC2:SCRATCH_EN: 0
; COMPUTE_PGM_RSRC2:USER_SGPR: 15
; COMPUTE_PGM_RSRC2:TRAP_HANDLER: 0
; COMPUTE_PGM_RSRC2:TGID_X_EN: 1
; COMPUTE_PGM_RSRC2:TGID_Y_EN: 0
; COMPUTE_PGM_RSRC2:TGID_Z_EN: 0
; COMPUTE_PGM_RSRC2:TIDIG_COMP_CNT: 0
	.section	.text._Z19sort_keys_segmentedILj256ELj32ELj4ExN10test_utils4lessEEvPKT2_PS2_PKjT3_,"axG",@progbits,_Z19sort_keys_segmentedILj256ELj32ELj4ExN10test_utils4lessEEvPKT2_PS2_PKjT3_,comdat
	.protected	_Z19sort_keys_segmentedILj256ELj32ELj4ExN10test_utils4lessEEvPKT2_PS2_PKjT3_ ; -- Begin function _Z19sort_keys_segmentedILj256ELj32ELj4ExN10test_utils4lessEEvPKT2_PS2_PKjT3_
	.globl	_Z19sort_keys_segmentedILj256ELj32ELj4ExN10test_utils4lessEEvPKT2_PS2_PKjT3_
	.p2align	8
	.type	_Z19sort_keys_segmentedILj256ELj32ELj4ExN10test_utils4lessEEvPKT2_PS2_PKjT3_,@function
_Z19sort_keys_segmentedILj256ELj32ELj4ExN10test_utils4lessEEvPKT2_PS2_PKjT3_: ; @_Z19sort_keys_segmentedILj256ELj32ELj4ExN10test_utils4lessEEvPKT2_PS2_PKjT3_
; %bb.0:
	s_clause 0x1
	s_load_b64 s[2:3], s[0:1], 0x10
	s_load_b128 s[8:11], s[0:1], 0x0
	v_lshrrev_b32_e32 v12, 5, v0
	s_delay_alu instid0(VALU_DEP_1) | instskip(SKIP_1) | instid1(VALU_DEP_1)
	v_lshl_or_b32 v0, s15, 3, v12
	v_mov_b32_e32 v1, 0
	v_lshlrev_b64 v[2:3], 2, v[0:1]
	v_lshlrev_b32_e32 v0, 7, v0
	s_delay_alu instid0(VALU_DEP_1) | instskip(SKIP_1) | instid1(VALU_DEP_3)
	v_lshlrev_b64 v[8:9], 3, v[0:1]
	s_waitcnt lgkmcnt(0)
	v_add_co_u32 v2, vcc_lo, s2, v2
	s_delay_alu instid0(VALU_DEP_4) | instskip(NEXT) | instid1(VALU_DEP_3)
	v_add_co_ci_u32_e32 v3, vcc_lo, s3, v3, vcc_lo
	v_add_co_u32 v1, vcc_lo, s8, v8
	global_load_b32 v18, v[2:3], off
	v_mbcnt_lo_u32_b32 v2, -1, 0
	v_add_co_ci_u32_e32 v3, vcc_lo, s9, v9, vcc_lo
	s_delay_alu instid0(VALU_DEP_2) | instskip(SKIP_1) | instid1(VALU_DEP_2)
	v_lshlrev_b32_e32 v0, 5, v2
	v_lshlrev_b32_e32 v19, 2, v2
	v_add_co_u32 v10, vcc_lo, v1, v0
	s_delay_alu instid0(VALU_DEP_4) | instskip(SKIP_1) | instid1(VALU_DEP_3)
	v_add_co_ci_u32_e32 v11, vcc_lo, 0, v3, vcc_lo
                                        ; implicit-def: $vgpr0_vgpr1_vgpr2_vgpr3_vgpr4_vgpr5_vgpr6_vgpr7
	s_waitcnt vmcnt(0)
	v_cmp_lt_u32_e32 vcc_lo, v19, v18
	s_and_saveexec_b32 s0, vcc_lo
	s_cbranch_execz .LBB174_2
; %bb.1:
	global_load_b64 v[0:1], v[10:11], off
.LBB174_2:
	s_or_b32 exec_lo, exec_lo, s0
	v_or_b32_e32 v13, 1, v19
	s_delay_alu instid0(VALU_DEP_1) | instskip(NEXT) | instid1(VALU_DEP_1)
	v_cmp_lt_u32_e64 s0, v13, v18
	s_and_saveexec_b32 s1, s0
	s_cbranch_execz .LBB174_4
; %bb.3:
	global_load_b64 v[2:3], v[10:11], off offset:8
.LBB174_4:
	s_or_b32 exec_lo, exec_lo, s1
	v_or_b32_e32 v14, 2, v19
	s_delay_alu instid0(VALU_DEP_1) | instskip(NEXT) | instid1(VALU_DEP_1)
	v_cmp_lt_u32_e64 s1, v14, v18
	s_and_saveexec_b32 s2, s1
	s_cbranch_execz .LBB174_6
; %bb.5:
	global_load_b64 v[4:5], v[10:11], off offset:16
.LBB174_6:
	;; [unrolled: 9-line block ×3, first 2 shown]
	s_or_b32 exec_lo, exec_lo, s3
	v_cmp_lt_i32_e64 s3, v14, v18
	v_cmp_lt_i32_e64 s4, v15, v18
	;; [unrolled: 1-line block ×3, first 2 shown]
	s_mov_b32 s6, exec_lo
	s_delay_alu instid0(VALU_DEP_2)
	s_or_b32 s3, s4, s3
	s_waitcnt vmcnt(0)
	v_cndmask_b32_e64 v7, 0x7fffffff, v7, s4
	v_cndmask_b32_e64 v5, 0x7fffffff, v5, s3
	v_cndmask_b32_e64 v4, -1, v4, s3
	s_or_b32 s3, s3, s5
	v_cndmask_b32_e64 v6, -1, v6, s4
	v_cndmask_b32_e64 v3, 0x7fffffff, v3, s3
	v_cndmask_b32_e64 v2, -1, v2, s3
	v_cmpx_lt_i32_e64 v19, v18
	s_cbranch_execz .LBB174_10
; %bb.9:
	s_delay_alu instid0(VALU_DEP_2) | instskip(SKIP_2) | instid1(VALU_DEP_3)
	v_cmp_gt_i64_e64 s4, v[2:3], v[0:1]
	v_cmp_lt_i64_e64 s5, v[6:7], v[4:5]
	v_cmp_lt_i64_e64 s3, v[2:3], v[0:1]
	v_cndmask_b32_e64 v11, v1, v3, s4
	v_cndmask_b32_e64 v10, v0, v2, s4
	s_delay_alu instid0(VALU_DEP_4)
	v_cndmask_b32_e64 v14, v5, v7, s5
	v_cndmask_b32_e64 v13, v4, v6, s5
	v_cmp_gt_i64_e64 s4, v[6:7], v[4:5]
	v_cndmask_b32_e64 v17, v2, v0, s3
	v_cndmask_b32_e64 v21, v6, v4, s5
	v_cndmask_b32_e64 v2, v0, v2, s3
	v_cndmask_b32_e64 v0, v7, v5, s5
	v_cmp_gt_i64_e64 s5, v[13:14], v[10:11]
	v_cndmask_b32_e64 v20, v3, v1, s3
	v_cndmask_b32_e64 v3, v1, v3, s3
	v_cmp_lt_i64_e64 s3, v[13:14], v[10:11]
	v_cndmask_b32_e64 v5, v5, v7, s4
	v_cndmask_b32_e64 v4, v4, v6, s4
	;; [unrolled: 1-line block ×3, first 2 shown]
	v_cmp_lt_i64_e64 s4, v[13:14], v[2:3]
	v_cndmask_b32_e64 v15, v11, v14, s5
	v_cndmask_b32_e64 v7, v11, v14, s3
	v_cmp_gt_i64_e64 s5, v[10:11], v[4:5]
	v_cndmask_b32_e64 v23, v10, v13, s3
	v_cndmask_b32_e64 v6, v14, v11, s3
	;; [unrolled: 1-line block ×13, first 2 shown]
	v_cmp_lt_i64_e64 s3, v[15:16], v[10:11]
	v_cndmask_b32_e64 v4, v24, v4, s5
	v_cndmask_b32_e64 v3, v14, v3, s4
	v_cndmask_b32_e64 v2, v13, v2, s4
	v_cndmask_b32_e64 v6, v21, v22, s5
	v_cndmask_b32_e64 v5, v5, v11, s3
	v_cndmask_b32_e64 v4, v4, v10, s3
	v_cndmask_b32_e64 v3, v3, v16, s3
	v_cndmask_b32_e64 v2, v2, v15, s3
.LBB174_10:
	s_or_b32 exec_lo, exec_lo, s6
	v_and_b32_e32 v10, 0x78, v19
	v_and_b32_e32 v13, 4, v19
	v_lshlrev_b32_e32 v20, 3, v19
	v_mul_u32_u24_e32 v21, 0x408, v12
	s_mov_b32 s5, 0
	v_min_i32_e32 v10, v18, v10
	s_mov_b32 s4, exec_lo
	v_mad_u32_u24 v22, 0x408, v12, v20
	; wave barrier
	s_delay_alu instid0(VALU_DEP_2)
	v_add_nc_u32_e32 v11, 4, v10
	v_lshlrev_b32_e32 v16, 3, v10
	ds_store_2addr_b64 v22, v[0:1], v[2:3] offset1:1
	ds_store_2addr_b64 v22, v[4:5], v[6:7] offset0:2 offset1:3
	; wave barrier
	v_min_i32_e32 v26, v18, v11
	v_mad_u32_u24 v12, 0x408, v12, v16
	s_delay_alu instid0(VALU_DEP_2) | instskip(SKIP_1) | instid1(VALU_DEP_2)
	v_add_nc_u32_e32 v11, 4, v26
	v_sub_nc_u32_e32 v14, v26, v10
	v_min_i32_e32 v24, v18, v11
	v_min_i32_e32 v11, v18, v13
	s_delay_alu instid0(VALU_DEP_2) | instskip(NEXT) | instid1(VALU_DEP_2)
	v_sub_nc_u32_e32 v13, v24, v26
	v_min_i32_e32 v14, v11, v14
	s_delay_alu instid0(VALU_DEP_2) | instskip(SKIP_1) | instid1(VALU_DEP_1)
	v_sub_nc_u32_e32 v15, v11, v13
	v_cmp_ge_i32_e64 s3, v11, v13
	v_cndmask_b32_e64 v13, 0, v15, s3
	s_delay_alu instid0(VALU_DEP_1)
	v_cmpx_lt_i32_e64 v13, v14
	s_cbranch_execz .LBB174_14
; %bb.11:
	v_lshlrev_b32_e32 v0, 3, v26
	v_lshlrev_b32_e32 v1, 3, v11
	s_delay_alu instid0(VALU_DEP_1)
	v_add3_u32 v0, v21, v0, v1
	.p2align	6
.LBB174_12:                             ; =>This Inner Loop Header: Depth=1
	v_sub_nc_u32_e32 v1, v14, v13
	s_delay_alu instid0(VALU_DEP_1) | instskip(NEXT) | instid1(VALU_DEP_1)
	v_lshrrev_b32_e32 v2, 31, v1
	v_add_nc_u32_e32 v1, v1, v2
	s_delay_alu instid0(VALU_DEP_1) | instskip(NEXT) | instid1(VALU_DEP_1)
	v_ashrrev_i32_e32 v1, 1, v1
	v_add_nc_u32_e32 v5, v1, v13
	s_delay_alu instid0(VALU_DEP_1) | instskip(SKIP_1) | instid1(VALU_DEP_2)
	v_not_b32_e32 v1, v5
	v_lshl_add_u32 v2, v5, 3, v12
	v_lshl_add_u32 v3, v1, 3, v0
	ds_load_b64 v[1:2], v2
	ds_load_b64 v[3:4], v3
	s_waitcnt lgkmcnt(0)
	v_cmp_lt_i64_e64 s3, v[3:4], v[1:2]
	v_add_nc_u32_e32 v1, 1, v5
	s_delay_alu instid0(VALU_DEP_2) | instskip(NEXT) | instid1(VALU_DEP_2)
	v_cndmask_b32_e64 v14, v14, v5, s3
	v_cndmask_b32_e64 v13, v1, v13, s3
	s_delay_alu instid0(VALU_DEP_1) | instskip(NEXT) | instid1(VALU_DEP_1)
	v_cmp_ge_i32_e64 s3, v13, v14
	s_or_b32 s5, s3, s5
	s_delay_alu instid0(SALU_CYCLE_1)
	s_and_not1_b32 exec_lo, exec_lo, s5
	s_cbranch_execnz .LBB174_12
; %bb.13:
	s_or_b32 exec_lo, exec_lo, s5
.LBB174_14:
	s_delay_alu instid0(SALU_CYCLE_1) | instskip(SKIP_3) | instid1(VALU_DEP_3)
	s_or_b32 exec_lo, exec_lo, s4
	v_add_nc_u32_e32 v0, v26, v11
	v_lshl_add_u32 v6, v13, 3, v12
	v_add_nc_u32_e32 v10, v13, v10
                                        ; implicit-def: $vgpr4_vgpr5
	v_sub_nc_u32_e32 v11, v0, v13
	s_delay_alu instid0(VALU_DEP_2) | instskip(NEXT) | instid1(VALU_DEP_2)
	v_cmp_le_i32_e64 s4, v26, v10
	v_lshl_add_u32 v12, v11, 3, v21
	v_cmp_gt_i32_e64 s5, v24, v11
	ds_load_b64 v[0:1], v6
	ds_load_b64 v[2:3], v12
	s_waitcnt lgkmcnt(0)
	v_cmp_lt_i64_e64 s3, v[2:3], v[0:1]
	s_delay_alu instid0(VALU_DEP_1) | instskip(NEXT) | instid1(SALU_CYCLE_1)
	s_or_b32 s3, s4, s3
	s_and_b32 s3, s5, s3
	s_delay_alu instid0(SALU_CYCLE_1) | instskip(NEXT) | instid1(SALU_CYCLE_1)
	s_xor_b32 s4, s3, -1
	s_and_saveexec_b32 s5, s4
	s_delay_alu instid0(SALU_CYCLE_1)
	s_xor_b32 s4, exec_lo, s5
	s_cbranch_execz .LBB174_16
; %bb.15:
	ds_load_b64 v[4:5], v6 offset:8
                                        ; implicit-def: $vgpr12
.LBB174_16:
	s_or_saveexec_b32 s4, s4
	v_dual_mov_b32 v7, v3 :: v_dual_mov_b32 v6, v2
	s_xor_b32 exec_lo, exec_lo, s4
	s_cbranch_execz .LBB174_18
; %bb.17:
	ds_load_b64 v[6:7], v12 offset:8
	s_waitcnt lgkmcnt(1)
	v_dual_mov_b32 v5, v1 :: v_dual_mov_b32 v4, v0
.LBB174_18:
	s_or_b32 exec_lo, exec_lo, s4
	v_add_nc_u32_e32 v12, 1, v10
	v_add_nc_u32_e32 v13, 1, v11
	s_waitcnt lgkmcnt(0)
	v_cmp_lt_i64_e64 s4, v[6:7], v[4:5]
	s_delay_alu instid0(VALU_DEP_3) | instskip(NEXT) | instid1(VALU_DEP_3)
	v_cndmask_b32_e64 v15, v12, v10, s3
	v_cndmask_b32_e64 v14, v11, v13, s3
                                        ; implicit-def: $vgpr10_vgpr11
	s_delay_alu instid0(VALU_DEP_2) | instskip(NEXT) | instid1(VALU_DEP_2)
	v_cmp_ge_i32_e64 s5, v15, v26
	v_cmp_lt_i32_e64 s6, v14, v24
	s_delay_alu instid0(VALU_DEP_2)
	s_or_b32 s4, s5, s4
	s_delay_alu instid0(VALU_DEP_1) | instid1(SALU_CYCLE_1)
	s_and_b32 s4, s6, s4
	s_delay_alu instid0(SALU_CYCLE_1) | instskip(NEXT) | instid1(SALU_CYCLE_1)
	s_xor_b32 s5, s4, -1
	s_and_saveexec_b32 s6, s5
	s_delay_alu instid0(SALU_CYCLE_1)
	s_xor_b32 s5, exec_lo, s6
	s_cbranch_execz .LBB174_20
; %bb.19:
	v_lshl_add_u32 v10, v15, 3, v21
	ds_load_b64 v[10:11], v10 offset:8
.LBB174_20:
	s_or_saveexec_b32 s5, s5
	v_dual_mov_b32 v13, v7 :: v_dual_mov_b32 v12, v6
	s_xor_b32 exec_lo, exec_lo, s5
	s_cbranch_execz .LBB174_22
; %bb.21:
	s_waitcnt lgkmcnt(0)
	v_lshl_add_u32 v10, v14, 3, v21
	ds_load_b64 v[12:13], v10 offset:8
	v_dual_mov_b32 v11, v5 :: v_dual_mov_b32 v10, v4
.LBB174_22:
	s_or_b32 exec_lo, exec_lo, s5
	v_add_nc_u32_e32 v16, 1, v15
	v_add_nc_u32_e32 v17, 1, v14
	s_waitcnt lgkmcnt(0)
	v_cmp_lt_i64_e64 s5, v[12:13], v[10:11]
	s_delay_alu instid0(VALU_DEP_3) | instskip(NEXT) | instid1(VALU_DEP_3)
	v_cndmask_b32_e64 v29, v16, v15, s4
	v_cndmask_b32_e64 v28, v14, v17, s4
                                        ; implicit-def: $vgpr14_vgpr15
	s_delay_alu instid0(VALU_DEP_2) | instskip(NEXT) | instid1(VALU_DEP_2)
	v_cmp_ge_i32_e64 s6, v29, v26
	v_cmp_lt_i32_e64 s7, v28, v24
	s_delay_alu instid0(VALU_DEP_2)
	s_or_b32 s5, s6, s5
	s_delay_alu instid0(VALU_DEP_1) | instid1(SALU_CYCLE_1)
	s_and_b32 s5, s7, s5
	s_delay_alu instid0(SALU_CYCLE_1) | instskip(NEXT) | instid1(SALU_CYCLE_1)
	s_xor_b32 s6, s5, -1
	s_and_saveexec_b32 s7, s6
	s_delay_alu instid0(SALU_CYCLE_1)
	s_xor_b32 s6, exec_lo, s7
	s_cbranch_execz .LBB174_24
; %bb.23:
	v_lshl_add_u32 v14, v29, 3, v21
	ds_load_b64 v[14:15], v14 offset:8
.LBB174_24:
	s_or_saveexec_b32 s6, s6
	v_dual_mov_b32 v17, v13 :: v_dual_mov_b32 v16, v12
	s_xor_b32 exec_lo, exec_lo, s6
	s_cbranch_execz .LBB174_26
; %bb.25:
	s_waitcnt lgkmcnt(0)
	v_lshl_add_u32 v14, v28, 3, v21
	ds_load_b64 v[16:17], v14 offset:8
	v_dual_mov_b32 v15, v11 :: v_dual_mov_b32 v14, v10
.LBB174_26:
	s_or_b32 exec_lo, exec_lo, s6
	v_and_b32_e32 v23, 0x70, v19
	v_cndmask_b32_e64 v10, v10, v12, s5
	v_add_nc_u32_e32 v31, 1, v29
	v_cndmask_b32_e64 v11, v11, v13, s5
	v_add_nc_u32_e32 v30, 1, v28
	v_min_i32_e32 v27, v18, v23
	v_cndmask_b32_e64 v13, v1, v3, s3
	v_and_b32_e32 v1, 12, v19
	v_cndmask_b32_e64 v7, v5, v7, s4
	v_cndmask_b32_e64 v6, v4, v6, s4
	v_add_nc_u32_e32 v23, 8, v27
	v_cndmask_b32_e64 v3, v28, v30, s5
	; wave barrier
	s_delay_alu instid0(VALU_DEP_2) | instskip(NEXT) | instid1(VALU_DEP_1)
	v_min_i32_e32 v23, v18, v23
	v_add_nc_u32_e32 v12, 8, v23
	s_delay_alu instid0(VALU_DEP_1)
	v_min_i32_e32 v25, v18, v12
	v_cndmask_b32_e64 v12, v0, v2, s3
	v_cndmask_b32_e64 v2, v31, v29, s5
	s_waitcnt lgkmcnt(0)
	v_cmp_lt_i64_e64 s3, v[16:17], v[14:15]
	v_min_i32_e32 v0, v18, v1
	v_sub_nc_u32_e32 v1, v25, v23
	v_cmp_lt_i32_e64 s5, v3, v24
	v_cmp_ge_i32_e64 s4, v2, v26
	v_sub_nc_u32_e32 v2, v23, v27
	s_delay_alu instid0(VALU_DEP_4) | instskip(NEXT) | instid1(VALU_DEP_3)
	v_sub_nc_u32_e32 v4, v0, v1
	s_or_b32 s4, s4, s3
	v_cmp_ge_i32_e64 s3, v0, v1
	s_delay_alu instid0(VALU_DEP_3) | instskip(SKIP_1) | instid1(VALU_DEP_3)
	v_min_i32_e32 v2, v0, v2
	v_lshl_add_u32 v1, v27, 3, v21
	v_cndmask_b32_e64 v4, 0, v4, s3
	s_and_b32 s3, s5, s4
	s_mov_b32 s5, 0
	v_cndmask_b32_e64 v15, v15, v17, s3
	v_cndmask_b32_e64 v14, v14, v16, s3
	s_mov_b32 s4, exec_lo
	ds_store_2addr_b64 v22, v[12:13], v[6:7] offset1:1
	ds_store_2addr_b64 v22, v[10:11], v[14:15] offset0:2 offset1:3
	; wave barrier
	v_cmpx_lt_i32_e64 v4, v2
	s_cbranch_execz .LBB174_30
; %bb.27:
	v_lshlrev_b32_e32 v3, 3, v23
	v_lshlrev_b32_e32 v5, 3, v0
	s_delay_alu instid0(VALU_DEP_1)
	v_add3_u32 v3, v21, v3, v5
	.p2align	6
.LBB174_28:                             ; =>This Inner Loop Header: Depth=1
	v_sub_nc_u32_e32 v5, v2, v4
	s_delay_alu instid0(VALU_DEP_1) | instskip(NEXT) | instid1(VALU_DEP_1)
	v_lshrrev_b32_e32 v6, 31, v5
	v_add_nc_u32_e32 v5, v5, v6
	s_delay_alu instid0(VALU_DEP_1) | instskip(NEXT) | instid1(VALU_DEP_1)
	v_ashrrev_i32_e32 v5, 1, v5
	v_add_nc_u32_e32 v7, v5, v4
	s_delay_alu instid0(VALU_DEP_1) | instskip(SKIP_1) | instid1(VALU_DEP_2)
	v_not_b32_e32 v5, v7
	v_lshl_add_u32 v6, v7, 3, v1
	v_lshl_add_u32 v10, v5, 3, v3
	ds_load_b64 v[5:6], v6
	ds_load_b64 v[10:11], v10
	s_waitcnt lgkmcnt(0)
	v_cmp_lt_i64_e64 s3, v[10:11], v[5:6]
	v_add_nc_u32_e32 v5, 1, v7
	s_delay_alu instid0(VALU_DEP_2) | instskip(NEXT) | instid1(VALU_DEP_2)
	v_cndmask_b32_e64 v2, v2, v7, s3
	v_cndmask_b32_e64 v4, v5, v4, s3
	s_delay_alu instid0(VALU_DEP_1) | instskip(NEXT) | instid1(VALU_DEP_1)
	v_cmp_ge_i32_e64 s3, v4, v2
	s_or_b32 s5, s3, s5
	s_delay_alu instid0(SALU_CYCLE_1)
	s_and_not1_b32 exec_lo, exec_lo, s5
	s_cbranch_execnz .LBB174_28
; %bb.29:
	s_or_b32 exec_lo, exec_lo, s5
.LBB174_30:
	s_delay_alu instid0(SALU_CYCLE_1) | instskip(SKIP_3) | instid1(VALU_DEP_3)
	s_or_b32 exec_lo, exec_lo, s4
	v_add_nc_u32_e32 v0, v23, v0
	v_lshl_add_u32 v6, v4, 3, v1
	v_add_nc_u32_e32 v11, v4, v27
	v_sub_nc_u32_e32 v10, v0, v4
                                        ; implicit-def: $vgpr4_vgpr5
	s_delay_alu instid0(VALU_DEP_2) | instskip(NEXT) | instid1(VALU_DEP_2)
	v_cmp_le_i32_e64 s4, v23, v11
	v_lshl_add_u32 v12, v10, 3, v21
	v_cmp_gt_i32_e64 s5, v25, v10
	ds_load_b64 v[0:1], v6
	ds_load_b64 v[2:3], v12
	s_waitcnt lgkmcnt(0)
	v_cmp_lt_i64_e64 s3, v[2:3], v[0:1]
	s_delay_alu instid0(VALU_DEP_1) | instskip(NEXT) | instid1(SALU_CYCLE_1)
	s_or_b32 s3, s4, s3
	s_and_b32 s3, s5, s3
	s_delay_alu instid0(SALU_CYCLE_1) | instskip(NEXT) | instid1(SALU_CYCLE_1)
	s_xor_b32 s4, s3, -1
	s_and_saveexec_b32 s5, s4
	s_delay_alu instid0(SALU_CYCLE_1)
	s_xor_b32 s4, exec_lo, s5
	s_cbranch_execz .LBB174_32
; %bb.31:
	ds_load_b64 v[4:5], v6 offset:8
                                        ; implicit-def: $vgpr12
.LBB174_32:
	s_or_saveexec_b32 s4, s4
	v_dual_mov_b32 v7, v3 :: v_dual_mov_b32 v6, v2
	s_xor_b32 exec_lo, exec_lo, s4
	s_cbranch_execz .LBB174_34
; %bb.33:
	ds_load_b64 v[6:7], v12 offset:8
	s_waitcnt lgkmcnt(1)
	v_dual_mov_b32 v5, v1 :: v_dual_mov_b32 v4, v0
.LBB174_34:
	s_or_b32 exec_lo, exec_lo, s4
	v_add_nc_u32_e32 v12, 1, v11
	v_add_nc_u32_e32 v13, 1, v10
	s_waitcnt lgkmcnt(0)
	v_cmp_lt_i64_e64 s4, v[6:7], v[4:5]
	s_delay_alu instid0(VALU_DEP_3) | instskip(NEXT) | instid1(VALU_DEP_3)
	v_cndmask_b32_e64 v15, v12, v11, s3
	v_cndmask_b32_e64 v14, v10, v13, s3
                                        ; implicit-def: $vgpr10_vgpr11
	s_delay_alu instid0(VALU_DEP_2) | instskip(NEXT) | instid1(VALU_DEP_2)
	v_cmp_ge_i32_e64 s5, v15, v23
	v_cmp_lt_i32_e64 s6, v14, v25
	s_delay_alu instid0(VALU_DEP_2)
	s_or_b32 s4, s5, s4
	s_delay_alu instid0(VALU_DEP_1) | instid1(SALU_CYCLE_1)
	s_and_b32 s4, s6, s4
	s_delay_alu instid0(SALU_CYCLE_1) | instskip(NEXT) | instid1(SALU_CYCLE_1)
	s_xor_b32 s5, s4, -1
	s_and_saveexec_b32 s6, s5
	s_delay_alu instid0(SALU_CYCLE_1)
	s_xor_b32 s5, exec_lo, s6
	s_cbranch_execz .LBB174_36
; %bb.35:
	v_lshl_add_u32 v10, v15, 3, v21
	ds_load_b64 v[10:11], v10 offset:8
.LBB174_36:
	s_or_saveexec_b32 s5, s5
	v_dual_mov_b32 v13, v7 :: v_dual_mov_b32 v12, v6
	s_xor_b32 exec_lo, exec_lo, s5
	s_cbranch_execz .LBB174_38
; %bb.37:
	s_waitcnt lgkmcnt(0)
	v_lshl_add_u32 v10, v14, 3, v21
	ds_load_b64 v[12:13], v10 offset:8
	v_dual_mov_b32 v11, v5 :: v_dual_mov_b32 v10, v4
.LBB174_38:
	s_or_b32 exec_lo, exec_lo, s5
	v_add_nc_u32_e32 v16, 1, v15
	v_add_nc_u32_e32 v17, 1, v14
	s_waitcnt lgkmcnt(0)
	v_cmp_lt_i64_e64 s5, v[12:13], v[10:11]
	s_delay_alu instid0(VALU_DEP_3) | instskip(NEXT) | instid1(VALU_DEP_3)
	v_cndmask_b32_e64 v29, v16, v15, s4
	v_cndmask_b32_e64 v28, v14, v17, s4
                                        ; implicit-def: $vgpr14_vgpr15
	s_delay_alu instid0(VALU_DEP_2) | instskip(NEXT) | instid1(VALU_DEP_2)
	v_cmp_ge_i32_e64 s6, v29, v23
	v_cmp_lt_i32_e64 s7, v28, v25
	s_delay_alu instid0(VALU_DEP_2)
	s_or_b32 s5, s6, s5
	s_delay_alu instid0(VALU_DEP_1) | instid1(SALU_CYCLE_1)
	s_and_b32 s5, s7, s5
	s_delay_alu instid0(SALU_CYCLE_1) | instskip(NEXT) | instid1(SALU_CYCLE_1)
	s_xor_b32 s6, s5, -1
	s_and_saveexec_b32 s7, s6
	s_delay_alu instid0(SALU_CYCLE_1)
	s_xor_b32 s6, exec_lo, s7
	s_cbranch_execz .LBB174_40
; %bb.39:
	v_lshl_add_u32 v14, v29, 3, v21
	ds_load_b64 v[14:15], v14 offset:8
.LBB174_40:
	s_or_saveexec_b32 s6, s6
	v_dual_mov_b32 v17, v13 :: v_dual_mov_b32 v16, v12
	s_xor_b32 exec_lo, exec_lo, s6
	s_cbranch_execz .LBB174_42
; %bb.41:
	s_waitcnt lgkmcnt(0)
	v_lshl_add_u32 v14, v28, 3, v21
	ds_load_b64 v[16:17], v14 offset:8
	v_dual_mov_b32 v15, v11 :: v_dual_mov_b32 v14, v10
.LBB174_42:
	s_or_b32 exec_lo, exec_lo, s6
	v_and_b32_e32 v24, 0x60, v19
	v_cndmask_b32_e64 v10, v10, v12, s5
	v_add_nc_u32_e32 v31, 1, v29
	v_cndmask_b32_e64 v11, v11, v13, s5
	v_add_nc_u32_e32 v30, 1, v28
	v_min_i32_e32 v27, v18, v24
	v_cndmask_b32_e64 v13, v1, v3, s3
	v_and_b32_e32 v1, 28, v19
	v_cndmask_b32_e64 v7, v5, v7, s4
	v_cndmask_b32_e64 v6, v4, v6, s4
	v_add_nc_u32_e32 v24, 16, v27
	v_cndmask_b32_e64 v3, v28, v30, s5
	; wave barrier
	s_delay_alu instid0(VALU_DEP_2) | instskip(NEXT) | instid1(VALU_DEP_1)
	v_min_i32_e32 v24, v18, v24
	v_add_nc_u32_e32 v12, 16, v24
	s_delay_alu instid0(VALU_DEP_1)
	v_min_i32_e32 v26, v18, v12
	v_cndmask_b32_e64 v12, v0, v2, s3
	v_cndmask_b32_e64 v2, v31, v29, s5
	s_waitcnt lgkmcnt(0)
	v_cmp_lt_i64_e64 s3, v[16:17], v[14:15]
	v_min_i32_e32 v0, v18, v1
	v_sub_nc_u32_e32 v1, v26, v24
	v_cmp_lt_i32_e64 s5, v3, v25
	v_cmp_ge_i32_e64 s4, v2, v23
	v_sub_nc_u32_e32 v2, v24, v27
	s_delay_alu instid0(VALU_DEP_4) | instskip(NEXT) | instid1(VALU_DEP_3)
	v_sub_nc_u32_e32 v4, v0, v1
	s_or_b32 s4, s4, s3
	v_cmp_ge_i32_e64 s3, v0, v1
	s_delay_alu instid0(VALU_DEP_3) | instskip(SKIP_1) | instid1(VALU_DEP_3)
	v_min_i32_e32 v2, v0, v2
	v_lshl_add_u32 v1, v27, 3, v21
	v_cndmask_b32_e64 v4, 0, v4, s3
	s_and_b32 s3, s5, s4
	s_mov_b32 s5, 0
	v_cndmask_b32_e64 v15, v15, v17, s3
	v_cndmask_b32_e64 v14, v14, v16, s3
	s_mov_b32 s4, exec_lo
	ds_store_2addr_b64 v22, v[12:13], v[6:7] offset1:1
	ds_store_2addr_b64 v22, v[10:11], v[14:15] offset0:2 offset1:3
	; wave barrier
	v_cmpx_lt_i32_e64 v4, v2
	s_cbranch_execz .LBB174_46
; %bb.43:
	v_lshlrev_b32_e32 v3, 3, v24
	v_lshlrev_b32_e32 v5, 3, v0
	s_delay_alu instid0(VALU_DEP_1)
	v_add3_u32 v3, v21, v3, v5
	.p2align	6
.LBB174_44:                             ; =>This Inner Loop Header: Depth=1
	v_sub_nc_u32_e32 v5, v2, v4
	s_delay_alu instid0(VALU_DEP_1) | instskip(NEXT) | instid1(VALU_DEP_1)
	v_lshrrev_b32_e32 v6, 31, v5
	v_add_nc_u32_e32 v5, v5, v6
	s_delay_alu instid0(VALU_DEP_1) | instskip(NEXT) | instid1(VALU_DEP_1)
	v_ashrrev_i32_e32 v5, 1, v5
	v_add_nc_u32_e32 v7, v5, v4
	s_delay_alu instid0(VALU_DEP_1) | instskip(SKIP_1) | instid1(VALU_DEP_2)
	v_not_b32_e32 v5, v7
	v_lshl_add_u32 v6, v7, 3, v1
	v_lshl_add_u32 v10, v5, 3, v3
	ds_load_b64 v[5:6], v6
	ds_load_b64 v[10:11], v10
	s_waitcnt lgkmcnt(0)
	v_cmp_lt_i64_e64 s3, v[10:11], v[5:6]
	v_add_nc_u32_e32 v5, 1, v7
	s_delay_alu instid0(VALU_DEP_2) | instskip(NEXT) | instid1(VALU_DEP_2)
	v_cndmask_b32_e64 v2, v2, v7, s3
	v_cndmask_b32_e64 v4, v5, v4, s3
	s_delay_alu instid0(VALU_DEP_1) | instskip(NEXT) | instid1(VALU_DEP_1)
	v_cmp_ge_i32_e64 s3, v4, v2
	s_or_b32 s5, s3, s5
	s_delay_alu instid0(SALU_CYCLE_1)
	s_and_not1_b32 exec_lo, exec_lo, s5
	s_cbranch_execnz .LBB174_44
; %bb.45:
	s_or_b32 exec_lo, exec_lo, s5
.LBB174_46:
	s_delay_alu instid0(SALU_CYCLE_1) | instskip(SKIP_3) | instid1(VALU_DEP_3)
	s_or_b32 exec_lo, exec_lo, s4
	v_add_nc_u32_e32 v0, v24, v0
	v_lshl_add_u32 v6, v4, 3, v1
	v_add_nc_u32_e32 v11, v4, v27
	v_sub_nc_u32_e32 v10, v0, v4
                                        ; implicit-def: $vgpr4_vgpr5
	s_delay_alu instid0(VALU_DEP_2) | instskip(NEXT) | instid1(VALU_DEP_2)
	v_cmp_le_i32_e64 s4, v24, v11
	v_lshl_add_u32 v12, v10, 3, v21
	v_cmp_gt_i32_e64 s5, v26, v10
	ds_load_b64 v[0:1], v6
	ds_load_b64 v[2:3], v12
	s_waitcnt lgkmcnt(0)
	v_cmp_lt_i64_e64 s3, v[2:3], v[0:1]
	s_delay_alu instid0(VALU_DEP_1) | instskip(NEXT) | instid1(SALU_CYCLE_1)
	s_or_b32 s3, s4, s3
	s_and_b32 s3, s5, s3
	s_delay_alu instid0(SALU_CYCLE_1) | instskip(NEXT) | instid1(SALU_CYCLE_1)
	s_xor_b32 s4, s3, -1
	s_and_saveexec_b32 s5, s4
	s_delay_alu instid0(SALU_CYCLE_1)
	s_xor_b32 s4, exec_lo, s5
	s_cbranch_execz .LBB174_48
; %bb.47:
	ds_load_b64 v[4:5], v6 offset:8
                                        ; implicit-def: $vgpr12
.LBB174_48:
	s_or_saveexec_b32 s4, s4
	v_dual_mov_b32 v7, v3 :: v_dual_mov_b32 v6, v2
	s_xor_b32 exec_lo, exec_lo, s4
	s_cbranch_execz .LBB174_50
; %bb.49:
	ds_load_b64 v[6:7], v12 offset:8
	s_waitcnt lgkmcnt(1)
	v_dual_mov_b32 v5, v1 :: v_dual_mov_b32 v4, v0
.LBB174_50:
	s_or_b32 exec_lo, exec_lo, s4
	v_add_nc_u32_e32 v12, 1, v11
	v_add_nc_u32_e32 v13, 1, v10
	s_waitcnt lgkmcnt(0)
	v_cmp_lt_i64_e64 s4, v[6:7], v[4:5]
	s_delay_alu instid0(VALU_DEP_3) | instskip(NEXT) | instid1(VALU_DEP_3)
	v_cndmask_b32_e64 v15, v12, v11, s3
	v_cndmask_b32_e64 v14, v10, v13, s3
                                        ; implicit-def: $vgpr10_vgpr11
	s_delay_alu instid0(VALU_DEP_2) | instskip(NEXT) | instid1(VALU_DEP_2)
	v_cmp_ge_i32_e64 s5, v15, v24
	v_cmp_lt_i32_e64 s6, v14, v26
	s_delay_alu instid0(VALU_DEP_2)
	s_or_b32 s4, s5, s4
	s_delay_alu instid0(VALU_DEP_1) | instid1(SALU_CYCLE_1)
	s_and_b32 s4, s6, s4
	s_delay_alu instid0(SALU_CYCLE_1) | instskip(NEXT) | instid1(SALU_CYCLE_1)
	s_xor_b32 s5, s4, -1
	s_and_saveexec_b32 s6, s5
	s_delay_alu instid0(SALU_CYCLE_1)
	s_xor_b32 s5, exec_lo, s6
	s_cbranch_execz .LBB174_52
; %bb.51:
	v_lshl_add_u32 v10, v15, 3, v21
	ds_load_b64 v[10:11], v10 offset:8
.LBB174_52:
	s_or_saveexec_b32 s5, s5
	v_dual_mov_b32 v13, v7 :: v_dual_mov_b32 v12, v6
	s_xor_b32 exec_lo, exec_lo, s5
	s_cbranch_execz .LBB174_54
; %bb.53:
	s_waitcnt lgkmcnt(0)
	v_lshl_add_u32 v10, v14, 3, v21
	ds_load_b64 v[12:13], v10 offset:8
	v_dual_mov_b32 v11, v5 :: v_dual_mov_b32 v10, v4
.LBB174_54:
	s_or_b32 exec_lo, exec_lo, s5
	v_add_nc_u32_e32 v16, 1, v15
	v_add_nc_u32_e32 v17, 1, v14
	s_waitcnt lgkmcnt(0)
	v_cmp_lt_i64_e64 s5, v[12:13], v[10:11]
	s_delay_alu instid0(VALU_DEP_3) | instskip(NEXT) | instid1(VALU_DEP_3)
	v_cndmask_b32_e64 v29, v16, v15, s4
	v_cndmask_b32_e64 v28, v14, v17, s4
                                        ; implicit-def: $vgpr14_vgpr15
	s_delay_alu instid0(VALU_DEP_2) | instskip(NEXT) | instid1(VALU_DEP_2)
	v_cmp_ge_i32_e64 s6, v29, v24
	v_cmp_lt_i32_e64 s7, v28, v26
	s_delay_alu instid0(VALU_DEP_2)
	s_or_b32 s5, s6, s5
	s_delay_alu instid0(VALU_DEP_1) | instid1(SALU_CYCLE_1)
	s_and_b32 s5, s7, s5
	s_delay_alu instid0(SALU_CYCLE_1) | instskip(NEXT) | instid1(SALU_CYCLE_1)
	s_xor_b32 s6, s5, -1
	s_and_saveexec_b32 s7, s6
	s_delay_alu instid0(SALU_CYCLE_1)
	s_xor_b32 s6, exec_lo, s7
	s_cbranch_execz .LBB174_56
; %bb.55:
	v_lshl_add_u32 v14, v29, 3, v21
	ds_load_b64 v[14:15], v14 offset:8
.LBB174_56:
	s_or_saveexec_b32 s6, s6
	v_dual_mov_b32 v17, v13 :: v_dual_mov_b32 v16, v12
	s_xor_b32 exec_lo, exec_lo, s6
	s_cbranch_execz .LBB174_58
; %bb.57:
	s_waitcnt lgkmcnt(0)
	v_lshl_add_u32 v14, v28, 3, v21
	ds_load_b64 v[16:17], v14 offset:8
	v_dual_mov_b32 v15, v11 :: v_dual_mov_b32 v14, v10
.LBB174_58:
	s_or_b32 exec_lo, exec_lo, s6
	v_and_b32_e32 v23, 64, v19
	v_cndmask_b32_e64 v10, v10, v12, s5
	v_add_nc_u32_e32 v31, 1, v29
	v_cndmask_b32_e64 v11, v11, v13, s5
	v_add_nc_u32_e32 v30, 1, v28
	v_min_i32_e32 v23, v18, v23
	v_cndmask_b32_e64 v13, v1, v3, s3
	v_and_b32_e32 v1, 60, v19
	v_cndmask_b32_e64 v7, v5, v7, s4
	v_cndmask_b32_e64 v6, v4, v6, s4
	v_add_nc_u32_e32 v25, 32, v23
	v_cndmask_b32_e64 v3, v28, v30, s5
	; wave barrier
	s_delay_alu instid0(VALU_DEP_2) | instskip(NEXT) | instid1(VALU_DEP_1)
	v_min_i32_e32 v25, v18, v25
	v_add_nc_u32_e32 v12, 32, v25
	s_delay_alu instid0(VALU_DEP_1)
	v_min_i32_e32 v27, v18, v12
	v_cndmask_b32_e64 v12, v0, v2, s3
	v_cndmask_b32_e64 v2, v31, v29, s5
	s_waitcnt lgkmcnt(0)
	v_cmp_lt_i64_e64 s3, v[16:17], v[14:15]
	v_min_i32_e32 v0, v18, v1
	v_sub_nc_u32_e32 v1, v27, v25
	v_cmp_lt_i32_e64 s5, v3, v26
	v_cmp_ge_i32_e64 s4, v2, v24
	v_sub_nc_u32_e32 v2, v25, v23
	s_delay_alu instid0(VALU_DEP_4) | instskip(NEXT) | instid1(VALU_DEP_3)
	v_sub_nc_u32_e32 v4, v0, v1
	s_or_b32 s4, s4, s3
	v_cmp_ge_i32_e64 s3, v0, v1
	s_delay_alu instid0(VALU_DEP_3) | instskip(SKIP_1) | instid1(VALU_DEP_3)
	v_min_i32_e32 v2, v0, v2
	v_lshl_add_u32 v1, v23, 3, v21
	v_cndmask_b32_e64 v4, 0, v4, s3
	s_and_b32 s3, s5, s4
	s_mov_b32 s5, 0
	v_cndmask_b32_e64 v15, v15, v17, s3
	v_cndmask_b32_e64 v14, v14, v16, s3
	s_mov_b32 s4, exec_lo
	ds_store_2addr_b64 v22, v[12:13], v[6:7] offset1:1
	ds_store_2addr_b64 v22, v[10:11], v[14:15] offset0:2 offset1:3
	; wave barrier
	v_cmpx_lt_i32_e64 v4, v2
	s_cbranch_execz .LBB174_62
; %bb.59:
	v_lshlrev_b32_e32 v3, 3, v25
	v_lshlrev_b32_e32 v5, 3, v0
	s_delay_alu instid0(VALU_DEP_1)
	v_add3_u32 v3, v21, v3, v5
	.p2align	6
.LBB174_60:                             ; =>This Inner Loop Header: Depth=1
	v_sub_nc_u32_e32 v5, v2, v4
	s_delay_alu instid0(VALU_DEP_1) | instskip(NEXT) | instid1(VALU_DEP_1)
	v_lshrrev_b32_e32 v6, 31, v5
	v_add_nc_u32_e32 v5, v5, v6
	s_delay_alu instid0(VALU_DEP_1) | instskip(NEXT) | instid1(VALU_DEP_1)
	v_ashrrev_i32_e32 v5, 1, v5
	v_add_nc_u32_e32 v7, v5, v4
	s_delay_alu instid0(VALU_DEP_1) | instskip(SKIP_1) | instid1(VALU_DEP_2)
	v_not_b32_e32 v5, v7
	v_lshl_add_u32 v6, v7, 3, v1
	v_lshl_add_u32 v10, v5, 3, v3
	ds_load_b64 v[5:6], v6
	ds_load_b64 v[10:11], v10
	s_waitcnt lgkmcnt(0)
	v_cmp_lt_i64_e64 s3, v[10:11], v[5:6]
	v_add_nc_u32_e32 v5, 1, v7
	s_delay_alu instid0(VALU_DEP_2) | instskip(NEXT) | instid1(VALU_DEP_2)
	v_cndmask_b32_e64 v2, v2, v7, s3
	v_cndmask_b32_e64 v4, v5, v4, s3
	s_delay_alu instid0(VALU_DEP_1) | instskip(NEXT) | instid1(VALU_DEP_1)
	v_cmp_ge_i32_e64 s3, v4, v2
	s_or_b32 s5, s3, s5
	s_delay_alu instid0(SALU_CYCLE_1)
	s_and_not1_b32 exec_lo, exec_lo, s5
	s_cbranch_execnz .LBB174_60
; %bb.61:
	s_or_b32 exec_lo, exec_lo, s5
.LBB174_62:
	s_delay_alu instid0(SALU_CYCLE_1) | instskip(SKIP_3) | instid1(VALU_DEP_3)
	s_or_b32 exec_lo, exec_lo, s4
	v_add_nc_u32_e32 v0, v25, v0
	v_lshl_add_u32 v6, v4, 3, v1
	v_add_nc_u32_e32 v11, v4, v23
	v_sub_nc_u32_e32 v10, v0, v4
                                        ; implicit-def: $vgpr4_vgpr5
	s_delay_alu instid0(VALU_DEP_2) | instskip(NEXT) | instid1(VALU_DEP_2)
	v_cmp_le_i32_e64 s4, v25, v11
	v_lshl_add_u32 v12, v10, 3, v21
	v_cmp_gt_i32_e64 s5, v27, v10
	ds_load_b64 v[0:1], v6
	ds_load_b64 v[2:3], v12
	s_waitcnt lgkmcnt(0)
	v_cmp_lt_i64_e64 s3, v[2:3], v[0:1]
	s_delay_alu instid0(VALU_DEP_1) | instskip(NEXT) | instid1(SALU_CYCLE_1)
	s_or_b32 s3, s4, s3
	s_and_b32 s3, s5, s3
	s_delay_alu instid0(SALU_CYCLE_1) | instskip(NEXT) | instid1(SALU_CYCLE_1)
	s_xor_b32 s4, s3, -1
	s_and_saveexec_b32 s5, s4
	s_delay_alu instid0(SALU_CYCLE_1)
	s_xor_b32 s4, exec_lo, s5
	s_cbranch_execz .LBB174_64
; %bb.63:
	ds_load_b64 v[4:5], v6 offset:8
                                        ; implicit-def: $vgpr12
.LBB174_64:
	s_or_saveexec_b32 s4, s4
	v_dual_mov_b32 v7, v3 :: v_dual_mov_b32 v6, v2
	s_xor_b32 exec_lo, exec_lo, s4
	s_cbranch_execz .LBB174_66
; %bb.65:
	ds_load_b64 v[6:7], v12 offset:8
	s_waitcnt lgkmcnt(1)
	v_dual_mov_b32 v5, v1 :: v_dual_mov_b32 v4, v0
.LBB174_66:
	s_or_b32 exec_lo, exec_lo, s4
	v_add_nc_u32_e32 v12, 1, v11
	v_add_nc_u32_e32 v13, 1, v10
	s_waitcnt lgkmcnt(0)
	v_cmp_lt_i64_e64 s4, v[6:7], v[4:5]
	s_delay_alu instid0(VALU_DEP_3) | instskip(NEXT) | instid1(VALU_DEP_3)
	v_cndmask_b32_e64 v15, v12, v11, s3
	v_cndmask_b32_e64 v14, v10, v13, s3
                                        ; implicit-def: $vgpr10_vgpr11
	s_delay_alu instid0(VALU_DEP_2) | instskip(NEXT) | instid1(VALU_DEP_2)
	v_cmp_ge_i32_e64 s5, v15, v25
	v_cmp_lt_i32_e64 s6, v14, v27
	s_delay_alu instid0(VALU_DEP_2)
	s_or_b32 s4, s5, s4
	s_delay_alu instid0(VALU_DEP_1) | instid1(SALU_CYCLE_1)
	s_and_b32 s4, s6, s4
	s_delay_alu instid0(SALU_CYCLE_1) | instskip(NEXT) | instid1(SALU_CYCLE_1)
	s_xor_b32 s5, s4, -1
	s_and_saveexec_b32 s6, s5
	s_delay_alu instid0(SALU_CYCLE_1)
	s_xor_b32 s5, exec_lo, s6
	s_cbranch_execz .LBB174_68
; %bb.67:
	v_lshl_add_u32 v10, v15, 3, v21
	ds_load_b64 v[10:11], v10 offset:8
.LBB174_68:
	s_or_saveexec_b32 s5, s5
	v_dual_mov_b32 v13, v7 :: v_dual_mov_b32 v12, v6
	s_xor_b32 exec_lo, exec_lo, s5
	s_cbranch_execz .LBB174_70
; %bb.69:
	s_waitcnt lgkmcnt(0)
	v_lshl_add_u32 v10, v14, 3, v21
	ds_load_b64 v[12:13], v10 offset:8
	v_dual_mov_b32 v11, v5 :: v_dual_mov_b32 v10, v4
.LBB174_70:
	s_or_b32 exec_lo, exec_lo, s5
	v_add_nc_u32_e32 v16, 1, v15
	v_add_nc_u32_e32 v17, 1, v14
	s_waitcnt lgkmcnt(0)
	v_cmp_lt_i64_e64 s5, v[12:13], v[10:11]
	s_delay_alu instid0(VALU_DEP_3) | instskip(NEXT) | instid1(VALU_DEP_3)
	v_cndmask_b32_e64 v28, v16, v15, s4
	v_cndmask_b32_e64 v26, v14, v17, s4
                                        ; implicit-def: $vgpr14_vgpr15
	s_delay_alu instid0(VALU_DEP_2) | instskip(NEXT) | instid1(VALU_DEP_2)
	v_cmp_ge_i32_e64 s6, v28, v25
	v_cmp_lt_i32_e64 s7, v26, v27
	s_delay_alu instid0(VALU_DEP_2)
	s_or_b32 s5, s6, s5
	s_delay_alu instid0(VALU_DEP_1) | instid1(SALU_CYCLE_1)
	s_and_b32 s5, s7, s5
	s_delay_alu instid0(SALU_CYCLE_1) | instskip(NEXT) | instid1(SALU_CYCLE_1)
	s_xor_b32 s6, s5, -1
	s_and_saveexec_b32 s7, s6
	s_delay_alu instid0(SALU_CYCLE_1)
	s_xor_b32 s6, exec_lo, s7
	s_cbranch_execz .LBB174_72
; %bb.71:
	v_lshl_add_u32 v14, v28, 3, v21
	ds_load_b64 v[14:15], v14 offset:8
.LBB174_72:
	s_or_saveexec_b32 s6, s6
	v_dual_mov_b32 v17, v13 :: v_dual_mov_b32 v16, v12
	s_xor_b32 exec_lo, exec_lo, s6
	s_cbranch_execz .LBB174_74
; %bb.73:
	s_waitcnt lgkmcnt(0)
	v_lshl_add_u32 v14, v26, 3, v21
	ds_load_b64 v[16:17], v14 offset:8
	v_dual_mov_b32 v15, v11 :: v_dual_mov_b32 v14, v10
.LBB174_74:
	s_or_b32 exec_lo, exec_lo, s6
	v_min_i32_e32 v24, 0, v18
	v_cndmask_b32_e64 v10, v10, v12, s5
	v_add_nc_u32_e32 v30, 1, v28
	v_cndmask_b32_e64 v11, v11, v13, s5
	v_add_nc_u32_e32 v29, 1, v26
	v_add_nc_u32_e32 v23, 64, v24
	v_cndmask_b32_e64 v13, v1, v3, s3
	v_and_b32_e32 v1, 0x7c, v19
	v_cndmask_b32_e64 v7, v5, v7, s4
	v_cndmask_b32_e64 v6, v4, v6, s4
	v_min_i32_e32 v23, v18, v23
	v_cndmask_b32_e64 v3, v26, v29, s5
	; wave barrier
	s_delay_alu instid0(VALU_DEP_2) | instskip(NEXT) | instid1(VALU_DEP_1)
	v_add_nc_u32_e32 v12, 64, v23
	v_min_i32_e32 v19, v18, v12
	v_cndmask_b32_e64 v12, v0, v2, s3
	v_cndmask_b32_e64 v2, v30, v28, s5
	s_waitcnt lgkmcnt(0)
	v_cmp_lt_i64_e64 s3, v[16:17], v[14:15]
	v_min_i32_e32 v0, v18, v1
	v_sub_nc_u32_e32 v1, v19, v23
	v_cmp_lt_i32_e64 s5, v3, v27
	v_cmp_ge_i32_e64 s4, v2, v25
	v_sub_nc_u32_e32 v2, v23, v24
	s_delay_alu instid0(VALU_DEP_4) | instskip(NEXT) | instid1(VALU_DEP_3)
	v_sub_nc_u32_e32 v4, v0, v1
	s_or_b32 s4, s4, s3
	v_cmp_ge_i32_e64 s3, v0, v1
	s_delay_alu instid0(VALU_DEP_3) | instskip(SKIP_1) | instid1(VALU_DEP_3)
	v_min_i32_e32 v2, v0, v2
	v_lshl_add_u32 v1, v24, 3, v21
	v_cndmask_b32_e64 v4, 0, v4, s3
	s_and_b32 s3, s5, s4
	s_mov_b32 s5, 0
	v_cndmask_b32_e64 v15, v15, v17, s3
	v_cndmask_b32_e64 v14, v14, v16, s3
	s_mov_b32 s4, exec_lo
	ds_store_2addr_b64 v22, v[12:13], v[6:7] offset1:1
	ds_store_2addr_b64 v22, v[10:11], v[14:15] offset0:2 offset1:3
	; wave barrier
	v_cmpx_lt_i32_e64 v4, v2
	s_cbranch_execz .LBB174_78
; %bb.75:
	v_lshlrev_b32_e32 v3, 3, v23
	v_lshlrev_b32_e32 v5, 3, v0
	s_delay_alu instid0(VALU_DEP_1)
	v_add3_u32 v3, v21, v3, v5
	.p2align	6
.LBB174_76:                             ; =>This Inner Loop Header: Depth=1
	v_sub_nc_u32_e32 v5, v2, v4
	s_delay_alu instid0(VALU_DEP_1) | instskip(NEXT) | instid1(VALU_DEP_1)
	v_lshrrev_b32_e32 v6, 31, v5
	v_add_nc_u32_e32 v5, v5, v6
	s_delay_alu instid0(VALU_DEP_1) | instskip(NEXT) | instid1(VALU_DEP_1)
	v_ashrrev_i32_e32 v5, 1, v5
	v_add_nc_u32_e32 v7, v5, v4
	s_delay_alu instid0(VALU_DEP_1) | instskip(SKIP_1) | instid1(VALU_DEP_2)
	v_not_b32_e32 v5, v7
	v_lshl_add_u32 v6, v7, 3, v1
	v_lshl_add_u32 v10, v5, 3, v3
	ds_load_b64 v[5:6], v6
	ds_load_b64 v[10:11], v10
	s_waitcnt lgkmcnt(0)
	v_cmp_lt_i64_e64 s3, v[10:11], v[5:6]
	v_add_nc_u32_e32 v5, 1, v7
	s_delay_alu instid0(VALU_DEP_2) | instskip(NEXT) | instid1(VALU_DEP_2)
	v_cndmask_b32_e64 v2, v2, v7, s3
	v_cndmask_b32_e64 v4, v5, v4, s3
	s_delay_alu instid0(VALU_DEP_1) | instskip(NEXT) | instid1(VALU_DEP_1)
	v_cmp_ge_i32_e64 s3, v4, v2
	s_or_b32 s5, s3, s5
	s_delay_alu instid0(SALU_CYCLE_1)
	s_and_not1_b32 exec_lo, exec_lo, s5
	s_cbranch_execnz .LBB174_76
; %bb.77:
	s_or_b32 exec_lo, exec_lo, s5
.LBB174_78:
	s_delay_alu instid0(SALU_CYCLE_1) | instskip(SKIP_3) | instid1(VALU_DEP_3)
	s_or_b32 exec_lo, exec_lo, s4
	v_add_nc_u32_e32 v0, v23, v0
	v_lshl_add_u32 v6, v4, 3, v1
	v_add_nc_u32_e32 v11, v4, v24
	v_sub_nc_u32_e32 v10, v0, v4
                                        ; implicit-def: $vgpr4_vgpr5
	s_delay_alu instid0(VALU_DEP_2) | instskip(NEXT) | instid1(VALU_DEP_2)
	v_cmp_le_i32_e64 s4, v23, v11
	v_lshl_add_u32 v12, v10, 3, v21
	v_cmp_gt_i32_e64 s5, v19, v10
	ds_load_b64 v[0:1], v6
	ds_load_b64 v[2:3], v12
	s_waitcnt lgkmcnt(0)
	v_cmp_lt_i64_e64 s3, v[2:3], v[0:1]
	s_delay_alu instid0(VALU_DEP_1) | instskip(NEXT) | instid1(SALU_CYCLE_1)
	s_or_b32 s3, s4, s3
	s_and_b32 s3, s5, s3
	s_delay_alu instid0(SALU_CYCLE_1) | instskip(NEXT) | instid1(SALU_CYCLE_1)
	s_xor_b32 s4, s3, -1
	s_and_saveexec_b32 s5, s4
	s_delay_alu instid0(SALU_CYCLE_1)
	s_xor_b32 s4, exec_lo, s5
	s_cbranch_execz .LBB174_80
; %bb.79:
	ds_load_b64 v[4:5], v6 offset:8
                                        ; implicit-def: $vgpr12
.LBB174_80:
	s_or_saveexec_b32 s4, s4
	v_dual_mov_b32 v7, v3 :: v_dual_mov_b32 v6, v2
	s_xor_b32 exec_lo, exec_lo, s4
	s_cbranch_execz .LBB174_82
; %bb.81:
	ds_load_b64 v[6:7], v12 offset:8
	s_waitcnt lgkmcnt(1)
	v_dual_mov_b32 v5, v1 :: v_dual_mov_b32 v4, v0
.LBB174_82:
	s_or_b32 exec_lo, exec_lo, s4
	v_add_nc_u32_e32 v12, 1, v11
	v_add_nc_u32_e32 v13, 1, v10
	s_waitcnt lgkmcnt(0)
	v_cmp_lt_i64_e64 s4, v[6:7], v[4:5]
	s_delay_alu instid0(VALU_DEP_3) | instskip(NEXT) | instid1(VALU_DEP_3)
	v_cndmask_b32_e64 v15, v12, v11, s3
	v_cndmask_b32_e64 v14, v10, v13, s3
                                        ; implicit-def: $vgpr10_vgpr11
	s_delay_alu instid0(VALU_DEP_2) | instskip(NEXT) | instid1(VALU_DEP_2)
	v_cmp_ge_i32_e64 s5, v15, v23
	v_cmp_lt_i32_e64 s6, v14, v19
	s_delay_alu instid0(VALU_DEP_2)
	s_or_b32 s4, s5, s4
	s_delay_alu instid0(VALU_DEP_1) | instid1(SALU_CYCLE_1)
	s_and_b32 s4, s6, s4
	s_delay_alu instid0(SALU_CYCLE_1) | instskip(NEXT) | instid1(SALU_CYCLE_1)
	s_xor_b32 s5, s4, -1
	s_and_saveexec_b32 s6, s5
	s_delay_alu instid0(SALU_CYCLE_1)
	s_xor_b32 s5, exec_lo, s6
	s_cbranch_execz .LBB174_84
; %bb.83:
	v_lshl_add_u32 v10, v15, 3, v21
	ds_load_b64 v[10:11], v10 offset:8
.LBB174_84:
	s_or_saveexec_b32 s5, s5
	v_dual_mov_b32 v13, v7 :: v_dual_mov_b32 v12, v6
	s_xor_b32 exec_lo, exec_lo, s5
	s_cbranch_execz .LBB174_86
; %bb.85:
	s_waitcnt lgkmcnt(0)
	v_lshl_add_u32 v10, v14, 3, v21
	ds_load_b64 v[12:13], v10 offset:8
	v_dual_mov_b32 v11, v5 :: v_dual_mov_b32 v10, v4
.LBB174_86:
	s_or_b32 exec_lo, exec_lo, s5
	v_add_nc_u32_e32 v16, 1, v15
	v_add_nc_u32_e32 v17, 1, v14
	s_waitcnt lgkmcnt(0)
	v_cmp_lt_i64_e64 s5, v[12:13], v[10:11]
                                        ; implicit-def: $vgpr22
	s_delay_alu instid0(VALU_DEP_3) | instskip(NEXT) | instid1(VALU_DEP_3)
	v_cndmask_b32_e64 v24, v16, v15, s4
	v_cndmask_b32_e64 v18, v14, v17, s4
                                        ; implicit-def: $vgpr14_vgpr15
	s_delay_alu instid0(VALU_DEP_2) | instskip(NEXT) | instid1(VALU_DEP_2)
	v_cmp_ge_i32_e64 s6, v24, v23
	v_cmp_lt_i32_e64 s7, v18, v19
	s_delay_alu instid0(VALU_DEP_2)
	s_or_b32 s5, s6, s5
	s_delay_alu instid0(VALU_DEP_1) | instid1(SALU_CYCLE_1)
	s_and_b32 s5, s7, s5
	s_delay_alu instid0(SALU_CYCLE_1) | instskip(NEXT) | instid1(SALU_CYCLE_1)
	s_xor_b32 s6, s5, -1
	s_and_saveexec_b32 s7, s6
	s_delay_alu instid0(SALU_CYCLE_1)
	s_xor_b32 s6, exec_lo, s7
	s_cbranch_execz .LBB174_88
; %bb.87:
	v_lshl_add_u32 v14, v24, 3, v21
	v_add_nc_u32_e32 v22, 1, v24
                                        ; implicit-def: $vgpr24
                                        ; implicit-def: $vgpr21
	ds_load_b64 v[14:15], v14 offset:8
.LBB174_88:
	s_or_saveexec_b32 s6, s6
	v_dual_mov_b32 v17, v13 :: v_dual_mov_b32 v16, v12
	s_xor_b32 exec_lo, exec_lo, s6
	s_cbranch_execz .LBB174_90
; %bb.89:
	s_waitcnt lgkmcnt(0)
	v_lshl_add_u32 v14, v18, 3, v21
	v_add_nc_u32_e32 v18, 1, v18
	v_mov_b32_e32 v22, v24
	ds_load_b64 v[16:17], v14 offset:8
	v_dual_mov_b32 v15, v11 :: v_dual_mov_b32 v14, v10
.LBB174_90:
	s_or_b32 exec_lo, exec_lo, s6
	v_add_co_u32 v8, s6, s10, v8
	s_delay_alu instid0(VALU_DEP_1) | instskip(NEXT) | instid1(VALU_DEP_2)
	v_add_co_ci_u32_e64 v9, s6, s11, v9, s6
	v_add_co_u32 v8, s6, v8, v20
	s_delay_alu instid0(VALU_DEP_1)
	v_add_co_ci_u32_e64 v9, s6, 0, v9, s6
	s_and_saveexec_b32 s6, vcc_lo
	s_cbranch_execnz .LBB174_95
; %bb.91:
	s_or_b32 exec_lo, exec_lo, s6
	s_and_saveexec_b32 s3, s0
	s_cbranch_execnz .LBB174_96
.LBB174_92:
	s_or_b32 exec_lo, exec_lo, s3
	s_and_saveexec_b32 s0, s1
	s_cbranch_execnz .LBB174_97
.LBB174_93:
	s_or_b32 exec_lo, exec_lo, s0
	s_and_saveexec_b32 s0, s2
	s_cbranch_execnz .LBB174_98
.LBB174_94:
	s_nop 0
	s_sendmsg sendmsg(MSG_DEALLOC_VGPRS)
	s_endpgm
.LBB174_95:
	v_cndmask_b32_e64 v1, v1, v3, s3
	v_cndmask_b32_e64 v0, v0, v2, s3
	global_store_b64 v[8:9], v[0:1], off
	s_or_b32 exec_lo, exec_lo, s6
	s_and_saveexec_b32 s3, s0
	s_cbranch_execz .LBB174_92
.LBB174_96:
	v_cndmask_b32_e64 v1, v5, v7, s4
	v_cndmask_b32_e64 v0, v4, v6, s4
	global_store_b64 v[8:9], v[0:1], off offset:8
	s_or_b32 exec_lo, exec_lo, s3
	s_and_saveexec_b32 s0, s1
	s_cbranch_execz .LBB174_93
.LBB174_97:
	v_cndmask_b32_e64 v1, v11, v13, s5
	v_cndmask_b32_e64 v0, v10, v12, s5
	global_store_b64 v[8:9], v[0:1], off offset:16
	s_or_b32 exec_lo, exec_lo, s0
	s_and_saveexec_b32 s0, s2
	s_cbranch_execz .LBB174_94
.LBB174_98:
	s_waitcnt lgkmcnt(0)
	v_cmp_lt_i64_e32 vcc_lo, v[16:17], v[14:15]
	v_cmp_ge_i32_e64 s0, v22, v23
	v_cmp_lt_i32_e64 s1, v18, v19
	s_delay_alu instid0(VALU_DEP_2)
	s_or_b32 s0, s0, vcc_lo
	s_delay_alu instid0(VALU_DEP_1) | instid1(SALU_CYCLE_1)
	s_and_b32 vcc_lo, s1, s0
	v_dual_cndmask_b32 v1, v15, v17 :: v_dual_cndmask_b32 v0, v14, v16
	global_store_b64 v[8:9], v[0:1], off offset:24
	s_nop 0
	s_sendmsg sendmsg(MSG_DEALLOC_VGPRS)
	s_endpgm
	.section	.rodata,"a",@progbits
	.p2align	6, 0x0
	.amdhsa_kernel _Z19sort_keys_segmentedILj256ELj32ELj4ExN10test_utils4lessEEvPKT2_PS2_PKjT3_
		.amdhsa_group_segment_fixed_size 8256
		.amdhsa_private_segment_fixed_size 0
		.amdhsa_kernarg_size 28
		.amdhsa_user_sgpr_count 15
		.amdhsa_user_sgpr_dispatch_ptr 0
		.amdhsa_user_sgpr_queue_ptr 0
		.amdhsa_user_sgpr_kernarg_segment_ptr 1
		.amdhsa_user_sgpr_dispatch_id 0
		.amdhsa_user_sgpr_private_segment_size 0
		.amdhsa_wavefront_size32 1
		.amdhsa_uses_dynamic_stack 0
		.amdhsa_enable_private_segment 0
		.amdhsa_system_sgpr_workgroup_id_x 1
		.amdhsa_system_sgpr_workgroup_id_y 0
		.amdhsa_system_sgpr_workgroup_id_z 0
		.amdhsa_system_sgpr_workgroup_info 0
		.amdhsa_system_vgpr_workitem_id 0
		.amdhsa_next_free_vgpr 32
		.amdhsa_next_free_sgpr 16
		.amdhsa_reserve_vcc 1
		.amdhsa_float_round_mode_32 0
		.amdhsa_float_round_mode_16_64 0
		.amdhsa_float_denorm_mode_32 3
		.amdhsa_float_denorm_mode_16_64 3
		.amdhsa_dx10_clamp 1
		.amdhsa_ieee_mode 1
		.amdhsa_fp16_overflow 0
		.amdhsa_workgroup_processor_mode 1
		.amdhsa_memory_ordered 1
		.amdhsa_forward_progress 0
		.amdhsa_shared_vgpr_count 0
		.amdhsa_exception_fp_ieee_invalid_op 0
		.amdhsa_exception_fp_denorm_src 0
		.amdhsa_exception_fp_ieee_div_zero 0
		.amdhsa_exception_fp_ieee_overflow 0
		.amdhsa_exception_fp_ieee_underflow 0
		.amdhsa_exception_fp_ieee_inexact 0
		.amdhsa_exception_int_div_zero 0
	.end_amdhsa_kernel
	.section	.text._Z19sort_keys_segmentedILj256ELj32ELj4ExN10test_utils4lessEEvPKT2_PS2_PKjT3_,"axG",@progbits,_Z19sort_keys_segmentedILj256ELj32ELj4ExN10test_utils4lessEEvPKT2_PS2_PKjT3_,comdat
.Lfunc_end174:
	.size	_Z19sort_keys_segmentedILj256ELj32ELj4ExN10test_utils4lessEEvPKT2_PS2_PKjT3_, .Lfunc_end174-_Z19sort_keys_segmentedILj256ELj32ELj4ExN10test_utils4lessEEvPKT2_PS2_PKjT3_
                                        ; -- End function
	.section	.AMDGPU.csdata,"",@progbits
; Kernel info:
; codeLenInByte = 5528
; NumSgprs: 18
; NumVgprs: 32
; ScratchSize: 0
; MemoryBound: 1
; FloatMode: 240
; IeeeMode: 1
; LDSByteSize: 8256 bytes/workgroup (compile time only)
; SGPRBlocks: 2
; VGPRBlocks: 3
; NumSGPRsForWavesPerEU: 18
; NumVGPRsForWavesPerEU: 32
; Occupancy: 16
; WaveLimiterHint : 0
; COMPUTE_PGM_RSRC2:SCRATCH_EN: 0
; COMPUTE_PGM_RSRC2:USER_SGPR: 15
; COMPUTE_PGM_RSRC2:TRAP_HANDLER: 0
; COMPUTE_PGM_RSRC2:TGID_X_EN: 1
; COMPUTE_PGM_RSRC2:TGID_Y_EN: 0
; COMPUTE_PGM_RSRC2:TGID_Z_EN: 0
; COMPUTE_PGM_RSRC2:TIDIG_COMP_CNT: 0
	.section	.text._Z20sort_pairs_segmentedILj256ELj32ELj4ExN10test_utils4lessEEvPKT2_PS2_PKjT3_,"axG",@progbits,_Z20sort_pairs_segmentedILj256ELj32ELj4ExN10test_utils4lessEEvPKT2_PS2_PKjT3_,comdat
	.protected	_Z20sort_pairs_segmentedILj256ELj32ELj4ExN10test_utils4lessEEvPKT2_PS2_PKjT3_ ; -- Begin function _Z20sort_pairs_segmentedILj256ELj32ELj4ExN10test_utils4lessEEvPKT2_PS2_PKjT3_
	.globl	_Z20sort_pairs_segmentedILj256ELj32ELj4ExN10test_utils4lessEEvPKT2_PS2_PKjT3_
	.p2align	8
	.type	_Z20sort_pairs_segmentedILj256ELj32ELj4ExN10test_utils4lessEEvPKT2_PS2_PKjT3_,@function
_Z20sort_pairs_segmentedILj256ELj32ELj4ExN10test_utils4lessEEvPKT2_PS2_PKjT3_: ; @_Z20sort_pairs_segmentedILj256ELj32ELj4ExN10test_utils4lessEEvPKT2_PS2_PKjT3_
; %bb.0:
	s_clause 0x1
	s_load_b64 s[2:3], s[0:1], 0x10
	s_load_b128 s[8:11], s[0:1], 0x0
	v_lshrrev_b32_e32 v35, 5, v0
	s_delay_alu instid0(VALU_DEP_1) | instskip(SKIP_1) | instid1(VALU_DEP_1)
	v_lshl_or_b32 v0, s15, 3, v35
	v_mov_b32_e32 v1, 0
	v_lshlrev_b64 v[2:3], 2, v[0:1]
	v_lshlrev_b32_e32 v0, 7, v0
	s_delay_alu instid0(VALU_DEP_1) | instskip(SKIP_1) | instid1(VALU_DEP_3)
	v_lshlrev_b64 v[18:19], 3, v[0:1]
	s_waitcnt lgkmcnt(0)
	v_add_co_u32 v2, vcc_lo, s2, v2
	s_delay_alu instid0(VALU_DEP_4) | instskip(NEXT) | instid1(VALU_DEP_3)
	v_add_co_ci_u32_e32 v3, vcc_lo, s3, v3, vcc_lo
	v_add_co_u32 v1, vcc_lo, s8, v18
	global_load_b32 v32, v[2:3], off
	v_mbcnt_lo_u32_b32 v2, -1, 0
	v_add_co_ci_u32_e32 v3, vcc_lo, s9, v19, vcc_lo
	s_delay_alu instid0(VALU_DEP_2) | instskip(SKIP_1) | instid1(VALU_DEP_2)
	v_lshlrev_b32_e32 v0, 5, v2
	v_lshlrev_b32_e32 v33, 2, v2
	v_add_co_u32 v8, vcc_lo, v1, v0
	s_delay_alu instid0(VALU_DEP_4) | instskip(SKIP_1) | instid1(VALU_DEP_3)
	v_add_co_ci_u32_e32 v9, vcc_lo, 0, v3, vcc_lo
                                        ; implicit-def: $vgpr0_vgpr1_vgpr2_vgpr3_vgpr4_vgpr5_vgpr6_vgpr7
	s_waitcnt vmcnt(0)
	v_cmp_lt_u32_e32 vcc_lo, v33, v32
	s_and_saveexec_b32 s0, vcc_lo
	s_cbranch_execz .LBB175_2
; %bb.1:
	global_load_b64 v[0:1], v[8:9], off
.LBB175_2:
	s_or_b32 exec_lo, exec_lo, s0
	v_or_b32_e32 v12, 1, v33
	s_delay_alu instid0(VALU_DEP_1) | instskip(NEXT) | instid1(VALU_DEP_1)
	v_cmp_lt_u32_e64 s0, v12, v32
	s_and_saveexec_b32 s1, s0
	s_cbranch_execz .LBB175_4
; %bb.3:
	global_load_b64 v[2:3], v[8:9], off offset:8
.LBB175_4:
	s_or_b32 exec_lo, exec_lo, s1
	v_or_b32_e32 v10, 2, v33
	s_delay_alu instid0(VALU_DEP_1) | instskip(NEXT) | instid1(VALU_DEP_1)
	v_cmp_lt_u32_e64 s1, v10, v32
	s_and_saveexec_b32 s2, s1
	s_cbranch_execz .LBB175_6
; %bb.5:
	global_load_b64 v[4:5], v[8:9], off offset:16
.LBB175_6:
	;; [unrolled: 9-line block ×3, first 2 shown]
	s_or_b32 exec_lo, exec_lo, s3
	s_waitcnt vmcnt(0)
	v_add_co_u32 v20, s3, v0, 1
	s_delay_alu instid0(VALU_DEP_1) | instskip(SKIP_1) | instid1(VALU_DEP_1)
	v_add_co_ci_u32_e64 v21, s3, 0, v1, s3
	v_add_co_u32 v22, s3, v2, 1
	v_add_co_ci_u32_e64 v23, s3, 0, v3, s3
	v_add_co_u32 v24, s3, v4, 1
	s_delay_alu instid0(VALU_DEP_1)
	v_add_co_ci_u32_e64 v25, s3, 0, v5, s3
	v_cmp_lt_i32_e64 s3, v10, v32
	v_add_co_u32 v10, s5, v6, 1
	v_cmp_lt_i32_e64 s4, v11, v32
	v_add_co_ci_u32_e64 v11, s5, 0, v7, s5
	v_cmp_lt_i32_e64 s5, v12, v32
	s_mov_b32 s6, exec_lo
	s_delay_alu instid0(VALU_DEP_3)
	s_or_b32 s3, s4, s3
	v_cndmask_b32_e64 v9, 0x7fffffff, v7, s4
	v_cndmask_b32_e64 v27, 0x7fffffff, v5, s3
	v_cndmask_b32_e64 v26, -1, v4, s3
	s_or_b32 s3, s3, s5
	v_cndmask_b32_e64 v8, -1, v6, s4
	v_cndmask_b32_e64 v3, 0x7fffffff, v3, s3
	v_cndmask_b32_e64 v2, -1, v2, s3
	v_cmpx_lt_i32_e64 v33, v32
	s_cbranch_execz .LBB175_18
; %bb.9:
	s_delay_alu instid0(VALU_DEP_2) | instskip(SKIP_3) | instid1(VALU_DEP_3)
	v_cmp_lt_i64_e64 s3, v[2:3], v[0:1]
	v_dual_mov_b32 v29, v11 :: v_dual_mov_b32 v28, v10
	v_dual_mov_b32 v6, v26 :: v_dual_mov_b32 v7, v27
	s_mov_b32 s5, exec_lo
	v_cndmask_b32_e64 v5, v3, v1, s3
	v_cndmask_b32_e64 v4, v2, v0, s3
	;; [unrolled: 1-line block ×4, first 2 shown]
	v_cmpx_lt_i64_e64 v[8:9], v[26:27]
; %bb.10:
	v_dual_mov_b32 v0, v26 :: v_dual_mov_b32 v1, v27
	v_dual_mov_b32 v29, v25 :: v_dual_mov_b32 v28, v24
	;; [unrolled: 1-line block ×6, first 2 shown]
; %bb.11:
	s_or_b32 exec_lo, exec_lo, s5
	s_delay_alu instid0(VALU_DEP_3) | instskip(NEXT) | instid1(VALU_DEP_2)
	v_cmp_lt_i64_e64 s4, v[26:27], v[4:5]
	v_dual_mov_b32 v17, v9 :: v_dual_mov_b32 v16, v8
	v_cndmask_b32_e64 v31, v23, v21, s3
	v_cndmask_b32_e64 v30, v22, v20, s3
	v_dual_mov_b32 v15, v7 :: v_dual_mov_b32 v14, v6
	v_dual_mov_b32 v13, v5 :: v_dual_mov_b32 v12, v4
	;; [unrolled: 1-line block ×4, first 2 shown]
	s_and_saveexec_b32 s5, s4
	s_delay_alu instid0(SALU_CYCLE_1)
	s_xor_b32 s4, exec_lo, s5
; %bb.12:
	v_dual_mov_b32 v17, v9 :: v_dual_mov_b32 v16, v8
	s_delay_alu instid0(VALU_DEP_2)
	v_dual_mov_b32 v15, v7 :: v_dual_mov_b32 v14, v6
	v_dual_mov_b32 v13, v5 :: v_dual_mov_b32 v12, v4
	v_dual_mov_b32 v11, v3 :: v_dual_mov_b32 v10, v2
	v_dual_mov_b32 v12, v26 :: v_dual_mov_b32 v13, v27
	v_dual_mov_b32 v14, v4 :: v_dual_mov_b32 v15, v5
	v_dual_mov_b32 v16, v8 :: v_dual_mov_b32 v17, v9
	v_dual_mov_b32 v6, v30 :: v_dual_mov_b32 v7, v31
	v_dual_mov_b32 v31, v25 :: v_dual_mov_b32 v30, v24
	v_dual_mov_b32 v4, v26 :: v_dual_mov_b32 v5, v27
; %bb.13:
	s_or_b32 exec_lo, exec_lo, s4
	s_delay_alu instid0(VALU_DEP_1) | instskip(SKIP_3) | instid1(VALU_DEP_3)
	v_cmp_lt_i64_e64 s4, v[4:5], v[2:3]
	v_dual_mov_b32 v8, v16 :: v_dual_mov_b32 v9, v17
	v_dual_mov_b32 v27, v15 :: v_dual_mov_b32 v26, v14
	s_mov_b32 s7, exec_lo
	v_cndmask_b32_e64 v3, v13, v11, s4
	v_cndmask_b32_e64 v2, v12, v10, s4
	;; [unrolled: 1-line block ×4, first 2 shown]
	v_dual_mov_b32 v10, v28 :: v_dual_mov_b32 v11, v29
	v_cmpx_lt_i64_e64 v[16:17], v[14:15]
; %bb.14:
	v_dual_mov_b32 v4, v14 :: v_dual_mov_b32 v5, v15
	v_dual_mov_b32 v11, v7 :: v_dual_mov_b32 v10, v6
	;; [unrolled: 1-line block ×6, first 2 shown]
; %bb.15:
	s_or_b32 exec_lo, exec_lo, s7
	v_cndmask_b32_e64 v12, v21, v23, s3
	v_cndmask_b32_e64 v13, v20, v22, s3
	s_delay_alu instid0(VALU_DEP_2) | instskip(NEXT) | instid1(VALU_DEP_2)
	v_cndmask_b32_e64 v5, v31, v12, s4
	v_cndmask_b32_e64 v4, v30, v13, s4
	;; [unrolled: 1-line block ×4, first 2 shown]
	s_mov_b32 s4, exec_lo
	s_delay_alu instid0(VALU_DEP_3)
	v_dual_mov_b32 v23, v5 :: v_dual_mov_b32 v22, v4
	v_cmpx_lt_i64_e64 v[14:15], v[2:3]
; %bb.16:
	v_dual_mov_b32 v27, v3 :: v_dual_mov_b32 v26, v2
	v_dual_mov_b32 v2, v14 :: v_dual_mov_b32 v3, v15
	;; [unrolled: 1-line block ×4, first 2 shown]
; %bb.17:
	s_or_b32 exec_lo, exec_lo, s4
	s_delay_alu instid0(VALU_DEP_1)
	v_dual_mov_b32 v25, v7 :: v_dual_mov_b32 v24, v6
.LBB175_18:
	s_or_b32 exec_lo, exec_lo, s6
	v_dual_mov_b32 v15, v8 :: v_dual_and_b32 v4, 0x78, v33
	v_and_b32_e32 v6, 4, v33
	v_lshlrev_b32_e32 v30, 3, v33
	v_mul_u32_u24_e32 v31, 0x408, v35
	s_delay_alu instid0(VALU_DEP_4)
	v_min_i32_e32 v7, v32, v4
	s_mov_b32 s5, 0
	v_min_i32_e32 v6, v32, v6
	v_mad_u32_u24 v34, 0x408, v35, v30
	s_mov_b32 s4, exec_lo
	v_add_nc_u32_e32 v4, 4, v7
	v_lshlrev_b32_e32 v8, 3, v7
	; wave barrier
	v_mov_b32_e32 v16, v9
	s_delay_alu instid0(VALU_DEP_3) | instskip(NEXT) | instid1(VALU_DEP_3)
	v_min_i32_e32 v4, v32, v4
	v_mad_u32_u24 v8, 0x408, v35, v8
	ds_store_2addr_b64 v34, v[0:1], v[2:3] offset1:1
	ds_store_2addr_b64 v34, v[26:27], v[15:16] offset0:2 offset1:3
	v_add_nc_u32_e32 v5, 4, v4
	v_sub_nc_u32_e32 v12, v4, v7
	; wave barrier
	s_delay_alu instid0(VALU_DEP_2) | instskip(NEXT) | instid1(VALU_DEP_2)
	v_min_i32_e32 v5, v32, v5
	v_min_i32_e32 v12, v6, v12
	s_delay_alu instid0(VALU_DEP_2) | instskip(NEXT) | instid1(VALU_DEP_1)
	v_sub_nc_u32_e32 v13, v5, v4
	v_sub_nc_u32_e32 v14, v6, v13
	v_cmp_ge_i32_e64 s3, v6, v13
	s_delay_alu instid0(VALU_DEP_1) | instskip(NEXT) | instid1(VALU_DEP_1)
	v_cndmask_b32_e64 v14, 0, v14, s3
	v_cmpx_lt_i32_e64 v14, v12
	s_cbranch_execz .LBB175_22
; %bb.19:
	v_lshlrev_b32_e32 v0, 3, v4
	v_lshlrev_b32_e32 v1, 3, v6
	s_delay_alu instid0(VALU_DEP_1)
	v_add3_u32 v0, v31, v0, v1
	.p2align	6
.LBB175_20:                             ; =>This Inner Loop Header: Depth=1
	v_sub_nc_u32_e32 v1, v12, v14
	s_delay_alu instid0(VALU_DEP_1) | instskip(NEXT) | instid1(VALU_DEP_1)
	v_lshrrev_b32_e32 v2, 31, v1
	v_add_nc_u32_e32 v1, v1, v2
	s_delay_alu instid0(VALU_DEP_1) | instskip(NEXT) | instid1(VALU_DEP_1)
	v_ashrrev_i32_e32 v1, 1, v1
	v_add_nc_u32_e32 v3, v1, v14
	s_delay_alu instid0(VALU_DEP_1) | instskip(SKIP_1) | instid1(VALU_DEP_2)
	v_not_b32_e32 v1, v3
	v_lshl_add_u32 v2, v3, 3, v8
	v_lshl_add_u32 v9, v1, 3, v0
	ds_load_b64 v[1:2], v2
	ds_load_b64 v[15:16], v9
	s_waitcnt lgkmcnt(0)
	v_cmp_lt_i64_e64 s3, v[15:16], v[1:2]
	v_add_nc_u32_e32 v1, 1, v3
	s_delay_alu instid0(VALU_DEP_2) | instskip(NEXT) | instid1(VALU_DEP_2)
	v_cndmask_b32_e64 v12, v12, v3, s3
	v_cndmask_b32_e64 v14, v1, v14, s3
	s_delay_alu instid0(VALU_DEP_1) | instskip(NEXT) | instid1(VALU_DEP_1)
	v_cmp_ge_i32_e64 s3, v14, v12
	s_or_b32 s5, s3, s5
	s_delay_alu instid0(SALU_CYCLE_1)
	s_and_not1_b32 exec_lo, exec_lo, s5
	s_cbranch_execnz .LBB175_20
; %bb.21:
	s_or_b32 exec_lo, exec_lo, s5
.LBB175_22:
	s_delay_alu instid0(SALU_CYCLE_1) | instskip(SKIP_3) | instid1(VALU_DEP_3)
	s_or_b32 exec_lo, exec_lo, s4
	v_add_nc_u32_e32 v0, v4, v6
	v_lshl_add_u32 v1, v14, 3, v8
	v_add_nc_u32_e32 v7, v14, v7
	v_sub_nc_u32_e32 v6, v0, v14
                                        ; implicit-def: $vgpr14_vgpr15
	s_delay_alu instid0(VALU_DEP_2) | instskip(NEXT) | instid1(VALU_DEP_2)
	v_cmp_le_i32_e64 s4, v4, v7
	v_lshl_add_u32 v0, v6, 3, v31
	v_cmp_gt_i32_e64 s5, v5, v6
	ds_load_b64 v[8:9], v1
	ds_load_b64 v[12:13], v0
	s_waitcnt lgkmcnt(0)
	v_cmp_lt_i64_e64 s3, v[12:13], v[8:9]
	s_delay_alu instid0(VALU_DEP_1) | instskip(NEXT) | instid1(SALU_CYCLE_1)
	s_or_b32 s3, s4, s3
	s_and_b32 s3, s5, s3
	s_delay_alu instid0(SALU_CYCLE_1) | instskip(NEXT) | instid1(SALU_CYCLE_1)
	s_xor_b32 s4, s3, -1
	s_and_saveexec_b32 s5, s4
	s_delay_alu instid0(SALU_CYCLE_1)
	s_xor_b32 s4, exec_lo, s5
	s_cbranch_execz .LBB175_24
; %bb.23:
	ds_load_b64 v[14:15], v1 offset:8
                                        ; implicit-def: $vgpr0
.LBB175_24:
	s_or_saveexec_b32 s4, s4
	v_dual_mov_b32 v17, v13 :: v_dual_mov_b32 v16, v12
	s_xor_b32 exec_lo, exec_lo, s4
	s_cbranch_execz .LBB175_26
; %bb.25:
	ds_load_b64 v[16:17], v0 offset:8
	s_waitcnt lgkmcnt(1)
	v_dual_mov_b32 v15, v9 :: v_dual_mov_b32 v14, v8
.LBB175_26:
	s_or_b32 exec_lo, exec_lo, s4
	v_add_nc_u32_e32 v0, 1, v7
	v_add_nc_u32_e32 v1, 1, v6
	s_waitcnt lgkmcnt(0)
	v_cmp_lt_i64_e64 s4, v[16:17], v[14:15]
	s_delay_alu instid0(VALU_DEP_3) | instskip(NEXT) | instid1(VALU_DEP_3)
	v_cndmask_b32_e64 v35, v0, v7, s3
	v_cndmask_b32_e64 v36, v6, v1, s3
                                        ; implicit-def: $vgpr0_vgpr1
	s_delay_alu instid0(VALU_DEP_2) | instskip(NEXT) | instid1(VALU_DEP_2)
	v_cmp_ge_i32_e64 s5, v35, v4
	v_cmp_lt_i32_e64 s6, v36, v5
	s_delay_alu instid0(VALU_DEP_2)
	s_or_b32 s4, s5, s4
	s_delay_alu instid0(VALU_DEP_1) | instid1(SALU_CYCLE_1)
	s_and_b32 s4, s6, s4
	s_delay_alu instid0(SALU_CYCLE_1) | instskip(NEXT) | instid1(SALU_CYCLE_1)
	s_xor_b32 s5, s4, -1
	s_and_saveexec_b32 s6, s5
	s_delay_alu instid0(SALU_CYCLE_1)
	s_xor_b32 s5, exec_lo, s6
	s_cbranch_execz .LBB175_28
; %bb.27:
	v_lshl_add_u32 v0, v35, 3, v31
	ds_load_b64 v[0:1], v0 offset:8
.LBB175_28:
	s_or_saveexec_b32 s5, s5
	v_dual_mov_b32 v2, v16 :: v_dual_mov_b32 v3, v17
	s_xor_b32 exec_lo, exec_lo, s5
	s_cbranch_execz .LBB175_30
; %bb.29:
	s_waitcnt lgkmcnt(0)
	v_lshl_add_u32 v0, v36, 3, v31
	ds_load_b64 v[2:3], v0 offset:8
	v_dual_mov_b32 v0, v14 :: v_dual_mov_b32 v1, v15
.LBB175_30:
	s_or_b32 exec_lo, exec_lo, s5
	v_add_nc_u32_e32 v26, 1, v35
	v_add_nc_u32_e32 v27, 1, v36
	s_waitcnt lgkmcnt(0)
	v_cmp_lt_i64_e64 s5, v[2:3], v[0:1]
	s_delay_alu instid0(VALU_DEP_3) | instskip(NEXT) | instid1(VALU_DEP_3)
	v_cndmask_b32_e64 v37, v26, v35, s4
	v_cndmask_b32_e64 v38, v36, v27, s4
                                        ; implicit-def: $vgpr26_vgpr27
	s_delay_alu instid0(VALU_DEP_2) | instskip(NEXT) | instid1(VALU_DEP_2)
	v_cmp_ge_i32_e64 s6, v37, v4
	v_cmp_lt_i32_e64 s7, v38, v5
	s_delay_alu instid0(VALU_DEP_2)
	s_or_b32 s5, s6, s5
	s_delay_alu instid0(VALU_DEP_1) | instid1(SALU_CYCLE_1)
	s_and_b32 s5, s7, s5
	s_delay_alu instid0(SALU_CYCLE_1) | instskip(NEXT) | instid1(SALU_CYCLE_1)
	s_xor_b32 s6, s5, -1
	s_and_saveexec_b32 s7, s6
	s_delay_alu instid0(SALU_CYCLE_1)
	s_xor_b32 s6, exec_lo, s7
	s_cbranch_execz .LBB175_32
; %bb.31:
	v_lshl_add_u32 v26, v37, 3, v31
	ds_load_b64 v[26:27], v26 offset:8
.LBB175_32:
	s_or_saveexec_b32 s6, s6
	v_dual_mov_b32 v29, v3 :: v_dual_mov_b32 v28, v2
	s_xor_b32 exec_lo, exec_lo, s6
	s_cbranch_execz .LBB175_34
; %bb.33:
	s_waitcnt lgkmcnt(0)
	v_lshl_add_u32 v26, v38, 3, v31
	ds_load_b64 v[28:29], v26 offset:8
	v_dual_mov_b32 v27, v1 :: v_dual_mov_b32 v26, v0
.LBB175_34:
	s_or_b32 exec_lo, exec_lo, s6
	v_add_nc_u32_e32 v39, 1, v37
	v_and_b32_e32 v42, 0x70, v33
	v_add_nc_u32_e32 v43, 1, v38
	v_cndmask_b32_e64 v40, v0, v2, s5
	v_cndmask_b32_e64 v41, v1, v3, s5
	;; [unrolled: 1-line block ×3, first 2 shown]
	v_min_i32_e32 v39, v32, v42
	v_cndmask_b32_e64 v1, v38, v43, s5
	v_cndmask_b32_e64 v2, v37, v38, s5
	s_waitcnt lgkmcnt(0)
	v_cmp_lt_i64_e64 s5, v[28:29], v[26:27]
	v_cmp_ge_i32_e64 s6, v0, v4
	v_add_nc_u32_e32 v3, 8, v39
	v_cmp_lt_i32_e64 s7, v1, v5
	v_cndmask_b32_e64 v4, v35, v36, s4
	v_cndmask_b32_e64 v5, v7, v6, s3
	s_or_b32 s5, s6, s5
	v_min_i32_e32 v35, v32, v3
	s_and_b32 s5, s7, s5
	v_lshl_add_u32 v4, v4, 3, v31
	v_cndmask_b32_e64 v0, v0, v1, s5
	v_lshl_add_u32 v3, v5, 3, v31
	v_add_nc_u32_e32 v1, 8, v35
	v_and_b32_e32 v5, 12, v33
	v_lshl_add_u32 v2, v2, 3, v31
	v_lshl_add_u32 v6, v0, 3, v31
	v_cndmask_b32_e64 v29, v27, v29, s5
	; wave barrier
	ds_store_2addr_b64 v34, v[20:21], v[22:23] offset1:1
	ds_store_2addr_b64 v34, v[24:25], v[10:11] offset0:2 offset1:3
	; wave barrier
	v_min_i32_e32 v27, v32, v1
	v_min_i32_e32 v10, v32, v5
	ds_load_b64 v[0:1], v3
	ds_load_b64 v[4:5], v4
	;; [unrolled: 1-line block ×4, first 2 shown]
	v_cndmask_b32_e64 v15, v15, v17, s4
	v_cndmask_b32_e64 v14, v14, v16, s4
	v_sub_nc_u32_e32 v11, v27, v35
	v_sub_nc_u32_e32 v21, v35, v39
	v_cndmask_b32_e64 v17, v9, v13, s3
	v_cndmask_b32_e64 v16, v8, v12, s3
	v_lshl_add_u32 v8, v39, 3, v31
	v_sub_nc_u32_e32 v20, v10, v11
	v_cmp_ge_i32_e64 s3, v10, v11
	v_min_i32_e32 v9, v10, v21
	v_cndmask_b32_e64 v28, v26, v28, s5
	s_mov_b32 s5, 0
	s_mov_b32 s4, exec_lo
	v_cndmask_b32_e64 v12, 0, v20, s3
	; wave barrier
	ds_store_2addr_b64 v34, v[16:17], v[14:15] offset1:1
	ds_store_2addr_b64 v34, v[40:41], v[28:29] offset0:2 offset1:3
	; wave barrier
	v_cmpx_lt_i32_e64 v12, v9
	s_cbranch_execz .LBB175_38
; %bb.35:
	v_lshlrev_b32_e32 v11, 3, v35
	v_lshlrev_b32_e32 v13, 3, v10
	s_delay_alu instid0(VALU_DEP_1)
	v_add3_u32 v11, v31, v11, v13
	.p2align	6
.LBB175_36:                             ; =>This Inner Loop Header: Depth=1
	v_sub_nc_u32_e32 v13, v9, v12
	s_delay_alu instid0(VALU_DEP_1) | instskip(NEXT) | instid1(VALU_DEP_1)
	v_lshrrev_b32_e32 v14, 31, v13
	v_add_nc_u32_e32 v13, v13, v14
	s_delay_alu instid0(VALU_DEP_1) | instskip(NEXT) | instid1(VALU_DEP_1)
	v_ashrrev_i32_e32 v13, 1, v13
	v_add_nc_u32_e32 v17, v13, v12
	s_delay_alu instid0(VALU_DEP_1) | instskip(SKIP_1) | instid1(VALU_DEP_2)
	v_not_b32_e32 v13, v17
	v_lshl_add_u32 v14, v17, 3, v8
	v_lshl_add_u32 v15, v13, 3, v11
	ds_load_b64 v[13:14], v14
	ds_load_b64 v[15:16], v15
	s_waitcnt lgkmcnt(0)
	v_cmp_lt_i64_e64 s3, v[15:16], v[13:14]
	v_add_nc_u32_e32 v13, 1, v17
	s_delay_alu instid0(VALU_DEP_2) | instskip(NEXT) | instid1(VALU_DEP_2)
	v_cndmask_b32_e64 v9, v9, v17, s3
	v_cndmask_b32_e64 v12, v13, v12, s3
	s_delay_alu instid0(VALU_DEP_1) | instskip(NEXT) | instid1(VALU_DEP_1)
	v_cmp_ge_i32_e64 s3, v12, v9
	s_or_b32 s5, s3, s5
	s_delay_alu instid0(SALU_CYCLE_1)
	s_and_not1_b32 exec_lo, exec_lo, s5
	s_cbranch_execnz .LBB175_36
; %bb.37:
	s_or_b32 exec_lo, exec_lo, s5
.LBB175_38:
	s_delay_alu instid0(SALU_CYCLE_1) | instskip(SKIP_3) | instid1(VALU_DEP_3)
	s_or_b32 exec_lo, exec_lo, s4
	v_add_nc_u32_e32 v9, v35, v10
	v_lshl_add_u32 v14, v12, 3, v8
	v_add_nc_u32_e32 v28, v12, v39
	v_sub_nc_u32_e32 v26, v9, v12
                                        ; implicit-def: $vgpr12_vgpr13
	s_delay_alu instid0(VALU_DEP_2) | instskip(NEXT) | instid1(VALU_DEP_2)
	v_cmp_le_i32_e64 s4, v35, v28
	v_lshl_add_u32 v16, v26, 3, v31
	v_cmp_gt_i32_e64 s5, v27, v26
	ds_load_b64 v[8:9], v14
	ds_load_b64 v[10:11], v16
	s_waitcnt lgkmcnt(0)
	v_cmp_lt_i64_e64 s3, v[10:11], v[8:9]
	s_delay_alu instid0(VALU_DEP_1) | instskip(NEXT) | instid1(SALU_CYCLE_1)
	s_or_b32 s3, s4, s3
	s_and_b32 s3, s5, s3
	s_delay_alu instid0(SALU_CYCLE_1) | instskip(NEXT) | instid1(SALU_CYCLE_1)
	s_xor_b32 s4, s3, -1
	s_and_saveexec_b32 s5, s4
	s_delay_alu instid0(SALU_CYCLE_1)
	s_xor_b32 s4, exec_lo, s5
	s_cbranch_execz .LBB175_40
; %bb.39:
	ds_load_b64 v[12:13], v14 offset:8
                                        ; implicit-def: $vgpr16
.LBB175_40:
	s_or_saveexec_b32 s4, s4
	v_dual_mov_b32 v15, v11 :: v_dual_mov_b32 v14, v10
	s_xor_b32 exec_lo, exec_lo, s4
	s_cbranch_execz .LBB175_42
; %bb.41:
	ds_load_b64 v[14:15], v16 offset:8
	s_waitcnt lgkmcnt(1)
	v_dual_mov_b32 v13, v9 :: v_dual_mov_b32 v12, v8
.LBB175_42:
	s_or_b32 exec_lo, exec_lo, s4
	v_add_nc_u32_e32 v16, 1, v28
	v_add_nc_u32_e32 v17, 1, v26
	s_waitcnt lgkmcnt(0)
	v_cmp_lt_i64_e64 s4, v[14:15], v[12:13]
                                        ; implicit-def: $vgpr20_vgpr21
	s_delay_alu instid0(VALU_DEP_3) | instskip(NEXT) | instid1(VALU_DEP_3)
	v_cndmask_b32_e64 v29, v16, v28, s3
	v_cndmask_b32_e64 v36, v26, v17, s3
	s_delay_alu instid0(VALU_DEP_2) | instskip(NEXT) | instid1(VALU_DEP_2)
	v_cmp_ge_i32_e64 s5, v29, v35
	v_cmp_lt_i32_e64 s6, v36, v27
	s_delay_alu instid0(VALU_DEP_2)
	s_or_b32 s4, s5, s4
	s_delay_alu instid0(VALU_DEP_1) | instid1(SALU_CYCLE_1)
	s_and_b32 s4, s6, s4
	s_delay_alu instid0(SALU_CYCLE_1) | instskip(NEXT) | instid1(SALU_CYCLE_1)
	s_xor_b32 s5, s4, -1
	s_and_saveexec_b32 s6, s5
	s_delay_alu instid0(SALU_CYCLE_1)
	s_xor_b32 s5, exec_lo, s6
	s_cbranch_execz .LBB175_44
; %bb.43:
	v_lshl_add_u32 v16, v29, 3, v31
	ds_load_b64 v[20:21], v16 offset:8
.LBB175_44:
	s_or_saveexec_b32 s5, s5
	v_dual_mov_b32 v25, v15 :: v_dual_mov_b32 v24, v14
	s_xor_b32 exec_lo, exec_lo, s5
	s_cbranch_execz .LBB175_46
; %bb.45:
	v_lshl_add_u32 v16, v36, 3, v31
	s_waitcnt lgkmcnt(0)
	v_dual_mov_b32 v21, v13 :: v_dual_mov_b32 v20, v12
	ds_load_b64 v[24:25], v16 offset:8
.LBB175_46:
	s_or_b32 exec_lo, exec_lo, s5
	v_add_nc_u32_e32 v16, 1, v29
	v_add_nc_u32_e32 v17, 1, v36
	s_waitcnt lgkmcnt(0)
	v_cmp_lt_i64_e64 s5, v[24:25], v[20:21]
	s_delay_alu instid0(VALU_DEP_3) | instskip(NEXT) | instid1(VALU_DEP_3)
	v_cndmask_b32_e64 v37, v16, v29, s4
	v_cndmask_b32_e64 v38, v36, v17, s4
                                        ; implicit-def: $vgpr16_vgpr17
	s_delay_alu instid0(VALU_DEP_2) | instskip(NEXT) | instid1(VALU_DEP_2)
	v_cmp_ge_i32_e64 s6, v37, v35
	v_cmp_lt_i32_e64 s7, v38, v27
	s_delay_alu instid0(VALU_DEP_2)
	s_or_b32 s5, s6, s5
	s_delay_alu instid0(VALU_DEP_1) | instid1(SALU_CYCLE_1)
	s_and_b32 s5, s7, s5
	s_delay_alu instid0(SALU_CYCLE_1) | instskip(NEXT) | instid1(SALU_CYCLE_1)
	s_xor_b32 s6, s5, -1
	s_and_saveexec_b32 s7, s6
	s_delay_alu instid0(SALU_CYCLE_1)
	s_xor_b32 s6, exec_lo, s7
	s_cbranch_execz .LBB175_48
; %bb.47:
	v_lshl_add_u32 v16, v37, 3, v31
	ds_load_b64 v[16:17], v16 offset:8
.LBB175_48:
	s_or_saveexec_b32 s6, s6
	v_dual_mov_b32 v22, v24 :: v_dual_mov_b32 v23, v25
	s_xor_b32 exec_lo, exec_lo, s6
	s_cbranch_execz .LBB175_50
; %bb.49:
	s_waitcnt lgkmcnt(0)
	v_lshl_add_u32 v16, v38, 3, v31
	ds_load_b64 v[22:23], v16 offset:8
	v_dual_mov_b32 v16, v20 :: v_dual_mov_b32 v17, v21
.LBB175_50:
	s_or_b32 exec_lo, exec_lo, s6
	v_add_nc_u32_e32 v39, 1, v37
	v_and_b32_e32 v40, 0x60, v33
	v_add_nc_u32_e32 v41, 1, v38
	v_cndmask_b32_e64 v25, v21, v25, s5
	v_cndmask_b32_e64 v24, v20, v24, s5
	;; [unrolled: 1-line block ×3, first 2 shown]
	v_min_i32_e32 v20, v32, v40
	v_cndmask_b32_e64 v39, v38, v41, s5
	v_cndmask_b32_e64 v37, v37, v38, s5
	s_waitcnt lgkmcnt(0)
	v_cmp_lt_i64_e64 s5, v[22:23], v[16:17]
	v_cmp_ge_i32_e64 s6, v21, v35
	v_add_nc_u32_e32 v35, 16, v20
	v_cmp_lt_i32_e64 s7, v39, v27
	v_cndmask_b32_e64 v27, v28, v26, s3
	v_cndmask_b32_e64 v29, v29, v36, s4
	s_or_b32 s5, s6, s5
	v_min_i32_e32 v26, v32, v35
	s_and_b32 s5, s7, s5
	s_delay_alu instid0(SALU_CYCLE_1)
	v_cndmask_b32_e64 v23, v17, v23, s5
	v_cndmask_b32_e64 v17, v21, v39, s5
	; wave barrier
	ds_store_2addr_b64 v34, v[0:1], v[4:5] offset1:1
	ds_store_2addr_b64 v34, v[2:3], v[6:7] offset0:2 offset1:3
	v_add_nc_u32_e32 v0, 16, v26
	v_lshl_add_u32 v1, v27, 3, v31
	v_and_b32_e32 v2, 28, v33
	v_lshl_add_u32 v3, v29, 3, v31
	v_lshl_add_u32 v6, v37, 3, v31
	;; [unrolled: 1-line block ×3, first 2 shown]
	; wave barrier
	v_min_i32_e32 v27, v32, v0
	v_min_i32_e32 v17, v32, v2
	ds_load_b64 v[0:1], v1
	ds_load_b64 v[4:5], v3
	;; [unrolled: 1-line block ×4, first 2 shown]
	v_cndmask_b32_e64 v15, v13, v15, s4
	v_cndmask_b32_e64 v14, v12, v14, s4
	v_sub_nc_u32_e32 v21, v27, v26
	v_sub_nc_u32_e32 v13, v26, v20
	v_cndmask_b32_e64 v11, v9, v11, s3
	v_cndmask_b32_e64 v10, v8, v10, s3
	v_lshl_add_u32 v8, v20, 3, v31
	v_sub_nc_u32_e32 v12, v17, v21
	v_cmp_ge_i32_e64 s3, v17, v21
	v_min_i32_e32 v9, v17, v13
	v_cndmask_b32_e64 v22, v16, v22, s5
	s_mov_b32 s5, 0
	s_mov_b32 s4, exec_lo
	v_cndmask_b32_e64 v12, 0, v12, s3
	; wave barrier
	ds_store_2addr_b64 v34, v[10:11], v[14:15] offset1:1
	ds_store_2addr_b64 v34, v[24:25], v[22:23] offset0:2 offset1:3
	; wave barrier
	v_cmpx_lt_i32_e64 v12, v9
	s_cbranch_execz .LBB175_54
; %bb.51:
	v_lshlrev_b32_e32 v10, 3, v26
	v_lshlrev_b32_e32 v11, 3, v17
	s_delay_alu instid0(VALU_DEP_1)
	v_add3_u32 v10, v31, v10, v11
	.p2align	6
.LBB175_52:                             ; =>This Inner Loop Header: Depth=1
	v_sub_nc_u32_e32 v11, v9, v12
	s_delay_alu instid0(VALU_DEP_1) | instskip(NEXT) | instid1(VALU_DEP_1)
	v_lshrrev_b32_e32 v13, 31, v11
	v_add_nc_u32_e32 v11, v11, v13
	s_delay_alu instid0(VALU_DEP_1) | instskip(NEXT) | instid1(VALU_DEP_1)
	v_ashrrev_i32_e32 v11, 1, v11
	v_add_nc_u32_e32 v11, v11, v12
	s_delay_alu instid0(VALU_DEP_1) | instskip(SKIP_1) | instid1(VALU_DEP_2)
	v_not_b32_e32 v13, v11
	v_lshl_add_u32 v14, v11, 3, v8
	v_lshl_add_u32 v15, v13, 3, v10
	ds_load_b64 v[13:14], v14
	ds_load_b64 v[15:16], v15
	s_waitcnt lgkmcnt(0)
	v_cmp_lt_i64_e64 s3, v[15:16], v[13:14]
	v_add_nc_u32_e32 v13, 1, v11
	s_delay_alu instid0(VALU_DEP_2) | instskip(NEXT) | instid1(VALU_DEP_2)
	v_cndmask_b32_e64 v9, v9, v11, s3
	v_cndmask_b32_e64 v12, v13, v12, s3
	s_delay_alu instid0(VALU_DEP_1) | instskip(NEXT) | instid1(VALU_DEP_1)
	v_cmp_ge_i32_e64 s3, v12, v9
	s_or_b32 s5, s3, s5
	s_delay_alu instid0(SALU_CYCLE_1)
	s_and_not1_b32 exec_lo, exec_lo, s5
	s_cbranch_execnz .LBB175_52
; %bb.53:
	s_or_b32 exec_lo, exec_lo, s5
.LBB175_54:
	s_delay_alu instid0(SALU_CYCLE_1) | instskip(SKIP_3) | instid1(VALU_DEP_3)
	s_or_b32 exec_lo, exec_lo, s4
	v_add_nc_u32_e32 v9, v26, v17
	v_lshl_add_u32 v14, v12, 3, v8
	v_add_nc_u32_e32 v29, v12, v20
	v_sub_nc_u32_e32 v28, v9, v12
                                        ; implicit-def: $vgpr12_vgpr13
	s_delay_alu instid0(VALU_DEP_2) | instskip(NEXT) | instid1(VALU_DEP_2)
	v_cmp_le_i32_e64 s4, v26, v29
	v_lshl_add_u32 v16, v28, 3, v31
	v_cmp_gt_i32_e64 s5, v27, v28
	ds_load_b64 v[8:9], v14
	ds_load_b64 v[10:11], v16
	s_waitcnt lgkmcnt(0)
	v_cmp_lt_i64_e64 s3, v[10:11], v[8:9]
	s_delay_alu instid0(VALU_DEP_1) | instskip(NEXT) | instid1(SALU_CYCLE_1)
	s_or_b32 s3, s4, s3
	s_and_b32 s3, s5, s3
	s_delay_alu instid0(SALU_CYCLE_1) | instskip(NEXT) | instid1(SALU_CYCLE_1)
	s_xor_b32 s4, s3, -1
	s_and_saveexec_b32 s5, s4
	s_delay_alu instid0(SALU_CYCLE_1)
	s_xor_b32 s4, exec_lo, s5
	s_cbranch_execz .LBB175_56
; %bb.55:
	ds_load_b64 v[12:13], v14 offset:8
                                        ; implicit-def: $vgpr16
.LBB175_56:
	s_or_saveexec_b32 s4, s4
	v_dual_mov_b32 v15, v11 :: v_dual_mov_b32 v14, v10
	s_xor_b32 exec_lo, exec_lo, s4
	s_cbranch_execz .LBB175_58
; %bb.57:
	ds_load_b64 v[14:15], v16 offset:8
	s_waitcnt lgkmcnt(1)
	v_dual_mov_b32 v13, v9 :: v_dual_mov_b32 v12, v8
.LBB175_58:
	s_or_b32 exec_lo, exec_lo, s4
	v_add_nc_u32_e32 v16, 1, v29
	v_add_nc_u32_e32 v17, 1, v28
	s_waitcnt lgkmcnt(0)
	v_cmp_lt_i64_e64 s4, v[14:15], v[12:13]
                                        ; implicit-def: $vgpr20_vgpr21
	s_delay_alu instid0(VALU_DEP_3) | instskip(NEXT) | instid1(VALU_DEP_3)
	v_cndmask_b32_e64 v35, v16, v29, s3
	v_cndmask_b32_e64 v36, v28, v17, s3
	s_delay_alu instid0(VALU_DEP_2) | instskip(NEXT) | instid1(VALU_DEP_2)
	v_cmp_ge_i32_e64 s5, v35, v26
	v_cmp_lt_i32_e64 s6, v36, v27
	s_delay_alu instid0(VALU_DEP_2)
	s_or_b32 s4, s5, s4
	s_delay_alu instid0(VALU_DEP_1) | instid1(SALU_CYCLE_1)
	s_and_b32 s4, s6, s4
	s_delay_alu instid0(SALU_CYCLE_1) | instskip(NEXT) | instid1(SALU_CYCLE_1)
	s_xor_b32 s5, s4, -1
	s_and_saveexec_b32 s6, s5
	s_delay_alu instid0(SALU_CYCLE_1)
	s_xor_b32 s5, exec_lo, s6
	s_cbranch_execz .LBB175_60
; %bb.59:
	v_lshl_add_u32 v16, v35, 3, v31
	ds_load_b64 v[20:21], v16 offset:8
.LBB175_60:
	s_or_saveexec_b32 s5, s5
	v_dual_mov_b32 v25, v15 :: v_dual_mov_b32 v24, v14
	s_xor_b32 exec_lo, exec_lo, s5
	s_cbranch_execz .LBB175_62
; %bb.61:
	v_lshl_add_u32 v16, v36, 3, v31
	s_waitcnt lgkmcnt(0)
	v_dual_mov_b32 v21, v13 :: v_dual_mov_b32 v20, v12
	ds_load_b64 v[24:25], v16 offset:8
.LBB175_62:
	s_or_b32 exec_lo, exec_lo, s5
	v_add_nc_u32_e32 v16, 1, v35
	v_add_nc_u32_e32 v17, 1, v36
	s_waitcnt lgkmcnt(0)
	v_cmp_lt_i64_e64 s5, v[24:25], v[20:21]
	s_delay_alu instid0(VALU_DEP_3) | instskip(NEXT) | instid1(VALU_DEP_3)
	v_cndmask_b32_e64 v37, v16, v35, s4
	v_cndmask_b32_e64 v38, v36, v17, s4
                                        ; implicit-def: $vgpr16_vgpr17
	s_delay_alu instid0(VALU_DEP_2) | instskip(NEXT) | instid1(VALU_DEP_2)
	v_cmp_ge_i32_e64 s6, v37, v26
	v_cmp_lt_i32_e64 s7, v38, v27
	s_delay_alu instid0(VALU_DEP_2)
	s_or_b32 s5, s6, s5
	s_delay_alu instid0(VALU_DEP_1) | instid1(SALU_CYCLE_1)
	s_and_b32 s5, s7, s5
	s_delay_alu instid0(SALU_CYCLE_1) | instskip(NEXT) | instid1(SALU_CYCLE_1)
	s_xor_b32 s6, s5, -1
	s_and_saveexec_b32 s7, s6
	s_delay_alu instid0(SALU_CYCLE_1)
	s_xor_b32 s6, exec_lo, s7
	s_cbranch_execz .LBB175_64
; %bb.63:
	v_lshl_add_u32 v16, v37, 3, v31
	ds_load_b64 v[16:17], v16 offset:8
.LBB175_64:
	s_or_saveexec_b32 s6, s6
	v_dual_mov_b32 v22, v24 :: v_dual_mov_b32 v23, v25
	s_xor_b32 exec_lo, exec_lo, s6
	s_cbranch_execz .LBB175_66
; %bb.65:
	s_waitcnt lgkmcnt(0)
	v_lshl_add_u32 v16, v38, 3, v31
	ds_load_b64 v[22:23], v16 offset:8
	v_dual_mov_b32 v16, v20 :: v_dual_mov_b32 v17, v21
.LBB175_66:
	s_or_b32 exec_lo, exec_lo, s6
	v_add_nc_u32_e32 v39, 1, v37
	v_and_b32_e32 v40, 64, v33
	v_add_nc_u32_e32 v41, 1, v38
	v_cndmask_b32_e64 v25, v21, v25, s5
	v_cndmask_b32_e64 v24, v20, v24, s5
	;; [unrolled: 1-line block ×3, first 2 shown]
	v_min_i32_e32 v20, v32, v40
	v_cndmask_b32_e64 v39, v38, v41, s5
	v_cndmask_b32_e64 v37, v37, v38, s5
	s_waitcnt lgkmcnt(0)
	v_cmp_lt_i64_e64 s5, v[22:23], v[16:17]
	v_cmp_ge_i32_e64 s6, v21, v26
	v_add_nc_u32_e32 v26, 32, v20
	v_cmp_lt_i32_e64 s7, v39, v27
	v_cndmask_b32_e64 v27, v29, v28, s3
	v_cndmask_b32_e64 v35, v35, v36, s4
	s_or_b32 s5, s6, s5
	v_min_i32_e32 v26, v32, v26
	s_and_b32 s5, s7, s5
	s_delay_alu instid0(SALU_CYCLE_1)
	v_cndmask_b32_e64 v23, v17, v23, s5
	v_cndmask_b32_e64 v17, v21, v39, s5
	; wave barrier
	ds_store_2addr_b64 v34, v[0:1], v[4:5] offset1:1
	ds_store_2addr_b64 v34, v[2:3], v[6:7] offset0:2 offset1:3
	v_add_nc_u32_e32 v0, 32, v26
	v_lshl_add_u32 v1, v27, 3, v31
	v_and_b32_e32 v2, 60, v33
	v_lshl_add_u32 v3, v35, 3, v31
	v_lshl_add_u32 v6, v37, 3, v31
	;; [unrolled: 1-line block ×3, first 2 shown]
	; wave barrier
	v_min_i32_e32 v27, v32, v0
	v_min_i32_e32 v17, v32, v2
	ds_load_b64 v[0:1], v1
	ds_load_b64 v[4:5], v3
	;; [unrolled: 1-line block ×4, first 2 shown]
	v_cndmask_b32_e64 v15, v13, v15, s4
	v_cndmask_b32_e64 v14, v12, v14, s4
	v_sub_nc_u32_e32 v21, v27, v26
	v_sub_nc_u32_e32 v13, v26, v20
	v_cndmask_b32_e64 v11, v9, v11, s3
	v_cndmask_b32_e64 v10, v8, v10, s3
	v_lshl_add_u32 v8, v20, 3, v31
	v_sub_nc_u32_e32 v12, v17, v21
	v_cmp_ge_i32_e64 s3, v17, v21
	v_min_i32_e32 v9, v17, v13
	v_cndmask_b32_e64 v22, v16, v22, s5
	s_mov_b32 s5, 0
	s_mov_b32 s4, exec_lo
	v_cndmask_b32_e64 v12, 0, v12, s3
	; wave barrier
	ds_store_2addr_b64 v34, v[10:11], v[14:15] offset1:1
	ds_store_2addr_b64 v34, v[24:25], v[22:23] offset0:2 offset1:3
	; wave barrier
	v_cmpx_lt_i32_e64 v12, v9
	s_cbranch_execz .LBB175_70
; %bb.67:
	v_lshlrev_b32_e32 v10, 3, v26
	v_lshlrev_b32_e32 v11, 3, v17
	s_delay_alu instid0(VALU_DEP_1)
	v_add3_u32 v10, v31, v10, v11
	.p2align	6
.LBB175_68:                             ; =>This Inner Loop Header: Depth=1
	v_sub_nc_u32_e32 v11, v9, v12
	s_delay_alu instid0(VALU_DEP_1) | instskip(NEXT) | instid1(VALU_DEP_1)
	v_lshrrev_b32_e32 v13, 31, v11
	v_add_nc_u32_e32 v11, v11, v13
	s_delay_alu instid0(VALU_DEP_1) | instskip(NEXT) | instid1(VALU_DEP_1)
	v_ashrrev_i32_e32 v11, 1, v11
	v_add_nc_u32_e32 v11, v11, v12
	s_delay_alu instid0(VALU_DEP_1) | instskip(SKIP_1) | instid1(VALU_DEP_2)
	v_not_b32_e32 v13, v11
	v_lshl_add_u32 v14, v11, 3, v8
	v_lshl_add_u32 v15, v13, 3, v10
	ds_load_b64 v[13:14], v14
	ds_load_b64 v[15:16], v15
	s_waitcnt lgkmcnt(0)
	v_cmp_lt_i64_e64 s3, v[15:16], v[13:14]
	v_add_nc_u32_e32 v13, 1, v11
	s_delay_alu instid0(VALU_DEP_2) | instskip(NEXT) | instid1(VALU_DEP_2)
	v_cndmask_b32_e64 v9, v9, v11, s3
	v_cndmask_b32_e64 v12, v13, v12, s3
	s_delay_alu instid0(VALU_DEP_1) | instskip(NEXT) | instid1(VALU_DEP_1)
	v_cmp_ge_i32_e64 s3, v12, v9
	s_or_b32 s5, s3, s5
	s_delay_alu instid0(SALU_CYCLE_1)
	s_and_not1_b32 exec_lo, exec_lo, s5
	s_cbranch_execnz .LBB175_68
; %bb.69:
	s_or_b32 exec_lo, exec_lo, s5
.LBB175_70:
	s_delay_alu instid0(SALU_CYCLE_1) | instskip(SKIP_3) | instid1(VALU_DEP_3)
	s_or_b32 exec_lo, exec_lo, s4
	v_add_nc_u32_e32 v9, v26, v17
	v_lshl_add_u32 v14, v12, 3, v8
	v_add_nc_u32_e32 v29, v12, v20
	v_sub_nc_u32_e32 v28, v9, v12
                                        ; implicit-def: $vgpr12_vgpr13
	s_delay_alu instid0(VALU_DEP_2) | instskip(NEXT) | instid1(VALU_DEP_2)
	v_cmp_le_i32_e64 s4, v26, v29
	v_lshl_add_u32 v16, v28, 3, v31
	v_cmp_gt_i32_e64 s5, v27, v28
	ds_load_b64 v[8:9], v14
	ds_load_b64 v[10:11], v16
	s_waitcnt lgkmcnt(0)
	v_cmp_lt_i64_e64 s3, v[10:11], v[8:9]
	s_delay_alu instid0(VALU_DEP_1) | instskip(NEXT) | instid1(SALU_CYCLE_1)
	s_or_b32 s3, s4, s3
	s_and_b32 s3, s5, s3
	s_delay_alu instid0(SALU_CYCLE_1) | instskip(NEXT) | instid1(SALU_CYCLE_1)
	s_xor_b32 s4, s3, -1
	s_and_saveexec_b32 s5, s4
	s_delay_alu instid0(SALU_CYCLE_1)
	s_xor_b32 s4, exec_lo, s5
	s_cbranch_execz .LBB175_72
; %bb.71:
	ds_load_b64 v[12:13], v14 offset:8
                                        ; implicit-def: $vgpr16
.LBB175_72:
	s_or_saveexec_b32 s4, s4
	v_dual_mov_b32 v15, v11 :: v_dual_mov_b32 v14, v10
	s_xor_b32 exec_lo, exec_lo, s4
	s_cbranch_execz .LBB175_74
; %bb.73:
	ds_load_b64 v[14:15], v16 offset:8
	s_waitcnt lgkmcnt(1)
	v_dual_mov_b32 v13, v9 :: v_dual_mov_b32 v12, v8
.LBB175_74:
	s_or_b32 exec_lo, exec_lo, s4
	v_add_nc_u32_e32 v16, 1, v29
	v_add_nc_u32_e32 v17, 1, v28
	s_waitcnt lgkmcnt(0)
	v_cmp_lt_i64_e64 s4, v[14:15], v[12:13]
                                        ; implicit-def: $vgpr22_vgpr23
	s_delay_alu instid0(VALU_DEP_3) | instskip(NEXT) | instid1(VALU_DEP_3)
	v_cndmask_b32_e64 v35, v16, v29, s3
	v_cndmask_b32_e64 v36, v28, v17, s3
	s_delay_alu instid0(VALU_DEP_2) | instskip(NEXT) | instid1(VALU_DEP_2)
	v_cmp_ge_i32_e64 s5, v35, v26
	v_cmp_lt_i32_e64 s6, v36, v27
	s_delay_alu instid0(VALU_DEP_2)
	s_or_b32 s4, s5, s4
	s_delay_alu instid0(VALU_DEP_1) | instid1(SALU_CYCLE_1)
	s_and_b32 s4, s6, s4
	s_delay_alu instid0(SALU_CYCLE_1) | instskip(NEXT) | instid1(SALU_CYCLE_1)
	s_xor_b32 s5, s4, -1
	s_and_saveexec_b32 s6, s5
	s_delay_alu instid0(SALU_CYCLE_1)
	s_xor_b32 s5, exec_lo, s6
	s_cbranch_execz .LBB175_76
; %bb.75:
	v_lshl_add_u32 v16, v35, 3, v31
	ds_load_b64 v[22:23], v16 offset:8
.LBB175_76:
	s_or_saveexec_b32 s5, s5
	v_dual_mov_b32 v25, v15 :: v_dual_mov_b32 v24, v14
	s_xor_b32 exec_lo, exec_lo, s5
	s_cbranch_execz .LBB175_78
; %bb.77:
	v_lshl_add_u32 v16, v36, 3, v31
	s_waitcnt lgkmcnt(0)
	v_dual_mov_b32 v23, v13 :: v_dual_mov_b32 v22, v12
	ds_load_b64 v[24:25], v16 offset:8
.LBB175_78:
	s_or_b32 exec_lo, exec_lo, s5
	v_add_nc_u32_e32 v16, 1, v35
	v_add_nc_u32_e32 v17, 1, v36
	s_waitcnt lgkmcnt(0)
	v_cmp_lt_i64_e64 s5, v[24:25], v[22:23]
	s_delay_alu instid0(VALU_DEP_3) | instskip(NEXT) | instid1(VALU_DEP_3)
	v_cndmask_b32_e64 v38, v16, v35, s4
	v_cndmask_b32_e64 v37, v36, v17, s4
                                        ; implicit-def: $vgpr16_vgpr17
	s_delay_alu instid0(VALU_DEP_2) | instskip(NEXT) | instid1(VALU_DEP_2)
	v_cmp_ge_i32_e64 s6, v38, v26
	v_cmp_lt_i32_e64 s7, v37, v27
	s_delay_alu instid0(VALU_DEP_2)
	s_or_b32 s5, s6, s5
	s_delay_alu instid0(VALU_DEP_1) | instid1(SALU_CYCLE_1)
	s_and_b32 s5, s7, s5
	s_delay_alu instid0(SALU_CYCLE_1) | instskip(NEXT) | instid1(SALU_CYCLE_1)
	s_xor_b32 s6, s5, -1
	s_and_saveexec_b32 s7, s6
	s_delay_alu instid0(SALU_CYCLE_1)
	s_xor_b32 s6, exec_lo, s7
	s_cbranch_execz .LBB175_80
; %bb.79:
	v_lshl_add_u32 v16, v38, 3, v31
	ds_load_b64 v[16:17], v16 offset:8
.LBB175_80:
	s_or_saveexec_b32 s6, s6
	v_dual_mov_b32 v20, v24 :: v_dual_mov_b32 v21, v25
	s_xor_b32 exec_lo, exec_lo, s6
	s_cbranch_execz .LBB175_82
; %bb.81:
	s_waitcnt lgkmcnt(0)
	v_lshl_add_u32 v16, v37, 3, v31
	ds_load_b64 v[20:21], v16 offset:8
	v_dual_mov_b32 v16, v22 :: v_dual_mov_b32 v17, v23
.LBB175_82:
	s_or_b32 exec_lo, exec_lo, s6
	v_add_nc_u32_e32 v39, 1, v38
	v_cndmask_b32_e64 v25, v23, v25, s5
	v_add_nc_u32_e32 v23, 1, v37
	v_cndmask_b32_e64 v24, v22, v24, s5
	v_cndmask_b32_e64 v40, v38, v37, s5
	;; [unrolled: 1-line block ×3, first 2 shown]
	v_min_i32_e32 v22, 0, v32
	v_cndmask_b32_e64 v23, v37, v23, s5
	s_waitcnt lgkmcnt(0)
	v_cmp_lt_i64_e64 s5, v[20:21], v[16:17]
	v_cndmask_b32_e64 v35, v35, v36, s4
	v_cmp_ge_i32_e64 s6, v38, v26
	v_add_nc_u32_e32 v26, 64, v22
	v_cmp_lt_i32_e64 s7, v23, v27
	v_cndmask_b32_e64 v27, v29, v28, s3
	s_delay_alu instid0(VALU_DEP_4) | instskip(NEXT) | instid1(VALU_DEP_3)
	s_or_b32 s5, s6, s5
	v_min_i32_e32 v26, v32, v26
	; wave barrier
	s_delay_alu instid0(VALU_DEP_3)
	s_and_b32 s5, s7, s5
	ds_store_2addr_b64 v34, v[0:1], v[4:5] offset1:1
	ds_store_2addr_b64 v34, v[2:3], v[6:7] offset0:2 offset1:3
	v_cndmask_b32_e64 v21, v17, v21, s5
	v_add_nc_u32_e32 v0, 64, v26
	v_cndmask_b32_e64 v17, v38, v23, s5
	v_lshl_add_u32 v1, v27, 3, v31
	v_and_b32_e32 v2, 0x7c, v33
	v_lshl_add_u32 v3, v40, 3, v31
	v_min_i32_e32 v27, v32, v0
	v_lshl_add_u32 v0, v35, 3, v31
	v_lshl_add_u32 v23, v17, 3, v31
	; wave barrier
	v_min_i32_e32 v17, v32, v2
	ds_load_b64 v[4:5], v1
	ds_load_b64 v[6:7], v0
	;; [unrolled: 1-line block ×4, first 2 shown]
	v_sub_nc_u32_e32 v28, v27, v26
	v_cndmask_b32_e64 v15, v13, v15, s4
	v_cndmask_b32_e64 v14, v12, v14, s4
	v_sub_nc_u32_e32 v13, v26, v22
	v_cndmask_b32_e64 v11, v9, v11, s3
	v_sub_nc_u32_e32 v12, v17, v28
	v_cndmask_b32_e64 v10, v8, v10, s3
	v_cmp_ge_i32_e64 s3, v17, v28
	v_min_i32_e32 v9, v17, v13
	v_lshl_add_u32 v8, v22, 3, v31
	v_cndmask_b32_e64 v20, v16, v20, s5
	s_mov_b32 s5, 0
	v_cndmask_b32_e64 v12, 0, v12, s3
	s_mov_b32 s4, exec_lo
	; wave barrier
	ds_store_2addr_b64 v34, v[10:11], v[14:15] offset1:1
	ds_store_2addr_b64 v34, v[24:25], v[20:21] offset0:2 offset1:3
	; wave barrier
	v_cmpx_lt_i32_e64 v12, v9
	s_cbranch_execz .LBB175_86
; %bb.83:
	v_lshlrev_b32_e32 v10, 3, v26
	v_lshlrev_b32_e32 v11, 3, v17
	s_delay_alu instid0(VALU_DEP_1)
	v_add3_u32 v10, v31, v10, v11
	.p2align	6
.LBB175_84:                             ; =>This Inner Loop Header: Depth=1
	v_sub_nc_u32_e32 v11, v9, v12
	s_delay_alu instid0(VALU_DEP_1) | instskip(NEXT) | instid1(VALU_DEP_1)
	v_lshrrev_b32_e32 v13, 31, v11
	v_add_nc_u32_e32 v11, v11, v13
	s_delay_alu instid0(VALU_DEP_1) | instskip(NEXT) | instid1(VALU_DEP_1)
	v_ashrrev_i32_e32 v11, 1, v11
	v_add_nc_u32_e32 v11, v11, v12
	s_delay_alu instid0(VALU_DEP_1) | instskip(SKIP_1) | instid1(VALU_DEP_2)
	v_not_b32_e32 v13, v11
	v_lshl_add_u32 v14, v11, 3, v8
	v_lshl_add_u32 v15, v13, 3, v10
	ds_load_b64 v[13:14], v14
	ds_load_b64 v[15:16], v15
	s_waitcnt lgkmcnt(0)
	v_cmp_lt_i64_e64 s3, v[15:16], v[13:14]
	v_add_nc_u32_e32 v13, 1, v11
	s_delay_alu instid0(VALU_DEP_2) | instskip(NEXT) | instid1(VALU_DEP_2)
	v_cndmask_b32_e64 v9, v9, v11, s3
	v_cndmask_b32_e64 v12, v13, v12, s3
	s_delay_alu instid0(VALU_DEP_1) | instskip(NEXT) | instid1(VALU_DEP_1)
	v_cmp_ge_i32_e64 s3, v12, v9
	s_or_b32 s5, s3, s5
	s_delay_alu instid0(SALU_CYCLE_1)
	s_and_not1_b32 exec_lo, exec_lo, s5
	s_cbranch_execnz .LBB175_84
; %bb.85:
	s_or_b32 exec_lo, exec_lo, s5
.LBB175_86:
	s_delay_alu instid0(SALU_CYCLE_1) | instskip(SKIP_3) | instid1(VALU_DEP_3)
	s_or_b32 exec_lo, exec_lo, s4
	v_add_nc_u32_e32 v9, v26, v17
	v_lshl_add_u32 v14, v12, 3, v8
	v_add_nc_u32_e32 v29, v12, v22
	v_sub_nc_u32_e32 v28, v9, v12
                                        ; implicit-def: $vgpr12_vgpr13
	s_delay_alu instid0(VALU_DEP_2) | instskip(NEXT) | instid1(VALU_DEP_2)
	v_cmp_le_i32_e64 s4, v26, v29
	v_lshl_add_u32 v16, v28, 3, v31
	v_cmp_gt_i32_e64 s5, v27, v28
	ds_load_b64 v[8:9], v14
	ds_load_b64 v[10:11], v16
	s_waitcnt lgkmcnt(0)
	v_cmp_lt_i64_e64 s3, v[10:11], v[8:9]
	s_delay_alu instid0(VALU_DEP_1) | instskip(NEXT) | instid1(SALU_CYCLE_1)
	s_or_b32 s3, s4, s3
	s_and_b32 s3, s5, s3
	s_delay_alu instid0(SALU_CYCLE_1) | instskip(NEXT) | instid1(SALU_CYCLE_1)
	s_xor_b32 s4, s3, -1
	s_and_saveexec_b32 s5, s4
	s_delay_alu instid0(SALU_CYCLE_1)
	s_xor_b32 s4, exec_lo, s5
	s_cbranch_execz .LBB175_88
; %bb.87:
	ds_load_b64 v[12:13], v14 offset:8
                                        ; implicit-def: $vgpr16
.LBB175_88:
	s_or_saveexec_b32 s4, s4
	v_dual_mov_b32 v15, v11 :: v_dual_mov_b32 v14, v10
	s_xor_b32 exec_lo, exec_lo, s4
	s_cbranch_execz .LBB175_90
; %bb.89:
	ds_load_b64 v[14:15], v16 offset:8
	s_waitcnt lgkmcnt(1)
	v_dual_mov_b32 v13, v9 :: v_dual_mov_b32 v12, v8
.LBB175_90:
	s_or_b32 exec_lo, exec_lo, s4
	v_add_nc_u32_e32 v16, 1, v29
	v_add_nc_u32_e32 v17, 1, v28
	s_waitcnt lgkmcnt(0)
	v_cmp_lt_i64_e64 s4, v[14:15], v[12:13]
	s_delay_alu instid0(VALU_DEP_3) | instskip(NEXT) | instid1(VALU_DEP_3)
	v_cndmask_b32_e64 v32, v16, v29, s3
	v_cndmask_b32_e64 v33, v28, v17, s3
                                        ; implicit-def: $vgpr16_vgpr17
	s_delay_alu instid0(VALU_DEP_2) | instskip(NEXT) | instid1(VALU_DEP_2)
	v_cmp_ge_i32_e64 s5, v32, v26
	v_cmp_lt_i32_e64 s6, v33, v27
	s_delay_alu instid0(VALU_DEP_2)
	s_or_b32 s4, s5, s4
	s_delay_alu instid0(VALU_DEP_1) | instid1(SALU_CYCLE_1)
	s_and_b32 s4, s6, s4
	s_delay_alu instid0(SALU_CYCLE_1) | instskip(NEXT) | instid1(SALU_CYCLE_1)
	s_xor_b32 s5, s4, -1
	s_and_saveexec_b32 s6, s5
	s_delay_alu instid0(SALU_CYCLE_1)
	s_xor_b32 s5, exec_lo, s6
	s_cbranch_execz .LBB175_92
; %bb.91:
	v_lshl_add_u32 v16, v32, 3, v31
	ds_load_b64 v[16:17], v16 offset:8
.LBB175_92:
	s_or_saveexec_b32 s5, s5
	v_dual_mov_b32 v21, v15 :: v_dual_mov_b32 v20, v14
	s_xor_b32 exec_lo, exec_lo, s5
	s_cbranch_execz .LBB175_94
; %bb.93:
	s_waitcnt lgkmcnt(0)
	v_lshl_add_u32 v16, v33, 3, v31
	ds_load_b64 v[20:21], v16 offset:8
	v_dual_mov_b32 v17, v13 :: v_dual_mov_b32 v16, v12
.LBB175_94:
	s_or_b32 exec_lo, exec_lo, s5
	v_add_nc_u32_e32 v22, 1, v32
	v_add_nc_u32_e32 v23, 1, v33
	s_waitcnt lgkmcnt(0)
	v_cmp_lt_i64_e64 s5, v[20:21], v[16:17]
                                        ; implicit-def: $vgpr37
	s_delay_alu instid0(VALU_DEP_3) | instskip(NEXT) | instid1(VALU_DEP_3)
	v_cndmask_b32_e64 v38, v22, v32, s4
	v_cndmask_b32_e64 v35, v33, v23, s4
                                        ; implicit-def: $vgpr22_vgpr23
	s_delay_alu instid0(VALU_DEP_2) | instskip(NEXT) | instid1(VALU_DEP_2)
	v_cmp_ge_i32_e64 s6, v38, v26
	v_cmp_lt_i32_e64 s7, v35, v27
	s_delay_alu instid0(VALU_DEP_2)
	s_or_b32 s5, s6, s5
	s_delay_alu instid0(VALU_DEP_1) | instid1(SALU_CYCLE_1)
	s_and_b32 s5, s7, s5
	s_delay_alu instid0(SALU_CYCLE_1) | instskip(NEXT) | instid1(SALU_CYCLE_1)
	s_xor_b32 s6, s5, -1
	s_and_saveexec_b32 s7, s6
	s_delay_alu instid0(SALU_CYCLE_1)
	s_xor_b32 s6, exec_lo, s7
	s_cbranch_execz .LBB175_96
; %bb.95:
	v_lshl_add_u32 v22, v38, 3, v31
	v_add_nc_u32_e32 v37, 1, v38
	ds_load_b64 v[22:23], v22 offset:8
.LBB175_96:
	s_or_saveexec_b32 s6, s6
	v_dual_mov_b32 v36, v38 :: v_dual_mov_b32 v25, v21
	v_mov_b32_e32 v24, v20
	s_xor_b32 exec_lo, exec_lo, s6
	s_cbranch_execz .LBB175_98
; %bb.97:
	s_waitcnt lgkmcnt(0)
	v_lshl_add_u32 v22, v35, 3, v31
	v_mov_b32_e32 v37, v38
	ds_load_b64 v[24:25], v22 offset:8
	v_add_nc_u32_e32 v22, 1, v35
	s_delay_alu instid0(VALU_DEP_1)
	v_dual_mov_b32 v36, v35 :: v_dual_mov_b32 v35, v22
	v_dual_mov_b32 v23, v17 :: v_dual_mov_b32 v22, v16
.LBB175_98:
	s_or_b32 exec_lo, exec_lo, s6
	s_waitcnt lgkmcnt(0)
	s_delay_alu instid0(VALU_DEP_1) | instskip(SKIP_3) | instid1(VALU_DEP_3)
	v_cmp_lt_i64_e64 s6, v[24:25], v[22:23]
	v_cmp_ge_i32_e64 s7, v37, v26
	v_cmp_lt_i32_e64 s8, v35, v27
	v_cndmask_b32_e64 v26, v32, v33, s4
	; wave barrier
	s_or_b32 s6, s7, s6
	ds_store_2addr_b64 v34, v[4:5], v[6:7] offset1:1
	ds_store_2addr_b64 v34, v[0:1], v[2:3] offset0:2 offset1:3
	s_and_b32 s6, s8, s6
	v_lshl_add_u32 v0, v26, 3, v31
	v_cndmask_b32_e64 v23, v23, v25, s6
	v_cndmask_b32_e64 v25, v37, v35, s6
	v_lshl_add_u32 v1, v36, 3, v31
	; wave barrier
	s_delay_alu instid0(VALU_DEP_2)
	v_lshl_add_u32 v2, v25, 3, v31
	ds_load_b64 v[6:7], v0
	ds_load_b64 v[4:5], v1
	;; [unrolled: 1-line block ×3, first 2 shown]
	v_cndmask_b32_e64 v1, v9, v11, s3
	v_cndmask_b32_e64 v0, v8, v10, s3
	;; [unrolled: 1-line block ×7, first 2 shown]
	s_and_saveexec_b32 s4, vcc_lo
	s_cbranch_execz .LBB175_100
; %bb.99:
	v_cndmask_b32_e64 v13, v29, v28, s3
	s_delay_alu instid0(VALU_DEP_1) | instskip(SKIP_3) | instid1(VALU_DEP_1)
	v_lshl_add_u32 v13, v13, 3, v31
	ds_load_b64 v[13:14], v13
	s_waitcnt lgkmcnt(0)
	v_add_co_u32 v0, s3, v13, v0
	v_add_co_ci_u32_e64 v1, s3, v14, v1, s3
.LBB175_100:
	s_or_b32 exec_lo, exec_lo, s4
	s_waitcnt lgkmcnt(2)
	v_add_co_u32 v6, s3, v8, v6
	s_delay_alu instid0(VALU_DEP_1) | instskip(SKIP_2) | instid1(VALU_DEP_1)
	v_add_co_ci_u32_e64 v7, s3, v9, v7, s3
	s_waitcnt lgkmcnt(1)
	v_add_co_u32 v4, s3, v11, v4
	v_add_co_ci_u32_e64 v5, s3, v12, v5, s3
	s_waitcnt lgkmcnt(0)
	v_add_co_u32 v2, s3, v10, v2
	s_delay_alu instid0(VALU_DEP_1)
	v_add_co_ci_u32_e64 v3, s3, v23, v3, s3
	v_cndmask_b32_e64 v8, v8, v6, s0
	v_cndmask_b32_e64 v6, v11, v4, s1
	v_add_co_u32 v4, s3, s10, v18
	v_cndmask_b32_e64 v9, v9, v7, s0
	v_cndmask_b32_e64 v7, v12, v5, s1
	v_add_co_ci_u32_e64 v5, s3, s11, v19, s3
	s_delay_alu instid0(VALU_DEP_4) | instskip(SKIP_2) | instid1(VALU_DEP_4)
	v_add_co_u32 v4, s3, v4, v30
	v_cndmask_b32_e64 v3, v23, v3, s2
	v_cndmask_b32_e64 v2, v10, v2, s2
	v_add_co_ci_u32_e64 v5, s3, 0, v5, s3
	s_and_saveexec_b32 s3, vcc_lo
	s_delay_alu instid0(SALU_CYCLE_1)
	s_xor_b32 s3, exec_lo, s3
	s_cbranch_execnz .LBB175_105
; %bb.101:
	s_or_b32 exec_lo, exec_lo, s3
	s_and_saveexec_b32 s3, s0
	s_cbranch_execnz .LBB175_106
.LBB175_102:
	s_or_b32 exec_lo, exec_lo, s3
	s_and_saveexec_b32 s0, s1
	s_cbranch_execnz .LBB175_107
.LBB175_103:
	s_or_b32 exec_lo, exec_lo, s0
	s_and_saveexec_b32 s0, s2
	s_cbranch_execnz .LBB175_108
.LBB175_104:
	s_nop 0
	s_sendmsg sendmsg(MSG_DEALLOC_VGPRS)
	s_endpgm
.LBB175_105:
	global_store_b64 v[4:5], v[0:1], off
	s_or_b32 exec_lo, exec_lo, s3
	s_and_saveexec_b32 s3, s0
	s_cbranch_execz .LBB175_102
.LBB175_106:
	global_store_b64 v[4:5], v[8:9], off offset:8
	s_or_b32 exec_lo, exec_lo, s3
	s_and_saveexec_b32 s0, s1
	s_cbranch_execz .LBB175_103
.LBB175_107:
	global_store_b64 v[4:5], v[6:7], off offset:16
	s_or_b32 exec_lo, exec_lo, s0
	s_and_saveexec_b32 s0, s2
	s_cbranch_execz .LBB175_104
.LBB175_108:
	global_store_b64 v[4:5], v[2:3], off offset:24
	s_nop 0
	s_sendmsg sendmsg(MSG_DEALLOC_VGPRS)
	s_endpgm
	.section	.rodata,"a",@progbits
	.p2align	6, 0x0
	.amdhsa_kernel _Z20sort_pairs_segmentedILj256ELj32ELj4ExN10test_utils4lessEEvPKT2_PS2_PKjT3_
		.amdhsa_group_segment_fixed_size 8256
		.amdhsa_private_segment_fixed_size 0
		.amdhsa_kernarg_size 28
		.amdhsa_user_sgpr_count 15
		.amdhsa_user_sgpr_dispatch_ptr 0
		.amdhsa_user_sgpr_queue_ptr 0
		.amdhsa_user_sgpr_kernarg_segment_ptr 1
		.amdhsa_user_sgpr_dispatch_id 0
		.amdhsa_user_sgpr_private_segment_size 0
		.amdhsa_wavefront_size32 1
		.amdhsa_uses_dynamic_stack 0
		.amdhsa_enable_private_segment 0
		.amdhsa_system_sgpr_workgroup_id_x 1
		.amdhsa_system_sgpr_workgroup_id_y 0
		.amdhsa_system_sgpr_workgroup_id_z 0
		.amdhsa_system_sgpr_workgroup_info 0
		.amdhsa_system_vgpr_workitem_id 0
		.amdhsa_next_free_vgpr 44
		.amdhsa_next_free_sgpr 16
		.amdhsa_reserve_vcc 1
		.amdhsa_float_round_mode_32 0
		.amdhsa_float_round_mode_16_64 0
		.amdhsa_float_denorm_mode_32 3
		.amdhsa_float_denorm_mode_16_64 3
		.amdhsa_dx10_clamp 1
		.amdhsa_ieee_mode 1
		.amdhsa_fp16_overflow 0
		.amdhsa_workgroup_processor_mode 1
		.amdhsa_memory_ordered 1
		.amdhsa_forward_progress 0
		.amdhsa_shared_vgpr_count 0
		.amdhsa_exception_fp_ieee_invalid_op 0
		.amdhsa_exception_fp_denorm_src 0
		.amdhsa_exception_fp_ieee_div_zero 0
		.amdhsa_exception_fp_ieee_overflow 0
		.amdhsa_exception_fp_ieee_underflow 0
		.amdhsa_exception_fp_ieee_inexact 0
		.amdhsa_exception_int_div_zero 0
	.end_amdhsa_kernel
	.section	.text._Z20sort_pairs_segmentedILj256ELj32ELj4ExN10test_utils4lessEEvPKT2_PS2_PKjT3_,"axG",@progbits,_Z20sort_pairs_segmentedILj256ELj32ELj4ExN10test_utils4lessEEvPKT2_PS2_PKjT3_,comdat
.Lfunc_end175:
	.size	_Z20sort_pairs_segmentedILj256ELj32ELj4ExN10test_utils4lessEEvPKT2_PS2_PKjT3_, .Lfunc_end175-_Z20sort_pairs_segmentedILj256ELj32ELj4ExN10test_utils4lessEEvPKT2_PS2_PKjT3_
                                        ; -- End function
	.section	.AMDGPU.csdata,"",@progbits
; Kernel info:
; codeLenInByte = 6480
; NumSgprs: 18
; NumVgprs: 44
; ScratchSize: 0
; MemoryBound: 1
; FloatMode: 240
; IeeeMode: 1
; LDSByteSize: 8256 bytes/workgroup (compile time only)
; SGPRBlocks: 2
; VGPRBlocks: 5
; NumSGPRsForWavesPerEU: 18
; NumVGPRsForWavesPerEU: 44
; Occupancy: 16
; WaveLimiterHint : 0
; COMPUTE_PGM_RSRC2:SCRATCH_EN: 0
; COMPUTE_PGM_RSRC2:USER_SGPR: 15
; COMPUTE_PGM_RSRC2:TRAP_HANDLER: 0
; COMPUTE_PGM_RSRC2:TGID_X_EN: 1
; COMPUTE_PGM_RSRC2:TGID_Y_EN: 0
; COMPUTE_PGM_RSRC2:TGID_Z_EN: 0
; COMPUTE_PGM_RSRC2:TIDIG_COMP_CNT: 0
	.section	.text._Z9sort_keysILj256ELj32ELj8ExN10test_utils4lessEEvPKT2_PS2_T3_,"axG",@progbits,_Z9sort_keysILj256ELj32ELj8ExN10test_utils4lessEEvPKT2_PS2_T3_,comdat
	.protected	_Z9sort_keysILj256ELj32ELj8ExN10test_utils4lessEEvPKT2_PS2_T3_ ; -- Begin function _Z9sort_keysILj256ELj32ELj8ExN10test_utils4lessEEvPKT2_PS2_T3_
	.globl	_Z9sort_keysILj256ELj32ELj8ExN10test_utils4lessEEvPKT2_PS2_T3_
	.p2align	8
	.type	_Z9sort_keysILj256ELj32ELj8ExN10test_utils4lessEEvPKT2_PS2_T3_,@function
_Z9sort_keysILj256ELj32ELj8ExN10test_utils4lessEEvPKT2_PS2_T3_: ; @_Z9sort_keysILj256ELj32ELj8ExN10test_utils4lessEEvPKT2_PS2_T3_
; %bb.0:
	s_load_b128 s[8:11], s[0:1], 0x0
	s_mov_b32 s7, 0
	s_lshl_b32 s6, s15, 11
	v_lshlrev_b32_e32 v1, 6, v0
	s_lshl_b64 s[12:13], s[6:7], 3
	v_lshlrev_b32_e32 v32, 3, v0
	v_lshrrev_b32_e32 v2, 5, v0
	s_delay_alu instid0(VALU_DEP_1)
	v_mul_u32_u24_e32 v33, 0x808, v2
	s_waitcnt lgkmcnt(0)
	s_add_u32 s0, s8, s12
	s_addc_u32 s1, s9, s13
	s_clause 0x3
	global_load_b128 v[6:9], v1, s[0:1]
	global_load_b128 v[10:13], v1, s[0:1] offset:16
	global_load_b128 v[14:17], v1, s[0:1] offset:32
	global_load_b128 v[18:21], v1, s[0:1] offset:48
	v_mbcnt_lo_u32_b32 v1, -1, 0
	; wave barrier
	s_delay_alu instid0(VALU_DEP_1) | instskip(SKIP_1) | instid1(VALU_DEP_2)
	v_lshlrev_b32_e32 v34, 3, v1
	v_lshlrev_b32_e32 v1, 6, v1
	v_and_b32_e32 v4, 0xf0, v34
	v_and_b32_e32 v0, 8, v34
	s_delay_alu instid0(VALU_DEP_3) | instskip(NEXT) | instid1(VALU_DEP_3)
	v_mad_u32_u24 v35, 0x808, v2, v1
	v_or_b32_e32 v37, 8, v4
	v_add_nc_u32_e32 v36, 16, v4
	v_lshlrev_b32_e32 v3, 3, v4
	s_delay_alu instid0(VALU_DEP_3) | instskip(NEXT) | instid1(VALU_DEP_3)
	v_sub_nc_u32_e32 v22, v37, v4
	v_sub_nc_u32_e32 v5, v36, v37
	s_delay_alu instid0(VALU_DEP_3) | instskip(NEXT) | instid1(VALU_DEP_3)
	v_mad_u32_u24 v1, 0x808, v2, v3
	v_min_i32_e32 v2, v0, v22
	s_delay_alu instid0(VALU_DEP_3) | instskip(SKIP_1) | instid1(VALU_DEP_2)
	v_sub_nc_u32_e32 v3, v0, v5
	v_cmp_ge_i32_e32 vcc_lo, v0, v5
	v_cndmask_b32_e32 v5, 0, v3, vcc_lo
	s_waitcnt vmcnt(3)
	v_cmp_gt_i64_e32 vcc_lo, v[8:9], v[6:7]
	v_cmp_lt_i64_e64 s0, v[8:9], v[6:7]
	s_waitcnt vmcnt(2)
	v_cmp_gt_i64_e64 s1, v[12:13], v[10:11]
	v_cmp_lt_i64_e64 s2, v[12:13], v[10:11]
	s_waitcnt vmcnt(1)
	v_cmp_lt_i64_e64 s3, v[16:17], v[14:15]
	v_cmp_gt_i64_e64 s4, v[16:17], v[14:15]
	s_waitcnt vmcnt(0)
	v_cmp_lt_i64_e64 s5, v[20:21], v[18:19]
	v_cmp_gt_i64_e64 s6, v[20:21], v[18:19]
	v_cndmask_b32_e32 v22, v7, v9, vcc_lo
	v_cndmask_b32_e64 v7, v7, v9, s0
	v_cndmask_b32_e64 v9, v11, v13, s1
	;; [unrolled: 1-line block ×7, first 2 shown]
	v_cndmask_b32_e32 v21, v6, v8, vcc_lo
	v_cndmask_b32_e64 v6, v6, v8, s0
	v_cndmask_b32_e64 v8, v10, v12, s1
	;; [unrolled: 1-line block ×7, first 2 shown]
	v_cmp_gt_i64_e32 vcc_lo, v[10:11], v[21:22]
	v_cmp_lt_i64_e64 s1, v[12:13], v[8:9]
	v_cmp_gt_i64_e64 s2, v[12:13], v[8:9]
	v_cmp_lt_i64_e64 s3, v[16:17], v[14:15]
	v_cmp_lt_i64_e64 s0, v[10:11], v[21:22]
	v_cmp_gt_i64_e64 s4, v[16:17], v[14:15]
	v_cndmask_b32_e32 v24, v22, v11, vcc_lo
	v_cndmask_b32_e64 v26, v9, v13, s1
	v_cndmask_b32_e64 v9, v9, v13, s2
	;; [unrolled: 1-line block ×3, first 2 shown]
	v_cndmask_b32_e32 v23, v21, v10, vcc_lo
	v_cndmask_b32_e64 v25, v8, v12, s1
	v_cndmask_b32_e64 v8, v8, v12, s2
	;; [unrolled: 1-line block ×7, first 2 shown]
	v_cmp_gt_i64_e32 vcc_lo, v[14:15], v[18:19]
	v_cmp_lt_i64_e64 s0, v[10:11], v[6:7]
	v_cmp_gt_i64_e64 s1, v[25:26], v[23:24]
	v_cmp_lt_i64_e64 s2, v[25:26], v[23:24]
	v_cmp_lt_i64_e64 s3, v[12:13], v[8:9]
	v_cmp_gt_i64_e64 s4, v[12:13], v[8:9]
	v_cndmask_b32_e32 v27, v17, v19, vcc_lo
	v_cndmask_b32_e64 v10, v21, v7, s0
	v_cndmask_b32_e64 v14, v24, v26, s1
	v_cndmask_b32_e64 v16, v24, v26, s2
	v_cndmask_b32_e32 v26, v28, v18, vcc_lo
	v_cndmask_b32_e64 v20, v9, v13, s3
	v_cndmask_b32_e64 v22, v9, v13, s4
	v_cndmask_b32_e64 v9, v3, v6, s0
	;; [unrolled: 4-line block ×3, first 2 shown]
	v_cndmask_b32_e64 v7, v7, v21, s0
	v_cndmask_b32_e64 v6, v6, v3, s0
	v_cndmask_b32_e32 v28, v18, v28, vcc_lo
	v_cmp_gt_i64_e32 vcc_lo, v[15:16], v[9:10]
	v_cmp_lt_i64_e64 s0, v[15:16], v[9:10]
	v_cmp_lt_i64_e64 s1, v[19:20], v[13:14]
	v_cmp_gt_i64_e64 s2, v[19:20], v[13:14]
	v_cndmask_b32_e64 v21, v8, v12, s4
	v_cndmask_b32_e32 v11, v10, v16, vcc_lo
	v_cndmask_b32_e64 v16, v10, v16, s0
	v_cndmask_b32_e32 v10, v9, v15, vcc_lo
	v_cndmask_b32_e64 v18, v14, v20, s1
	v_cndmask_b32_e64 v15, v9, v15, s0
	;; [unrolled: 1-line block ×5, first 2 shown]
	v_cmp_lt_i64_e64 s3, v[26:27], v[21:22]
	v_cmp_gt_i64_e32 vcc_lo, v[15:16], v[6:7]
	v_cmp_lt_i64_e64 s0, v[15:16], v[6:7]
	v_cmp_gt_i64_e64 s1, v[17:18], v[10:11]
	v_cmp_lt_i64_e64 s2, v[17:18], v[10:11]
	v_cmp_gt_i64_e64 s4, v[26:27], v[21:22]
	v_cndmask_b32_e64 v20, v22, v27, s3
	v_cndmask_b32_e32 v8, v7, v16, vcc_lo
	v_cndmask_b32_e64 v12, v7, v16, s0
	v_cndmask_b32_e32 v7, v6, v15, vcc_lo
	v_cndmask_b32_e64 v16, v11, v18, s1
	v_cndmask_b32_e64 v18, v11, v18, s2
	;; [unrolled: 1-line block ×8, first 2 shown]
	s_delay_alu instid0(VALU_DEP_4) | instskip(SKIP_1) | instid1(VALU_DEP_4)
	v_cmp_gt_i64_e32 vcc_lo, v[17:18], v[7:8]
	v_cmp_lt_i64_e64 s0, v[17:18], v[7:8]
	v_cmp_lt_i64_e64 s3, v[19:20], v[13:14]
	v_cmp_gt_i64_e64 s4, v[19:20], v[13:14]
	v_cndmask_b32_e32 v9, v8, v18, vcc_lo
	v_cmp_lt_i64_e64 s5, v[28:29], v[21:22]
	v_cmp_gt_i64_e64 s6, v[28:29], v[21:22]
	v_cndmask_b32_e64 v23, v14, v20, s3
	v_cndmask_b32_e64 v14, v14, v20, s4
	;; [unrolled: 1-line block ×10, first 2 shown]
	v_cmp_lt_i64_e64 s0, v[17:18], v[11:12]
	v_cmp_lt_i64_e64 s1, v[22:23], v[15:16]
	v_cmp_gt_i64_e64 s2, v[22:23], v[15:16]
	v_cmp_gt_i64_e64 s4, v[19:20], v[13:14]
	v_cmp_lt_i64_e64 s3, v[19:20], v[13:14]
	v_cndmask_b32_e64 v31, v26, v11, s0
	v_cndmask_b32_e64 v29, v16, v23, s1
	v_cndmask_b32_e64 v16, v16, v23, s2
	v_cndmask_b32_e64 v6, v14, v20, s4
	v_cndmask_b32_e32 v8, v7, v17, vcc_lo
	v_cmp_gt_i64_e32 vcc_lo, v[13:14], v[24:25]
	v_cndmask_b32_e64 v23, v14, v20, s3
	v_cndmask_b32_e64 v28, v15, v22, s1
	;; [unrolled: 1-line block ×5, first 2 shown]
	v_cmp_lt_i64_e64 s1, v[26:27], v[11:12]
	v_cmp_gt_i64_e64 s2, v[26:27], v[11:12]
	v_cndmask_b32_e32 v30, v6, v25, vcc_lo
	v_cmp_lt_i64_e64 s5, v[22:23], v[15:16]
	v_cmp_gt_i64_e64 s6, v[22:23], v[15:16]
	v_cndmask_b32_e32 v25, v25, v6, vcc_lo
	v_cmp_gt_i64_e64 s3, v[28:29], v[8:9]
	v_cmp_lt_i64_e64 s4, v[28:29], v[8:9]
	v_cndmask_b32_e64 v7, v12, v27, s1
	v_cndmask_b32_e64 v10, v12, v27, s2
	;; [unrolled: 1-line block ×6, first 2 shown]
	v_cndmask_b32_e32 v29, v3, v24, vcc_lo
	v_cndmask_b32_e64 v14, v27, v12, s0
	v_cndmask_b32_e64 v9, v11, v26, s2
	;; [unrolled: 1-line block ×6, first 2 shown]
	v_cndmask_b32_e32 v24, v24, v3, vcc_lo
	v_cndmask_b32_e64 v6, v11, v26, s1
	v_cmp_gt_i64_e32 vcc_lo, v[16:17], v[9:10]
	v_cmp_lt_i64_e64 s0, v[16:17], v[9:10]
	v_cmp_lt_i64_e64 s1, v[18:19], v[12:13]
	v_cmp_gt_i64_e64 s2, v[18:19], v[12:13]
	v_cmp_lt_i64_e64 s3, v[29:30], v[20:21]
	v_cmp_gt_i64_e64 s4, v[29:30], v[20:21]
	v_cndmask_b32_e32 v11, v10, v17, vcc_lo
	v_cndmask_b32_e64 v14, v14, v17, s0
	v_cndmask_b32_e64 v17, v13, v19, s1
	v_cndmask_b32_e64 v19, v13, v19, s2
	v_cndmask_b32_e64 v13, v31, v16, s0
	v_cndmask_b32_e32 v10, v9, v16, vcc_lo
	v_cndmask_b32_e64 v16, v12, v18, s1
	v_cndmask_b32_e64 v22, v21, v30, s3
	;; [unrolled: 1-line block ×6, first 2 shown]
	s_mov_b32 s0, exec_lo
	ds_store_2addr_b64 v35, v[6:7], v[13:14] offset1:1
	ds_store_2addr_b64 v35, v[10:11], v[16:17] offset0:2 offset1:3
	ds_store_2addr_b64 v35, v[18:19], v[21:22] offset0:4 offset1:5
	;; [unrolled: 1-line block ×3, first 2 shown]
	; wave barrier
	v_cmpx_lt_i32_e64 v5, v2
	s_cbranch_execz .LBB176_4
; %bb.1:
	v_lshlrev_b32_e32 v3, 3, v37
	v_lshlrev_b32_e32 v6, 3, v0
	s_delay_alu instid0(VALU_DEP_1)
	v_add3_u32 v3, v33, v3, v6
	.p2align	6
.LBB176_2:                              ; =>This Inner Loop Header: Depth=1
	v_sub_nc_u32_e32 v6, v2, v5
	s_delay_alu instid0(VALU_DEP_1) | instskip(NEXT) | instid1(VALU_DEP_1)
	v_lshrrev_b32_e32 v7, 31, v6
	v_add_nc_u32_e32 v6, v6, v7
	s_delay_alu instid0(VALU_DEP_1) | instskip(NEXT) | instid1(VALU_DEP_1)
	v_ashrrev_i32_e32 v6, 1, v6
	v_add_nc_u32_e32 v10, v6, v5
	s_delay_alu instid0(VALU_DEP_1) | instskip(SKIP_1) | instid1(VALU_DEP_2)
	v_not_b32_e32 v6, v10
	v_lshl_add_u32 v7, v10, 3, v1
	v_lshl_add_u32 v8, v6, 3, v3
	ds_load_b64 v[6:7], v7
	ds_load_b64 v[8:9], v8
	s_waitcnt lgkmcnt(0)
	v_cmp_lt_i64_e32 vcc_lo, v[8:9], v[6:7]
	v_add_nc_u32_e32 v6, 1, v10
	v_cndmask_b32_e32 v2, v2, v10, vcc_lo
	s_delay_alu instid0(VALU_DEP_2) | instskip(NEXT) | instid1(VALU_DEP_1)
	v_cndmask_b32_e32 v5, v6, v5, vcc_lo
	v_cmp_ge_i32_e32 vcc_lo, v5, v2
	s_or_b32 s7, vcc_lo, s7
	s_delay_alu instid0(SALU_CYCLE_1)
	s_and_not1_b32 exec_lo, exec_lo, s7
	s_cbranch_execnz .LBB176_2
; %bb.3:
	s_or_b32 exec_lo, exec_lo, s7
.LBB176_4:
	s_delay_alu instid0(SALU_CYCLE_1) | instskip(SKIP_3) | instid1(VALU_DEP_3)
	s_or_b32 exec_lo, exec_lo, s0
	v_add_nc_u32_e32 v0, v37, v0
	v_lshl_add_u32 v6, v5, 3, v1
	v_add_nc_u32_e32 v9, v5, v4
	v_sub_nc_u32_e32 v8, v0, v5
                                        ; implicit-def: $vgpr4_vgpr5
	s_delay_alu instid0(VALU_DEP_2) | instskip(NEXT) | instid1(VALU_DEP_2)
	v_cmp_le_i32_e64 s0, v37, v9
	v_lshl_add_u32 v10, v8, 3, v33
	v_cmp_gt_i32_e64 s1, v36, v8
	ds_load_b64 v[0:1], v6
	ds_load_b64 v[2:3], v10
	s_waitcnt lgkmcnt(0)
	v_cmp_lt_i64_e32 vcc_lo, v[2:3], v[0:1]
	s_or_b32 s0, s0, vcc_lo
	s_delay_alu instid0(SALU_CYCLE_1) | instskip(NEXT) | instid1(SALU_CYCLE_1)
	s_and_b32 vcc_lo, s1, s0
	s_xor_b32 s0, vcc_lo, -1
	s_delay_alu instid0(SALU_CYCLE_1) | instskip(NEXT) | instid1(SALU_CYCLE_1)
	s_and_saveexec_b32 s1, s0
	s_xor_b32 s0, exec_lo, s1
	s_cbranch_execz .LBB176_6
; %bb.5:
	ds_load_b64 v[4:5], v6 offset:8
                                        ; implicit-def: $vgpr10
.LBB176_6:
	s_or_saveexec_b32 s0, s0
	v_dual_mov_b32 v7, v3 :: v_dual_mov_b32 v6, v2
	s_xor_b32 exec_lo, exec_lo, s0
	s_cbranch_execz .LBB176_8
; %bb.7:
	ds_load_b64 v[6:7], v10 offset:8
	s_waitcnt lgkmcnt(1)
	v_dual_mov_b32 v5, v1 :: v_dual_mov_b32 v4, v0
.LBB176_8:
	s_or_b32 exec_lo, exec_lo, s0
	v_add_nc_u32_e32 v10, 1, v9
	v_add_nc_u32_e32 v11, 1, v8
	s_waitcnt lgkmcnt(0)
	v_cmp_lt_i64_e64 s0, v[6:7], v[4:5]
	s_delay_alu instid0(VALU_DEP_2) | instskip(NEXT) | instid1(VALU_DEP_1)
	v_dual_cndmask_b32 v13, v10, v9 :: v_dual_cndmask_b32 v12, v8, v11
                                        ; implicit-def: $vgpr8_vgpr9
	v_cmp_ge_i32_e64 s1, v13, v37
	s_delay_alu instid0(VALU_DEP_2) | instskip(NEXT) | instid1(VALU_DEP_2)
	v_cmp_lt_i32_e64 s2, v12, v36
	s_or_b32 s0, s1, s0
	s_delay_alu instid0(VALU_DEP_1) | instid1(SALU_CYCLE_1)
	s_and_b32 s0, s2, s0
	s_delay_alu instid0(SALU_CYCLE_1) | instskip(NEXT) | instid1(SALU_CYCLE_1)
	s_xor_b32 s1, s0, -1
	s_and_saveexec_b32 s2, s1
	s_delay_alu instid0(SALU_CYCLE_1)
	s_xor_b32 s1, exec_lo, s2
	s_cbranch_execz .LBB176_10
; %bb.9:
	v_lshl_add_u32 v8, v13, 3, v33
	ds_load_b64 v[8:9], v8 offset:8
.LBB176_10:
	s_or_saveexec_b32 s1, s1
	v_dual_mov_b32 v11, v7 :: v_dual_mov_b32 v10, v6
	s_xor_b32 exec_lo, exec_lo, s1
	s_cbranch_execz .LBB176_12
; %bb.11:
	s_waitcnt lgkmcnt(0)
	v_lshl_add_u32 v8, v12, 3, v33
	ds_load_b64 v[10:11], v8 offset:8
	v_dual_mov_b32 v9, v5 :: v_dual_mov_b32 v8, v4
.LBB176_12:
	s_or_b32 exec_lo, exec_lo, s1
	v_add_nc_u32_e32 v14, 1, v13
	v_add_nc_u32_e32 v15, 1, v12
	s_waitcnt lgkmcnt(0)
	v_cmp_lt_i64_e64 s1, v[10:11], v[8:9]
	s_delay_alu instid0(VALU_DEP_3) | instskip(NEXT) | instid1(VALU_DEP_3)
	v_cndmask_b32_e64 v17, v14, v13, s0
	v_cndmask_b32_e64 v16, v12, v15, s0
                                        ; implicit-def: $vgpr12_vgpr13
	s_delay_alu instid0(VALU_DEP_2) | instskip(NEXT) | instid1(VALU_DEP_2)
	v_cmp_ge_i32_e64 s2, v17, v37
	v_cmp_lt_i32_e64 s3, v16, v36
	s_delay_alu instid0(VALU_DEP_2)
	s_or_b32 s1, s2, s1
	s_delay_alu instid0(VALU_DEP_1) | instid1(SALU_CYCLE_1)
	s_and_b32 s1, s3, s1
	s_delay_alu instid0(SALU_CYCLE_1) | instskip(NEXT) | instid1(SALU_CYCLE_1)
	s_xor_b32 s2, s1, -1
	s_and_saveexec_b32 s3, s2
	s_delay_alu instid0(SALU_CYCLE_1)
	s_xor_b32 s2, exec_lo, s3
	s_cbranch_execz .LBB176_14
; %bb.13:
	v_lshl_add_u32 v12, v17, 3, v33
	ds_load_b64 v[12:13], v12 offset:8
.LBB176_14:
	s_or_saveexec_b32 s2, s2
	v_dual_mov_b32 v15, v11 :: v_dual_mov_b32 v14, v10
	s_xor_b32 exec_lo, exec_lo, s2
	s_cbranch_execz .LBB176_16
; %bb.15:
	s_waitcnt lgkmcnt(0)
	v_lshl_add_u32 v12, v16, 3, v33
	ds_load_b64 v[14:15], v12 offset:8
	v_dual_mov_b32 v13, v9 :: v_dual_mov_b32 v12, v8
.LBB176_16:
	s_or_b32 exec_lo, exec_lo, s2
	v_add_nc_u32_e32 v18, 1, v17
	v_add_nc_u32_e32 v19, 1, v16
	s_waitcnt lgkmcnt(0)
	v_cmp_lt_i64_e64 s2, v[14:15], v[12:13]
	s_delay_alu instid0(VALU_DEP_3) | instskip(NEXT) | instid1(VALU_DEP_3)
	v_cndmask_b32_e64 v21, v18, v17, s1
	v_cndmask_b32_e64 v20, v16, v19, s1
                                        ; implicit-def: $vgpr16_vgpr17
	s_delay_alu instid0(VALU_DEP_2) | instskip(NEXT) | instid1(VALU_DEP_2)
	v_cmp_ge_i32_e64 s3, v21, v37
	v_cmp_lt_i32_e64 s4, v20, v36
	s_delay_alu instid0(VALU_DEP_2)
	s_or_b32 s2, s3, s2
	s_delay_alu instid0(VALU_DEP_1) | instid1(SALU_CYCLE_1)
	s_and_b32 s2, s4, s2
	s_delay_alu instid0(SALU_CYCLE_1) | instskip(NEXT) | instid1(SALU_CYCLE_1)
	s_xor_b32 s3, s2, -1
	s_and_saveexec_b32 s4, s3
	s_delay_alu instid0(SALU_CYCLE_1)
	s_xor_b32 s3, exec_lo, s4
	s_cbranch_execz .LBB176_18
; %bb.17:
	v_lshl_add_u32 v16, v21, 3, v33
	ds_load_b64 v[16:17], v16 offset:8
.LBB176_18:
	s_or_saveexec_b32 s3, s3
	v_dual_mov_b32 v19, v15 :: v_dual_mov_b32 v18, v14
	s_xor_b32 exec_lo, exec_lo, s3
	s_cbranch_execz .LBB176_20
; %bb.19:
	s_waitcnt lgkmcnt(0)
	v_lshl_add_u32 v16, v20, 3, v33
	ds_load_b64 v[18:19], v16 offset:8
	v_dual_mov_b32 v17, v13 :: v_dual_mov_b32 v16, v12
.LBB176_20:
	s_or_b32 exec_lo, exec_lo, s3
	v_add_nc_u32_e32 v22, 1, v21
	v_add_nc_u32_e32 v23, 1, v20
	s_waitcnt lgkmcnt(0)
	v_cmp_lt_i64_e64 s3, v[18:19], v[16:17]
	s_delay_alu instid0(VALU_DEP_3) | instskip(NEXT) | instid1(VALU_DEP_3)
	v_cndmask_b32_e64 v25, v22, v21, s2
	v_cndmask_b32_e64 v24, v20, v23, s2
                                        ; implicit-def: $vgpr20_vgpr21
	s_delay_alu instid0(VALU_DEP_2) | instskip(NEXT) | instid1(VALU_DEP_2)
	v_cmp_ge_i32_e64 s4, v25, v37
	v_cmp_lt_i32_e64 s5, v24, v36
	s_delay_alu instid0(VALU_DEP_2)
	s_or_b32 s3, s4, s3
	s_delay_alu instid0(VALU_DEP_1) | instid1(SALU_CYCLE_1)
	s_and_b32 s3, s5, s3
	s_delay_alu instid0(SALU_CYCLE_1) | instskip(NEXT) | instid1(SALU_CYCLE_1)
	s_xor_b32 s4, s3, -1
	s_and_saveexec_b32 s5, s4
	s_delay_alu instid0(SALU_CYCLE_1)
	s_xor_b32 s4, exec_lo, s5
	s_cbranch_execz .LBB176_22
; %bb.21:
	v_lshl_add_u32 v20, v25, 3, v33
	ds_load_b64 v[20:21], v20 offset:8
.LBB176_22:
	s_or_saveexec_b32 s4, s4
	v_dual_mov_b32 v23, v19 :: v_dual_mov_b32 v22, v18
	s_xor_b32 exec_lo, exec_lo, s4
	s_cbranch_execz .LBB176_24
; %bb.23:
	s_waitcnt lgkmcnt(0)
	v_lshl_add_u32 v20, v24, 3, v33
	ds_load_b64 v[22:23], v20 offset:8
	v_dual_mov_b32 v21, v17 :: v_dual_mov_b32 v20, v16
.LBB176_24:
	s_or_b32 exec_lo, exec_lo, s4
	v_add_nc_u32_e32 v26, 1, v25
	v_add_nc_u32_e32 v27, 1, v24
	s_waitcnt lgkmcnt(0)
	v_cmp_lt_i64_e64 s4, v[22:23], v[20:21]
                                        ; implicit-def: $vgpr28_vgpr29
	s_delay_alu instid0(VALU_DEP_3) | instskip(NEXT) | instid1(VALU_DEP_3)
	v_cndmask_b32_e64 v25, v26, v25, s3
	v_cndmask_b32_e64 v24, v24, v27, s3
	s_delay_alu instid0(VALU_DEP_2) | instskip(NEXT) | instid1(VALU_DEP_2)
	v_cmp_ge_i32_e64 s5, v25, v37
	v_cmp_lt_i32_e64 s6, v24, v36
	s_delay_alu instid0(VALU_DEP_2)
	s_or_b32 s4, s5, s4
	s_delay_alu instid0(VALU_DEP_1) | instid1(SALU_CYCLE_1)
	s_and_b32 s4, s6, s4
	s_delay_alu instid0(SALU_CYCLE_1) | instskip(NEXT) | instid1(SALU_CYCLE_1)
	s_xor_b32 s5, s4, -1
	s_and_saveexec_b32 s6, s5
	s_delay_alu instid0(SALU_CYCLE_1)
	s_xor_b32 s5, exec_lo, s6
	s_cbranch_execz .LBB176_26
; %bb.25:
	v_lshl_add_u32 v26, v25, 3, v33
	ds_load_b64 v[28:29], v26 offset:8
.LBB176_26:
	s_or_saveexec_b32 s5, s5
	v_dual_mov_b32 v31, v23 :: v_dual_mov_b32 v30, v22
	s_xor_b32 exec_lo, exec_lo, s5
	s_cbranch_execz .LBB176_28
; %bb.27:
	v_lshl_add_u32 v26, v24, 3, v33
	s_waitcnt lgkmcnt(0)
	v_dual_mov_b32 v29, v21 :: v_dual_mov_b32 v28, v20
	ds_load_b64 v[30:31], v26 offset:8
.LBB176_28:
	s_or_b32 exec_lo, exec_lo, s5
	v_add_nc_u32_e32 v26, 1, v25
	v_add_nc_u32_e32 v27, 1, v24
	s_waitcnt lgkmcnt(0)
	v_cmp_lt_i64_e64 s5, v[30:31], v[28:29]
	s_delay_alu instid0(VALU_DEP_3) | instskip(NEXT) | instid1(VALU_DEP_3)
	v_cndmask_b32_e64 v38, v26, v25, s4
	v_cndmask_b32_e64 v39, v24, v27, s4
                                        ; implicit-def: $vgpr24_vgpr25
	s_delay_alu instid0(VALU_DEP_2) | instskip(NEXT) | instid1(VALU_DEP_2)
	v_cmp_ge_i32_e64 s6, v38, v37
	v_cmp_lt_i32_e64 s7, v39, v36
	s_delay_alu instid0(VALU_DEP_2)
	s_or_b32 s5, s6, s5
	s_delay_alu instid0(VALU_DEP_1) | instid1(SALU_CYCLE_1)
	s_and_b32 s5, s7, s5
	s_delay_alu instid0(SALU_CYCLE_1) | instskip(NEXT) | instid1(SALU_CYCLE_1)
	s_xor_b32 s6, s5, -1
	s_and_saveexec_b32 s7, s6
	s_delay_alu instid0(SALU_CYCLE_1)
	s_xor_b32 s6, exec_lo, s7
	s_cbranch_execz .LBB176_30
; %bb.29:
	v_lshl_add_u32 v24, v38, 3, v33
	ds_load_b64 v[24:25], v24 offset:8
.LBB176_30:
	s_or_saveexec_b32 s6, s6
	v_dual_mov_b32 v26, v30 :: v_dual_mov_b32 v27, v31
	s_xor_b32 exec_lo, exec_lo, s6
	s_cbranch_execz .LBB176_32
; %bb.31:
	s_waitcnt lgkmcnt(0)
	v_lshl_add_u32 v24, v39, 3, v33
	ds_load_b64 v[26:27], v24 offset:8
	v_dual_mov_b32 v24, v28 :: v_dual_mov_b32 v25, v29
.LBB176_32:
	s_or_b32 exec_lo, exec_lo, s6
	v_add_nc_u32_e32 v41, 1, v38
	v_add_nc_u32_e32 v40, 1, v39
	v_cndmask_b32_e64 v11, v9, v11, s1
	v_and_b32_e32 v9, 0xe0, v34
	v_cndmask_b32_e64 v29, v29, v31, s5
	v_cndmask_b32_e64 v31, v41, v38, s5
	;; [unrolled: 1-line block ×6, first 2 shown]
	s_waitcnt lgkmcnt(0)
	v_cmp_lt_i64_e64 s0, v[26:27], v[24:25]
	v_or_b32_e32 v39, 16, v9
	v_add_nc_u32_e32 v38, 32, v9
	v_cndmask_b32_e64 v10, v8, v10, s1
	v_cmp_ge_i32_e64 s1, v31, v37
	v_cndmask_b32_e64 v13, v13, v15, s2
	v_cndmask_b32_e32 v15, v1, v3, vcc_lo
	v_cndmask_b32_e64 v12, v12, v14, s2
	v_cmp_lt_i32_e64 s2, v30, v36
	v_and_b32_e32 v1, 24, v34
	v_sub_nc_u32_e32 v3, v38, v39
	s_or_b32 s0, s1, s0
	v_cndmask_b32_e32 v14, v0, v2, vcc_lo
	s_and_b32 vcc_lo, s2, s0
	v_cndmask_b32_e64 v17, v17, v19, s3
	v_cndmask_b32_e32 v19, v25, v27, vcc_lo
	v_cndmask_b32_e64 v16, v16, v18, s3
	v_sub_nc_u32_e32 v0, v1, v3
	v_sub_nc_u32_e32 v2, v39, v9
	v_cndmask_b32_e32 v18, v24, v26, vcc_lo
	v_cmp_ge_i32_e32 vcc_lo, v1, v3
	v_cndmask_b32_e64 v21, v21, v23, s4
	v_cndmask_b32_e64 v20, v20, v22, s4
	v_min_i32_e32 v2, v1, v2
	s_mov_b32 s1, 0
	v_cndmask_b32_e32 v4, 0, v0, vcc_lo
	v_lshl_add_u32 v0, v9, 3, v33
	s_mov_b32 s0, exec_lo
	; wave barrier
	ds_store_2addr_b64 v35, v[14:15], v[6:7] offset1:1
	ds_store_2addr_b64 v35, v[10:11], v[12:13] offset0:2 offset1:3
	ds_store_2addr_b64 v35, v[16:17], v[20:21] offset0:4 offset1:5
	;; [unrolled: 1-line block ×3, first 2 shown]
	; wave barrier
	v_cmpx_lt_i32_e64 v4, v2
	s_cbranch_execz .LBB176_36
; %bb.33:
	v_lshlrev_b32_e32 v3, 3, v39
	v_lshlrev_b32_e32 v5, 3, v1
	s_delay_alu instid0(VALU_DEP_1)
	v_add3_u32 v3, v33, v3, v5
	.p2align	6
.LBB176_34:                             ; =>This Inner Loop Header: Depth=1
	v_sub_nc_u32_e32 v5, v2, v4
	s_delay_alu instid0(VALU_DEP_1) | instskip(NEXT) | instid1(VALU_DEP_1)
	v_lshrrev_b32_e32 v6, 31, v5
	v_add_nc_u32_e32 v5, v5, v6
	s_delay_alu instid0(VALU_DEP_1) | instskip(NEXT) | instid1(VALU_DEP_1)
	v_ashrrev_i32_e32 v5, 1, v5
	v_add_nc_u32_e32 v10, v5, v4
	s_delay_alu instid0(VALU_DEP_1) | instskip(SKIP_1) | instid1(VALU_DEP_2)
	v_not_b32_e32 v5, v10
	v_lshl_add_u32 v6, v10, 3, v0
	v_lshl_add_u32 v7, v5, 3, v3
	ds_load_b64 v[5:6], v6
	ds_load_b64 v[7:8], v7
	s_waitcnt lgkmcnt(0)
	v_cmp_lt_i64_e32 vcc_lo, v[7:8], v[5:6]
	v_add_nc_u32_e32 v5, 1, v10
	v_cndmask_b32_e32 v2, v2, v10, vcc_lo
	s_delay_alu instid0(VALU_DEP_2) | instskip(NEXT) | instid1(VALU_DEP_1)
	v_cndmask_b32_e32 v4, v5, v4, vcc_lo
	v_cmp_ge_i32_e32 vcc_lo, v4, v2
	s_or_b32 s1, vcc_lo, s1
	s_delay_alu instid0(SALU_CYCLE_1)
	s_and_not1_b32 exec_lo, exec_lo, s1
	s_cbranch_execnz .LBB176_34
; %bb.35:
	s_or_b32 exec_lo, exec_lo, s1
.LBB176_36:
	s_delay_alu instid0(SALU_CYCLE_1) | instskip(SKIP_3) | instid1(VALU_DEP_3)
	s_or_b32 exec_lo, exec_lo, s0
	v_add_nc_u32_e32 v1, v39, v1
	v_lshl_add_u32 v6, v4, 3, v0
	v_add_nc_u32_e32 v9, v4, v9
	v_sub_nc_u32_e32 v8, v1, v4
                                        ; implicit-def: $vgpr4_vgpr5
	s_delay_alu instid0(VALU_DEP_2) | instskip(NEXT) | instid1(VALU_DEP_2)
	v_cmp_le_i32_e64 s0, v39, v9
	v_lshl_add_u32 v10, v8, 3, v33
	v_cmp_gt_i32_e64 s1, v38, v8
	ds_load_b64 v[0:1], v6
	ds_load_b64 v[2:3], v10
	s_waitcnt lgkmcnt(0)
	v_cmp_lt_i64_e32 vcc_lo, v[2:3], v[0:1]
	s_or_b32 s0, s0, vcc_lo
	s_delay_alu instid0(SALU_CYCLE_1) | instskip(NEXT) | instid1(SALU_CYCLE_1)
	s_and_b32 vcc_lo, s1, s0
	s_xor_b32 s0, vcc_lo, -1
	s_delay_alu instid0(SALU_CYCLE_1) | instskip(NEXT) | instid1(SALU_CYCLE_1)
	s_and_saveexec_b32 s1, s0
	s_xor_b32 s0, exec_lo, s1
	s_cbranch_execz .LBB176_38
; %bb.37:
	ds_load_b64 v[4:5], v6 offset:8
                                        ; implicit-def: $vgpr10
.LBB176_38:
	s_or_saveexec_b32 s0, s0
	v_dual_mov_b32 v7, v3 :: v_dual_mov_b32 v6, v2
	s_xor_b32 exec_lo, exec_lo, s0
	s_cbranch_execz .LBB176_40
; %bb.39:
	ds_load_b64 v[6:7], v10 offset:8
	s_waitcnt lgkmcnt(1)
	v_dual_mov_b32 v5, v1 :: v_dual_mov_b32 v4, v0
.LBB176_40:
	s_or_b32 exec_lo, exec_lo, s0
	v_add_nc_u32_e32 v10, 1, v9
	v_add_nc_u32_e32 v11, 1, v8
	s_waitcnt lgkmcnt(0)
	v_cmp_lt_i64_e64 s0, v[6:7], v[4:5]
	s_delay_alu instid0(VALU_DEP_2) | instskip(NEXT) | instid1(VALU_DEP_1)
	v_dual_cndmask_b32 v13, v10, v9 :: v_dual_cndmask_b32 v12, v8, v11
                                        ; implicit-def: $vgpr8_vgpr9
	v_cmp_ge_i32_e64 s1, v13, v39
	s_delay_alu instid0(VALU_DEP_2) | instskip(NEXT) | instid1(VALU_DEP_2)
	v_cmp_lt_i32_e64 s2, v12, v38
	s_or_b32 s0, s1, s0
	s_delay_alu instid0(VALU_DEP_1) | instid1(SALU_CYCLE_1)
	s_and_b32 s0, s2, s0
	s_delay_alu instid0(SALU_CYCLE_1) | instskip(NEXT) | instid1(SALU_CYCLE_1)
	s_xor_b32 s1, s0, -1
	s_and_saveexec_b32 s2, s1
	s_delay_alu instid0(SALU_CYCLE_1)
	s_xor_b32 s1, exec_lo, s2
	s_cbranch_execz .LBB176_42
; %bb.41:
	v_lshl_add_u32 v8, v13, 3, v33
	ds_load_b64 v[8:9], v8 offset:8
.LBB176_42:
	s_or_saveexec_b32 s1, s1
	v_dual_mov_b32 v11, v7 :: v_dual_mov_b32 v10, v6
	s_xor_b32 exec_lo, exec_lo, s1
	s_cbranch_execz .LBB176_44
; %bb.43:
	s_waitcnt lgkmcnt(0)
	v_lshl_add_u32 v8, v12, 3, v33
	ds_load_b64 v[10:11], v8 offset:8
	v_dual_mov_b32 v9, v5 :: v_dual_mov_b32 v8, v4
.LBB176_44:
	s_or_b32 exec_lo, exec_lo, s1
	v_add_nc_u32_e32 v14, 1, v13
	v_add_nc_u32_e32 v15, 1, v12
	s_waitcnt lgkmcnt(0)
	v_cmp_lt_i64_e64 s1, v[10:11], v[8:9]
	s_delay_alu instid0(VALU_DEP_3) | instskip(NEXT) | instid1(VALU_DEP_3)
	v_cndmask_b32_e64 v17, v14, v13, s0
	v_cndmask_b32_e64 v16, v12, v15, s0
                                        ; implicit-def: $vgpr12_vgpr13
	s_delay_alu instid0(VALU_DEP_2) | instskip(NEXT) | instid1(VALU_DEP_2)
	v_cmp_ge_i32_e64 s2, v17, v39
	v_cmp_lt_i32_e64 s3, v16, v38
	s_delay_alu instid0(VALU_DEP_2)
	s_or_b32 s1, s2, s1
	s_delay_alu instid0(VALU_DEP_1) | instid1(SALU_CYCLE_1)
	s_and_b32 s1, s3, s1
	s_delay_alu instid0(SALU_CYCLE_1) | instskip(NEXT) | instid1(SALU_CYCLE_1)
	s_xor_b32 s2, s1, -1
	s_and_saveexec_b32 s3, s2
	s_delay_alu instid0(SALU_CYCLE_1)
	s_xor_b32 s2, exec_lo, s3
	s_cbranch_execz .LBB176_46
; %bb.45:
	v_lshl_add_u32 v12, v17, 3, v33
	ds_load_b64 v[12:13], v12 offset:8
.LBB176_46:
	s_or_saveexec_b32 s2, s2
	v_dual_mov_b32 v15, v11 :: v_dual_mov_b32 v14, v10
	s_xor_b32 exec_lo, exec_lo, s2
	s_cbranch_execz .LBB176_48
; %bb.47:
	s_waitcnt lgkmcnt(0)
	v_lshl_add_u32 v12, v16, 3, v33
	ds_load_b64 v[14:15], v12 offset:8
	v_dual_mov_b32 v13, v9 :: v_dual_mov_b32 v12, v8
.LBB176_48:
	s_or_b32 exec_lo, exec_lo, s2
	v_add_nc_u32_e32 v18, 1, v17
	v_add_nc_u32_e32 v19, 1, v16
	s_waitcnt lgkmcnt(0)
	v_cmp_lt_i64_e64 s2, v[14:15], v[12:13]
	s_delay_alu instid0(VALU_DEP_3) | instskip(NEXT) | instid1(VALU_DEP_3)
	v_cndmask_b32_e64 v21, v18, v17, s1
	v_cndmask_b32_e64 v20, v16, v19, s1
                                        ; implicit-def: $vgpr16_vgpr17
	s_delay_alu instid0(VALU_DEP_2) | instskip(NEXT) | instid1(VALU_DEP_2)
	v_cmp_ge_i32_e64 s3, v21, v39
	v_cmp_lt_i32_e64 s4, v20, v38
	s_delay_alu instid0(VALU_DEP_2)
	s_or_b32 s2, s3, s2
	s_delay_alu instid0(VALU_DEP_1) | instid1(SALU_CYCLE_1)
	s_and_b32 s2, s4, s2
	s_delay_alu instid0(SALU_CYCLE_1) | instskip(NEXT) | instid1(SALU_CYCLE_1)
	s_xor_b32 s3, s2, -1
	s_and_saveexec_b32 s4, s3
	s_delay_alu instid0(SALU_CYCLE_1)
	s_xor_b32 s3, exec_lo, s4
	s_cbranch_execz .LBB176_50
; %bb.49:
	v_lshl_add_u32 v16, v21, 3, v33
	ds_load_b64 v[16:17], v16 offset:8
.LBB176_50:
	s_or_saveexec_b32 s3, s3
	v_dual_mov_b32 v19, v15 :: v_dual_mov_b32 v18, v14
	s_xor_b32 exec_lo, exec_lo, s3
	s_cbranch_execz .LBB176_52
; %bb.51:
	s_waitcnt lgkmcnt(0)
	v_lshl_add_u32 v16, v20, 3, v33
	ds_load_b64 v[18:19], v16 offset:8
	v_dual_mov_b32 v17, v13 :: v_dual_mov_b32 v16, v12
.LBB176_52:
	s_or_b32 exec_lo, exec_lo, s3
	v_add_nc_u32_e32 v22, 1, v21
	v_add_nc_u32_e32 v23, 1, v20
	s_waitcnt lgkmcnt(0)
	v_cmp_lt_i64_e64 s3, v[18:19], v[16:17]
	s_delay_alu instid0(VALU_DEP_3) | instskip(NEXT) | instid1(VALU_DEP_3)
	v_cndmask_b32_e64 v25, v22, v21, s2
	v_cndmask_b32_e64 v24, v20, v23, s2
                                        ; implicit-def: $vgpr20_vgpr21
	s_delay_alu instid0(VALU_DEP_2) | instskip(NEXT) | instid1(VALU_DEP_2)
	v_cmp_ge_i32_e64 s4, v25, v39
	v_cmp_lt_i32_e64 s5, v24, v38
	s_delay_alu instid0(VALU_DEP_2)
	s_or_b32 s3, s4, s3
	s_delay_alu instid0(VALU_DEP_1) | instid1(SALU_CYCLE_1)
	s_and_b32 s3, s5, s3
	s_delay_alu instid0(SALU_CYCLE_1) | instskip(NEXT) | instid1(SALU_CYCLE_1)
	s_xor_b32 s4, s3, -1
	s_and_saveexec_b32 s5, s4
	s_delay_alu instid0(SALU_CYCLE_1)
	s_xor_b32 s4, exec_lo, s5
	s_cbranch_execz .LBB176_54
; %bb.53:
	v_lshl_add_u32 v20, v25, 3, v33
	ds_load_b64 v[20:21], v20 offset:8
.LBB176_54:
	s_or_saveexec_b32 s4, s4
	v_dual_mov_b32 v23, v19 :: v_dual_mov_b32 v22, v18
	s_xor_b32 exec_lo, exec_lo, s4
	s_cbranch_execz .LBB176_56
; %bb.55:
	s_waitcnt lgkmcnt(0)
	v_lshl_add_u32 v20, v24, 3, v33
	ds_load_b64 v[22:23], v20 offset:8
	v_dual_mov_b32 v21, v17 :: v_dual_mov_b32 v20, v16
.LBB176_56:
	s_or_b32 exec_lo, exec_lo, s4
	v_add_nc_u32_e32 v26, 1, v25
	v_add_nc_u32_e32 v27, 1, v24
	s_waitcnt lgkmcnt(0)
	v_cmp_lt_i64_e64 s4, v[22:23], v[20:21]
                                        ; implicit-def: $vgpr28_vgpr29
	s_delay_alu instid0(VALU_DEP_3) | instskip(NEXT) | instid1(VALU_DEP_3)
	v_cndmask_b32_e64 v25, v26, v25, s3
	v_cndmask_b32_e64 v24, v24, v27, s3
	s_delay_alu instid0(VALU_DEP_2) | instskip(NEXT) | instid1(VALU_DEP_2)
	v_cmp_ge_i32_e64 s5, v25, v39
	v_cmp_lt_i32_e64 s6, v24, v38
	s_delay_alu instid0(VALU_DEP_2)
	s_or_b32 s4, s5, s4
	s_delay_alu instid0(VALU_DEP_1) | instid1(SALU_CYCLE_1)
	s_and_b32 s4, s6, s4
	s_delay_alu instid0(SALU_CYCLE_1) | instskip(NEXT) | instid1(SALU_CYCLE_1)
	s_xor_b32 s5, s4, -1
	s_and_saveexec_b32 s6, s5
	s_delay_alu instid0(SALU_CYCLE_1)
	s_xor_b32 s5, exec_lo, s6
	s_cbranch_execz .LBB176_58
; %bb.57:
	v_lshl_add_u32 v26, v25, 3, v33
	ds_load_b64 v[28:29], v26 offset:8
.LBB176_58:
	s_or_saveexec_b32 s5, s5
	v_dual_mov_b32 v31, v23 :: v_dual_mov_b32 v30, v22
	s_xor_b32 exec_lo, exec_lo, s5
	s_cbranch_execz .LBB176_60
; %bb.59:
	v_lshl_add_u32 v26, v24, 3, v33
	s_waitcnt lgkmcnt(0)
	v_dual_mov_b32 v29, v21 :: v_dual_mov_b32 v28, v20
	ds_load_b64 v[30:31], v26 offset:8
.LBB176_60:
	s_or_b32 exec_lo, exec_lo, s5
	v_add_nc_u32_e32 v26, 1, v25
	v_add_nc_u32_e32 v27, 1, v24
	s_waitcnt lgkmcnt(0)
	v_cmp_lt_i64_e64 s5, v[30:31], v[28:29]
	s_delay_alu instid0(VALU_DEP_3) | instskip(NEXT) | instid1(VALU_DEP_3)
	v_cndmask_b32_e64 v36, v26, v25, s4
	v_cndmask_b32_e64 v37, v24, v27, s4
                                        ; implicit-def: $vgpr24_vgpr25
	s_delay_alu instid0(VALU_DEP_2) | instskip(NEXT) | instid1(VALU_DEP_2)
	v_cmp_ge_i32_e64 s6, v36, v39
	v_cmp_lt_i32_e64 s7, v37, v38
	s_delay_alu instid0(VALU_DEP_2)
	s_or_b32 s5, s6, s5
	s_delay_alu instid0(VALU_DEP_1) | instid1(SALU_CYCLE_1)
	s_and_b32 s5, s7, s5
	s_delay_alu instid0(SALU_CYCLE_1) | instskip(NEXT) | instid1(SALU_CYCLE_1)
	s_xor_b32 s6, s5, -1
	s_and_saveexec_b32 s7, s6
	s_delay_alu instid0(SALU_CYCLE_1)
	s_xor_b32 s6, exec_lo, s7
	s_cbranch_execz .LBB176_62
; %bb.61:
	v_lshl_add_u32 v24, v36, 3, v33
	ds_load_b64 v[24:25], v24 offset:8
.LBB176_62:
	s_or_saveexec_b32 s6, s6
	v_dual_mov_b32 v26, v30 :: v_dual_mov_b32 v27, v31
	s_xor_b32 exec_lo, exec_lo, s6
	s_cbranch_execz .LBB176_64
; %bb.63:
	s_waitcnt lgkmcnt(0)
	v_lshl_add_u32 v24, v37, 3, v33
	ds_load_b64 v[26:27], v24 offset:8
	v_dual_mov_b32 v24, v28 :: v_dual_mov_b32 v25, v29
.LBB176_64:
	s_or_b32 exec_lo, exec_lo, s6
	v_add_nc_u32_e32 v41, 1, v36
	v_add_nc_u32_e32 v40, 1, v37
	v_cndmask_b32_e64 v29, v29, v31, s5
	v_cndmask_b32_e64 v12, v12, v14, s2
	v_cndmask_b32_e32 v14, v0, v2, vcc_lo
	v_cndmask_b32_e64 v31, v41, v36, s5
	v_cndmask_b32_e64 v28, v28, v30, s5
	;; [unrolled: 1-line block ×3, first 2 shown]
	v_cndmask_b32_e32 v15, v1, v3, vcc_lo
	v_cndmask_b32_e64 v30, v37, v40, s5
	v_cndmask_b32_e64 v7, v5, v7, s0
	;; [unrolled: 1-line block ×3, first 2 shown]
	s_waitcnt lgkmcnt(0)
	v_cmp_lt_i64_e64 s0, v[26:27], v[24:25]
	v_cndmask_b32_e64 v11, v9, v11, s1
	v_cndmask_b32_e64 v10, v8, v10, s1
	v_cmp_ge_i32_e64 s1, v31, v39
	v_and_b32_e32 v9, 0xc0, v34
	v_cmp_lt_i32_e64 s2, v30, v38
	v_cndmask_b32_e64 v17, v17, v19, s3
	v_and_b32_e32 v1, 56, v34
	s_or_b32 s0, s1, s0
	v_or_b32_e32 v37, 32, v9
	s_and_b32 vcc_lo, s2, s0
	v_dual_cndmask_b32 v19, v25, v27 :: v_dual_add_nc_u32 v36, 64, v9
	v_cndmask_b32_e64 v16, v16, v18, s3
	v_cndmask_b32_e32 v18, v24, v26, vcc_lo
	v_cndmask_b32_e64 v21, v21, v23, s4
	s_delay_alu instid0(VALU_DEP_4) | instskip(SKIP_3) | instid1(VALU_DEP_2)
	v_sub_nc_u32_e32 v3, v36, v37
	v_cndmask_b32_e64 v20, v20, v22, s4
	s_mov_b32 s1, 0
	s_mov_b32 s0, exec_lo
	v_sub_nc_u32_e32 v0, v1, v3
	v_cmp_ge_i32_e32 vcc_lo, v1, v3
	; wave barrier
	ds_store_2addr_b64 v35, v[14:15], v[6:7] offset1:1
	ds_store_2addr_b64 v35, v[10:11], v[12:13] offset0:2 offset1:3
	ds_store_2addr_b64 v35, v[16:17], v[20:21] offset0:4 offset1:5
	;; [unrolled: 1-line block ×3, first 2 shown]
	v_cndmask_b32_e32 v4, 0, v0, vcc_lo
	v_sub_nc_u32_e32 v2, v37, v9
	v_lshl_add_u32 v0, v9, 3, v33
	; wave barrier
	s_delay_alu instid0(VALU_DEP_2) | instskip(NEXT) | instid1(VALU_DEP_1)
	v_min_i32_e32 v2, v1, v2
	v_cmpx_lt_i32_e64 v4, v2
	s_cbranch_execz .LBB176_68
; %bb.65:
	v_lshlrev_b32_e32 v3, 3, v37
	v_lshlrev_b32_e32 v5, 3, v1
	s_delay_alu instid0(VALU_DEP_1)
	v_add3_u32 v3, v33, v3, v5
	.p2align	6
.LBB176_66:                             ; =>This Inner Loop Header: Depth=1
	v_sub_nc_u32_e32 v5, v2, v4
	s_delay_alu instid0(VALU_DEP_1) | instskip(NEXT) | instid1(VALU_DEP_1)
	v_lshrrev_b32_e32 v6, 31, v5
	v_add_nc_u32_e32 v5, v5, v6
	s_delay_alu instid0(VALU_DEP_1) | instskip(NEXT) | instid1(VALU_DEP_1)
	v_ashrrev_i32_e32 v5, 1, v5
	v_add_nc_u32_e32 v10, v5, v4
	s_delay_alu instid0(VALU_DEP_1) | instskip(SKIP_1) | instid1(VALU_DEP_2)
	v_not_b32_e32 v5, v10
	v_lshl_add_u32 v6, v10, 3, v0
	v_lshl_add_u32 v7, v5, 3, v3
	ds_load_b64 v[5:6], v6
	ds_load_b64 v[7:8], v7
	s_waitcnt lgkmcnt(0)
	v_cmp_lt_i64_e32 vcc_lo, v[7:8], v[5:6]
	v_add_nc_u32_e32 v5, 1, v10
	v_cndmask_b32_e32 v2, v2, v10, vcc_lo
	s_delay_alu instid0(VALU_DEP_2) | instskip(NEXT) | instid1(VALU_DEP_1)
	v_cndmask_b32_e32 v4, v5, v4, vcc_lo
	v_cmp_ge_i32_e32 vcc_lo, v4, v2
	s_or_b32 s1, vcc_lo, s1
	s_delay_alu instid0(SALU_CYCLE_1)
	s_and_not1_b32 exec_lo, exec_lo, s1
	s_cbranch_execnz .LBB176_66
; %bb.67:
	s_or_b32 exec_lo, exec_lo, s1
.LBB176_68:
	s_delay_alu instid0(SALU_CYCLE_1) | instskip(SKIP_3) | instid1(VALU_DEP_3)
	s_or_b32 exec_lo, exec_lo, s0
	v_add_nc_u32_e32 v1, v37, v1
	v_lshl_add_u32 v6, v4, 3, v0
	v_add_nc_u32_e32 v9, v4, v9
	v_sub_nc_u32_e32 v8, v1, v4
                                        ; implicit-def: $vgpr4_vgpr5
	s_delay_alu instid0(VALU_DEP_2) | instskip(NEXT) | instid1(VALU_DEP_2)
	v_cmp_le_i32_e64 s0, v37, v9
	v_lshl_add_u32 v10, v8, 3, v33
	v_cmp_gt_i32_e64 s1, v36, v8
	ds_load_b64 v[0:1], v6
	ds_load_b64 v[2:3], v10
	s_waitcnt lgkmcnt(0)
	v_cmp_lt_i64_e32 vcc_lo, v[2:3], v[0:1]
	s_or_b32 s0, s0, vcc_lo
	s_delay_alu instid0(SALU_CYCLE_1) | instskip(NEXT) | instid1(SALU_CYCLE_1)
	s_and_b32 vcc_lo, s1, s0
	s_xor_b32 s0, vcc_lo, -1
	s_delay_alu instid0(SALU_CYCLE_1) | instskip(NEXT) | instid1(SALU_CYCLE_1)
	s_and_saveexec_b32 s1, s0
	s_xor_b32 s0, exec_lo, s1
	s_cbranch_execz .LBB176_70
; %bb.69:
	ds_load_b64 v[4:5], v6 offset:8
                                        ; implicit-def: $vgpr10
.LBB176_70:
	s_or_saveexec_b32 s0, s0
	v_dual_mov_b32 v7, v3 :: v_dual_mov_b32 v6, v2
	s_xor_b32 exec_lo, exec_lo, s0
	s_cbranch_execz .LBB176_72
; %bb.71:
	ds_load_b64 v[6:7], v10 offset:8
	s_waitcnt lgkmcnt(1)
	v_dual_mov_b32 v5, v1 :: v_dual_mov_b32 v4, v0
.LBB176_72:
	s_or_b32 exec_lo, exec_lo, s0
	v_add_nc_u32_e32 v10, 1, v9
	v_add_nc_u32_e32 v11, 1, v8
	s_waitcnt lgkmcnt(0)
	v_cmp_lt_i64_e64 s0, v[6:7], v[4:5]
	s_delay_alu instid0(VALU_DEP_2) | instskip(NEXT) | instid1(VALU_DEP_1)
	v_dual_cndmask_b32 v13, v10, v9 :: v_dual_cndmask_b32 v12, v8, v11
                                        ; implicit-def: $vgpr8_vgpr9
	v_cmp_ge_i32_e64 s1, v13, v37
	s_delay_alu instid0(VALU_DEP_2) | instskip(NEXT) | instid1(VALU_DEP_2)
	v_cmp_lt_i32_e64 s2, v12, v36
	s_or_b32 s0, s1, s0
	s_delay_alu instid0(VALU_DEP_1) | instid1(SALU_CYCLE_1)
	s_and_b32 s0, s2, s0
	s_delay_alu instid0(SALU_CYCLE_1) | instskip(NEXT) | instid1(SALU_CYCLE_1)
	s_xor_b32 s1, s0, -1
	s_and_saveexec_b32 s2, s1
	s_delay_alu instid0(SALU_CYCLE_1)
	s_xor_b32 s1, exec_lo, s2
	s_cbranch_execz .LBB176_74
; %bb.73:
	v_lshl_add_u32 v8, v13, 3, v33
	ds_load_b64 v[8:9], v8 offset:8
.LBB176_74:
	s_or_saveexec_b32 s1, s1
	v_dual_mov_b32 v11, v7 :: v_dual_mov_b32 v10, v6
	s_xor_b32 exec_lo, exec_lo, s1
	s_cbranch_execz .LBB176_76
; %bb.75:
	s_waitcnt lgkmcnt(0)
	v_lshl_add_u32 v8, v12, 3, v33
	ds_load_b64 v[10:11], v8 offset:8
	v_dual_mov_b32 v9, v5 :: v_dual_mov_b32 v8, v4
.LBB176_76:
	s_or_b32 exec_lo, exec_lo, s1
	v_add_nc_u32_e32 v14, 1, v13
	v_add_nc_u32_e32 v15, 1, v12
	s_waitcnt lgkmcnt(0)
	v_cmp_lt_i64_e64 s1, v[10:11], v[8:9]
	s_delay_alu instid0(VALU_DEP_3) | instskip(NEXT) | instid1(VALU_DEP_3)
	v_cndmask_b32_e64 v17, v14, v13, s0
	v_cndmask_b32_e64 v16, v12, v15, s0
                                        ; implicit-def: $vgpr12_vgpr13
	s_delay_alu instid0(VALU_DEP_2) | instskip(NEXT) | instid1(VALU_DEP_2)
	v_cmp_ge_i32_e64 s2, v17, v37
	v_cmp_lt_i32_e64 s3, v16, v36
	s_delay_alu instid0(VALU_DEP_2)
	s_or_b32 s1, s2, s1
	s_delay_alu instid0(VALU_DEP_1) | instid1(SALU_CYCLE_1)
	s_and_b32 s1, s3, s1
	s_delay_alu instid0(SALU_CYCLE_1) | instskip(NEXT) | instid1(SALU_CYCLE_1)
	s_xor_b32 s2, s1, -1
	s_and_saveexec_b32 s3, s2
	s_delay_alu instid0(SALU_CYCLE_1)
	s_xor_b32 s2, exec_lo, s3
	s_cbranch_execz .LBB176_78
; %bb.77:
	v_lshl_add_u32 v12, v17, 3, v33
	ds_load_b64 v[12:13], v12 offset:8
.LBB176_78:
	s_or_saveexec_b32 s2, s2
	v_dual_mov_b32 v15, v11 :: v_dual_mov_b32 v14, v10
	s_xor_b32 exec_lo, exec_lo, s2
	s_cbranch_execz .LBB176_80
; %bb.79:
	s_waitcnt lgkmcnt(0)
	v_lshl_add_u32 v12, v16, 3, v33
	ds_load_b64 v[14:15], v12 offset:8
	v_dual_mov_b32 v13, v9 :: v_dual_mov_b32 v12, v8
.LBB176_80:
	s_or_b32 exec_lo, exec_lo, s2
	v_add_nc_u32_e32 v18, 1, v17
	v_add_nc_u32_e32 v19, 1, v16
	s_waitcnt lgkmcnt(0)
	v_cmp_lt_i64_e64 s2, v[14:15], v[12:13]
	s_delay_alu instid0(VALU_DEP_3) | instskip(NEXT) | instid1(VALU_DEP_3)
	v_cndmask_b32_e64 v21, v18, v17, s1
	v_cndmask_b32_e64 v20, v16, v19, s1
                                        ; implicit-def: $vgpr16_vgpr17
	s_delay_alu instid0(VALU_DEP_2) | instskip(NEXT) | instid1(VALU_DEP_2)
	v_cmp_ge_i32_e64 s3, v21, v37
	v_cmp_lt_i32_e64 s4, v20, v36
	s_delay_alu instid0(VALU_DEP_2)
	s_or_b32 s2, s3, s2
	s_delay_alu instid0(VALU_DEP_1) | instid1(SALU_CYCLE_1)
	s_and_b32 s2, s4, s2
	s_delay_alu instid0(SALU_CYCLE_1) | instskip(NEXT) | instid1(SALU_CYCLE_1)
	s_xor_b32 s3, s2, -1
	s_and_saveexec_b32 s4, s3
	s_delay_alu instid0(SALU_CYCLE_1)
	s_xor_b32 s3, exec_lo, s4
	s_cbranch_execz .LBB176_82
; %bb.81:
	v_lshl_add_u32 v16, v21, 3, v33
	ds_load_b64 v[16:17], v16 offset:8
.LBB176_82:
	s_or_saveexec_b32 s3, s3
	v_dual_mov_b32 v19, v15 :: v_dual_mov_b32 v18, v14
	s_xor_b32 exec_lo, exec_lo, s3
	s_cbranch_execz .LBB176_84
; %bb.83:
	s_waitcnt lgkmcnt(0)
	v_lshl_add_u32 v16, v20, 3, v33
	ds_load_b64 v[18:19], v16 offset:8
	v_dual_mov_b32 v17, v13 :: v_dual_mov_b32 v16, v12
.LBB176_84:
	s_or_b32 exec_lo, exec_lo, s3
	v_add_nc_u32_e32 v22, 1, v21
	v_add_nc_u32_e32 v23, 1, v20
	s_waitcnt lgkmcnt(0)
	v_cmp_lt_i64_e64 s3, v[18:19], v[16:17]
	s_delay_alu instid0(VALU_DEP_3) | instskip(NEXT) | instid1(VALU_DEP_3)
	v_cndmask_b32_e64 v25, v22, v21, s2
	v_cndmask_b32_e64 v24, v20, v23, s2
                                        ; implicit-def: $vgpr20_vgpr21
	s_delay_alu instid0(VALU_DEP_2) | instskip(NEXT) | instid1(VALU_DEP_2)
	v_cmp_ge_i32_e64 s4, v25, v37
	v_cmp_lt_i32_e64 s5, v24, v36
	s_delay_alu instid0(VALU_DEP_2)
	s_or_b32 s3, s4, s3
	s_delay_alu instid0(VALU_DEP_1) | instid1(SALU_CYCLE_1)
	s_and_b32 s3, s5, s3
	s_delay_alu instid0(SALU_CYCLE_1) | instskip(NEXT) | instid1(SALU_CYCLE_1)
	s_xor_b32 s4, s3, -1
	s_and_saveexec_b32 s5, s4
	s_delay_alu instid0(SALU_CYCLE_1)
	s_xor_b32 s4, exec_lo, s5
	s_cbranch_execz .LBB176_86
; %bb.85:
	v_lshl_add_u32 v20, v25, 3, v33
	ds_load_b64 v[20:21], v20 offset:8
.LBB176_86:
	s_or_saveexec_b32 s4, s4
	v_dual_mov_b32 v23, v19 :: v_dual_mov_b32 v22, v18
	s_xor_b32 exec_lo, exec_lo, s4
	s_cbranch_execz .LBB176_88
; %bb.87:
	s_waitcnt lgkmcnt(0)
	v_lshl_add_u32 v20, v24, 3, v33
	ds_load_b64 v[22:23], v20 offset:8
	v_dual_mov_b32 v21, v17 :: v_dual_mov_b32 v20, v16
.LBB176_88:
	s_or_b32 exec_lo, exec_lo, s4
	v_add_nc_u32_e32 v26, 1, v25
	v_add_nc_u32_e32 v27, 1, v24
	s_waitcnt lgkmcnt(0)
	v_cmp_lt_i64_e64 s4, v[22:23], v[20:21]
                                        ; implicit-def: $vgpr28_vgpr29
	s_delay_alu instid0(VALU_DEP_3) | instskip(NEXT) | instid1(VALU_DEP_3)
	v_cndmask_b32_e64 v25, v26, v25, s3
	v_cndmask_b32_e64 v24, v24, v27, s3
	s_delay_alu instid0(VALU_DEP_2) | instskip(NEXT) | instid1(VALU_DEP_2)
	v_cmp_ge_i32_e64 s5, v25, v37
	v_cmp_lt_i32_e64 s6, v24, v36
	s_delay_alu instid0(VALU_DEP_2)
	s_or_b32 s4, s5, s4
	s_delay_alu instid0(VALU_DEP_1) | instid1(SALU_CYCLE_1)
	s_and_b32 s4, s6, s4
	s_delay_alu instid0(SALU_CYCLE_1) | instskip(NEXT) | instid1(SALU_CYCLE_1)
	s_xor_b32 s5, s4, -1
	s_and_saveexec_b32 s6, s5
	s_delay_alu instid0(SALU_CYCLE_1)
	s_xor_b32 s5, exec_lo, s6
	s_cbranch_execz .LBB176_90
; %bb.89:
	v_lshl_add_u32 v26, v25, 3, v33
	ds_load_b64 v[28:29], v26 offset:8
.LBB176_90:
	s_or_saveexec_b32 s5, s5
	v_dual_mov_b32 v31, v23 :: v_dual_mov_b32 v30, v22
	s_xor_b32 exec_lo, exec_lo, s5
	s_cbranch_execz .LBB176_92
; %bb.91:
	v_lshl_add_u32 v26, v24, 3, v33
	s_waitcnt lgkmcnt(0)
	v_dual_mov_b32 v29, v21 :: v_dual_mov_b32 v28, v20
	ds_load_b64 v[30:31], v26 offset:8
.LBB176_92:
	s_or_b32 exec_lo, exec_lo, s5
	v_add_nc_u32_e32 v26, 1, v25
	v_add_nc_u32_e32 v27, 1, v24
	s_waitcnt lgkmcnt(0)
	v_cmp_lt_i64_e64 s5, v[30:31], v[28:29]
	s_delay_alu instid0(VALU_DEP_3) | instskip(NEXT) | instid1(VALU_DEP_3)
	v_cndmask_b32_e64 v38, v26, v25, s4
	v_cndmask_b32_e64 v39, v24, v27, s4
                                        ; implicit-def: $vgpr24_vgpr25
	s_delay_alu instid0(VALU_DEP_2) | instskip(NEXT) | instid1(VALU_DEP_2)
	v_cmp_ge_i32_e64 s6, v38, v37
	v_cmp_lt_i32_e64 s7, v39, v36
	s_delay_alu instid0(VALU_DEP_2)
	s_or_b32 s5, s6, s5
	s_delay_alu instid0(VALU_DEP_1) | instid1(SALU_CYCLE_1)
	s_and_b32 s5, s7, s5
	s_delay_alu instid0(SALU_CYCLE_1) | instskip(NEXT) | instid1(SALU_CYCLE_1)
	s_xor_b32 s6, s5, -1
	s_and_saveexec_b32 s7, s6
	s_delay_alu instid0(SALU_CYCLE_1)
	s_xor_b32 s6, exec_lo, s7
	s_cbranch_execz .LBB176_94
; %bb.93:
	v_lshl_add_u32 v24, v38, 3, v33
	ds_load_b64 v[24:25], v24 offset:8
.LBB176_94:
	s_or_saveexec_b32 s6, s6
	v_dual_mov_b32 v26, v30 :: v_dual_mov_b32 v27, v31
	s_xor_b32 exec_lo, exec_lo, s6
	s_cbranch_execz .LBB176_96
; %bb.95:
	s_waitcnt lgkmcnt(0)
	v_lshl_add_u32 v24, v39, 3, v33
	ds_load_b64 v[26:27], v24 offset:8
	v_dual_mov_b32 v24, v28 :: v_dual_mov_b32 v25, v29
.LBB176_96:
	s_or_b32 exec_lo, exec_lo, s6
	v_add_nc_u32_e32 v41, 1, v38
	v_add_nc_u32_e32 v40, 1, v39
	v_cndmask_b32_e64 v11, v9, v11, s1
	v_and_b32_e32 v9, 0x80, v34
	v_cndmask_b32_e64 v29, v29, v31, s5
	v_cndmask_b32_e64 v31, v41, v38, s5
	;; [unrolled: 1-line block ×6, first 2 shown]
	s_waitcnt lgkmcnt(0)
	v_cmp_lt_i64_e64 s0, v[26:27], v[24:25]
	v_or_b32_e32 v39, 64, v9
	v_add_nc_u32_e32 v38, 0x80, v9
	v_cndmask_b32_e64 v10, v8, v10, s1
	v_cmp_ge_i32_e64 s1, v31, v37
	v_cndmask_b32_e64 v13, v13, v15, s2
	v_cndmask_b32_e32 v15, v1, v3, vcc_lo
	v_cndmask_b32_e64 v12, v12, v14, s2
	v_cmp_lt_i32_e64 s2, v30, v36
	v_and_b32_e32 v1, 0x78, v34
	v_sub_nc_u32_e32 v3, v38, v39
	s_or_b32 s0, s1, s0
	v_cndmask_b32_e32 v14, v0, v2, vcc_lo
	s_and_b32 vcc_lo, s2, s0
	v_cndmask_b32_e64 v17, v17, v19, s3
	v_cndmask_b32_e32 v19, v25, v27, vcc_lo
	v_cndmask_b32_e64 v16, v16, v18, s3
	v_sub_nc_u32_e32 v0, v1, v3
	v_sub_nc_u32_e32 v2, v39, v9
	v_cndmask_b32_e32 v18, v24, v26, vcc_lo
	v_cmp_ge_i32_e32 vcc_lo, v1, v3
	v_cndmask_b32_e64 v21, v21, v23, s4
	v_cndmask_b32_e64 v20, v20, v22, s4
	v_min_i32_e32 v2, v1, v2
	s_mov_b32 s1, 0
	v_cndmask_b32_e32 v4, 0, v0, vcc_lo
	v_lshl_add_u32 v0, v9, 3, v33
	s_mov_b32 s0, exec_lo
	; wave barrier
	ds_store_2addr_b64 v35, v[14:15], v[6:7] offset1:1
	ds_store_2addr_b64 v35, v[10:11], v[12:13] offset0:2 offset1:3
	ds_store_2addr_b64 v35, v[16:17], v[20:21] offset0:4 offset1:5
	;; [unrolled: 1-line block ×3, first 2 shown]
	; wave barrier
	v_cmpx_lt_i32_e64 v4, v2
	s_cbranch_execz .LBB176_100
; %bb.97:
	v_lshlrev_b32_e32 v3, 3, v39
	v_lshlrev_b32_e32 v5, 3, v1
	s_delay_alu instid0(VALU_DEP_1)
	v_add3_u32 v3, v33, v3, v5
	.p2align	6
.LBB176_98:                             ; =>This Inner Loop Header: Depth=1
	v_sub_nc_u32_e32 v5, v2, v4
	s_delay_alu instid0(VALU_DEP_1) | instskip(NEXT) | instid1(VALU_DEP_1)
	v_lshrrev_b32_e32 v6, 31, v5
	v_add_nc_u32_e32 v5, v5, v6
	s_delay_alu instid0(VALU_DEP_1) | instskip(NEXT) | instid1(VALU_DEP_1)
	v_ashrrev_i32_e32 v5, 1, v5
	v_add_nc_u32_e32 v10, v5, v4
	s_delay_alu instid0(VALU_DEP_1) | instskip(SKIP_1) | instid1(VALU_DEP_2)
	v_not_b32_e32 v5, v10
	v_lshl_add_u32 v6, v10, 3, v0
	v_lshl_add_u32 v7, v5, 3, v3
	ds_load_b64 v[5:6], v6
	ds_load_b64 v[7:8], v7
	s_waitcnt lgkmcnt(0)
	v_cmp_lt_i64_e32 vcc_lo, v[7:8], v[5:6]
	v_add_nc_u32_e32 v5, 1, v10
	v_cndmask_b32_e32 v2, v2, v10, vcc_lo
	s_delay_alu instid0(VALU_DEP_2) | instskip(NEXT) | instid1(VALU_DEP_1)
	v_cndmask_b32_e32 v4, v5, v4, vcc_lo
	v_cmp_ge_i32_e32 vcc_lo, v4, v2
	s_or_b32 s1, vcc_lo, s1
	s_delay_alu instid0(SALU_CYCLE_1)
	s_and_not1_b32 exec_lo, exec_lo, s1
	s_cbranch_execnz .LBB176_98
; %bb.99:
	s_or_b32 exec_lo, exec_lo, s1
.LBB176_100:
	s_delay_alu instid0(SALU_CYCLE_1) | instskip(SKIP_3) | instid1(VALU_DEP_3)
	s_or_b32 exec_lo, exec_lo, s0
	v_add_nc_u32_e32 v1, v39, v1
	v_lshl_add_u32 v6, v4, 3, v0
	v_add_nc_u32_e32 v9, v4, v9
	v_sub_nc_u32_e32 v8, v1, v4
                                        ; implicit-def: $vgpr4_vgpr5
	s_delay_alu instid0(VALU_DEP_2) | instskip(NEXT) | instid1(VALU_DEP_2)
	v_cmp_le_i32_e64 s0, v39, v9
	v_lshl_add_u32 v10, v8, 3, v33
	v_cmp_gt_i32_e64 s1, v38, v8
	ds_load_b64 v[0:1], v6
	ds_load_b64 v[2:3], v10
	s_waitcnt lgkmcnt(0)
	v_cmp_lt_i64_e32 vcc_lo, v[2:3], v[0:1]
	s_or_b32 s0, s0, vcc_lo
	s_delay_alu instid0(SALU_CYCLE_1) | instskip(NEXT) | instid1(SALU_CYCLE_1)
	s_and_b32 vcc_lo, s1, s0
	s_xor_b32 s0, vcc_lo, -1
	s_delay_alu instid0(SALU_CYCLE_1) | instskip(NEXT) | instid1(SALU_CYCLE_1)
	s_and_saveexec_b32 s1, s0
	s_xor_b32 s0, exec_lo, s1
	s_cbranch_execz .LBB176_102
; %bb.101:
	ds_load_b64 v[4:5], v6 offset:8
                                        ; implicit-def: $vgpr10
.LBB176_102:
	s_or_saveexec_b32 s0, s0
	v_dual_mov_b32 v7, v3 :: v_dual_mov_b32 v6, v2
	s_xor_b32 exec_lo, exec_lo, s0
	s_cbranch_execz .LBB176_104
; %bb.103:
	ds_load_b64 v[6:7], v10 offset:8
	s_waitcnt lgkmcnt(1)
	v_dual_mov_b32 v5, v1 :: v_dual_mov_b32 v4, v0
.LBB176_104:
	s_or_b32 exec_lo, exec_lo, s0
	v_add_nc_u32_e32 v10, 1, v9
	v_add_nc_u32_e32 v11, 1, v8
	s_waitcnt lgkmcnt(0)
	v_cmp_lt_i64_e64 s0, v[6:7], v[4:5]
	s_delay_alu instid0(VALU_DEP_2) | instskip(NEXT) | instid1(VALU_DEP_1)
	v_dual_cndmask_b32 v13, v10, v9 :: v_dual_cndmask_b32 v12, v8, v11
                                        ; implicit-def: $vgpr8_vgpr9
	v_cmp_ge_i32_e64 s1, v13, v39
	s_delay_alu instid0(VALU_DEP_2) | instskip(NEXT) | instid1(VALU_DEP_2)
	v_cmp_lt_i32_e64 s2, v12, v38
	s_or_b32 s0, s1, s0
	s_delay_alu instid0(VALU_DEP_1) | instid1(SALU_CYCLE_1)
	s_and_b32 s0, s2, s0
	s_delay_alu instid0(SALU_CYCLE_1) | instskip(NEXT) | instid1(SALU_CYCLE_1)
	s_xor_b32 s1, s0, -1
	s_and_saveexec_b32 s2, s1
	s_delay_alu instid0(SALU_CYCLE_1)
	s_xor_b32 s1, exec_lo, s2
	s_cbranch_execz .LBB176_106
; %bb.105:
	v_lshl_add_u32 v8, v13, 3, v33
	ds_load_b64 v[8:9], v8 offset:8
.LBB176_106:
	s_or_saveexec_b32 s1, s1
	v_dual_mov_b32 v11, v7 :: v_dual_mov_b32 v10, v6
	s_xor_b32 exec_lo, exec_lo, s1
	s_cbranch_execz .LBB176_108
; %bb.107:
	s_waitcnt lgkmcnt(0)
	v_lshl_add_u32 v8, v12, 3, v33
	ds_load_b64 v[10:11], v8 offset:8
	v_dual_mov_b32 v9, v5 :: v_dual_mov_b32 v8, v4
.LBB176_108:
	s_or_b32 exec_lo, exec_lo, s1
	v_add_nc_u32_e32 v14, 1, v13
	v_add_nc_u32_e32 v15, 1, v12
	s_waitcnt lgkmcnt(0)
	v_cmp_lt_i64_e64 s1, v[10:11], v[8:9]
	s_delay_alu instid0(VALU_DEP_3) | instskip(NEXT) | instid1(VALU_DEP_3)
	v_cndmask_b32_e64 v17, v14, v13, s0
	v_cndmask_b32_e64 v16, v12, v15, s0
                                        ; implicit-def: $vgpr12_vgpr13
	s_delay_alu instid0(VALU_DEP_2) | instskip(NEXT) | instid1(VALU_DEP_2)
	v_cmp_ge_i32_e64 s2, v17, v39
	v_cmp_lt_i32_e64 s3, v16, v38
	s_delay_alu instid0(VALU_DEP_2)
	s_or_b32 s1, s2, s1
	s_delay_alu instid0(VALU_DEP_1) | instid1(SALU_CYCLE_1)
	s_and_b32 s1, s3, s1
	s_delay_alu instid0(SALU_CYCLE_1) | instskip(NEXT) | instid1(SALU_CYCLE_1)
	s_xor_b32 s2, s1, -1
	s_and_saveexec_b32 s3, s2
	s_delay_alu instid0(SALU_CYCLE_1)
	s_xor_b32 s2, exec_lo, s3
	s_cbranch_execz .LBB176_110
; %bb.109:
	v_lshl_add_u32 v12, v17, 3, v33
	ds_load_b64 v[12:13], v12 offset:8
.LBB176_110:
	s_or_saveexec_b32 s2, s2
	v_dual_mov_b32 v15, v11 :: v_dual_mov_b32 v14, v10
	s_xor_b32 exec_lo, exec_lo, s2
	s_cbranch_execz .LBB176_112
; %bb.111:
	s_waitcnt lgkmcnt(0)
	v_lshl_add_u32 v12, v16, 3, v33
	ds_load_b64 v[14:15], v12 offset:8
	v_dual_mov_b32 v13, v9 :: v_dual_mov_b32 v12, v8
.LBB176_112:
	s_or_b32 exec_lo, exec_lo, s2
	v_add_nc_u32_e32 v18, 1, v17
	v_add_nc_u32_e32 v19, 1, v16
	s_waitcnt lgkmcnt(0)
	v_cmp_lt_i64_e64 s2, v[14:15], v[12:13]
	s_delay_alu instid0(VALU_DEP_3) | instskip(NEXT) | instid1(VALU_DEP_3)
	v_cndmask_b32_e64 v21, v18, v17, s1
	v_cndmask_b32_e64 v20, v16, v19, s1
                                        ; implicit-def: $vgpr16_vgpr17
	s_delay_alu instid0(VALU_DEP_2) | instskip(NEXT) | instid1(VALU_DEP_2)
	v_cmp_ge_i32_e64 s3, v21, v39
	v_cmp_lt_i32_e64 s4, v20, v38
	s_delay_alu instid0(VALU_DEP_2)
	s_or_b32 s2, s3, s2
	s_delay_alu instid0(VALU_DEP_1) | instid1(SALU_CYCLE_1)
	s_and_b32 s2, s4, s2
	s_delay_alu instid0(SALU_CYCLE_1) | instskip(NEXT) | instid1(SALU_CYCLE_1)
	s_xor_b32 s3, s2, -1
	s_and_saveexec_b32 s4, s3
	s_delay_alu instid0(SALU_CYCLE_1)
	s_xor_b32 s3, exec_lo, s4
	s_cbranch_execz .LBB176_114
; %bb.113:
	v_lshl_add_u32 v16, v21, 3, v33
	ds_load_b64 v[16:17], v16 offset:8
.LBB176_114:
	s_or_saveexec_b32 s3, s3
	v_dual_mov_b32 v19, v15 :: v_dual_mov_b32 v18, v14
	s_xor_b32 exec_lo, exec_lo, s3
	s_cbranch_execz .LBB176_116
; %bb.115:
	s_waitcnt lgkmcnt(0)
	v_lshl_add_u32 v16, v20, 3, v33
	ds_load_b64 v[18:19], v16 offset:8
	v_dual_mov_b32 v17, v13 :: v_dual_mov_b32 v16, v12
.LBB176_116:
	s_or_b32 exec_lo, exec_lo, s3
	v_add_nc_u32_e32 v22, 1, v21
	v_add_nc_u32_e32 v23, 1, v20
	s_waitcnt lgkmcnt(0)
	v_cmp_lt_i64_e64 s3, v[18:19], v[16:17]
	s_delay_alu instid0(VALU_DEP_3) | instskip(NEXT) | instid1(VALU_DEP_3)
	v_cndmask_b32_e64 v25, v22, v21, s2
	v_cndmask_b32_e64 v24, v20, v23, s2
                                        ; implicit-def: $vgpr20_vgpr21
	s_delay_alu instid0(VALU_DEP_2) | instskip(NEXT) | instid1(VALU_DEP_2)
	v_cmp_ge_i32_e64 s4, v25, v39
	v_cmp_lt_i32_e64 s5, v24, v38
	s_delay_alu instid0(VALU_DEP_2)
	s_or_b32 s3, s4, s3
	s_delay_alu instid0(VALU_DEP_1) | instid1(SALU_CYCLE_1)
	s_and_b32 s3, s5, s3
	s_delay_alu instid0(SALU_CYCLE_1) | instskip(NEXT) | instid1(SALU_CYCLE_1)
	s_xor_b32 s4, s3, -1
	s_and_saveexec_b32 s5, s4
	s_delay_alu instid0(SALU_CYCLE_1)
	s_xor_b32 s4, exec_lo, s5
	s_cbranch_execz .LBB176_118
; %bb.117:
	v_lshl_add_u32 v20, v25, 3, v33
	ds_load_b64 v[20:21], v20 offset:8
.LBB176_118:
	s_or_saveexec_b32 s4, s4
	v_dual_mov_b32 v23, v19 :: v_dual_mov_b32 v22, v18
	s_xor_b32 exec_lo, exec_lo, s4
	s_cbranch_execz .LBB176_120
; %bb.119:
	s_waitcnt lgkmcnt(0)
	v_lshl_add_u32 v20, v24, 3, v33
	ds_load_b64 v[22:23], v20 offset:8
	v_dual_mov_b32 v21, v17 :: v_dual_mov_b32 v20, v16
.LBB176_120:
	s_or_b32 exec_lo, exec_lo, s4
	v_add_nc_u32_e32 v26, 1, v25
	v_add_nc_u32_e32 v27, 1, v24
	s_waitcnt lgkmcnt(0)
	v_cmp_lt_i64_e64 s4, v[22:23], v[20:21]
	s_delay_alu instid0(VALU_DEP_3) | instskip(NEXT) | instid1(VALU_DEP_3)
	v_cndmask_b32_e64 v25, v26, v25, s3
	v_cndmask_b32_e64 v24, v24, v27, s3
                                        ; implicit-def: $vgpr26_vgpr27
	s_delay_alu instid0(VALU_DEP_2) | instskip(NEXT) | instid1(VALU_DEP_2)
	v_cmp_ge_i32_e64 s5, v25, v39
	v_cmp_lt_i32_e64 s6, v24, v38
	s_delay_alu instid0(VALU_DEP_2)
	s_or_b32 s4, s5, s4
	s_delay_alu instid0(VALU_DEP_1) | instid1(SALU_CYCLE_1)
	s_and_b32 s4, s6, s4
	s_delay_alu instid0(SALU_CYCLE_1) | instskip(NEXT) | instid1(SALU_CYCLE_1)
	s_xor_b32 s5, s4, -1
	s_and_saveexec_b32 s6, s5
	s_delay_alu instid0(SALU_CYCLE_1)
	s_xor_b32 s5, exec_lo, s6
	s_cbranch_execz .LBB176_122
; %bb.121:
	v_lshl_add_u32 v26, v25, 3, v33
	ds_load_b64 v[26:27], v26 offset:8
.LBB176_122:
	s_or_saveexec_b32 s5, s5
	v_dual_mov_b32 v31, v23 :: v_dual_mov_b32 v30, v22
	s_xor_b32 exec_lo, exec_lo, s5
	s_cbranch_execz .LBB176_124
; %bb.123:
	s_waitcnt lgkmcnt(0)
	v_lshl_add_u32 v26, v24, 3, v33
	ds_load_b64 v[30:31], v26 offset:8
	v_dual_mov_b32 v27, v21 :: v_dual_mov_b32 v26, v20
.LBB176_124:
	s_or_b32 exec_lo, exec_lo, s5
	v_add_nc_u32_e32 v28, 1, v25
	v_add_nc_u32_e32 v29, 1, v24
	s_waitcnt lgkmcnt(0)
	v_cmp_lt_i64_e64 s5, v[30:31], v[26:27]
	s_delay_alu instid0(VALU_DEP_3) | instskip(NEXT) | instid1(VALU_DEP_3)
	v_cndmask_b32_e64 v36, v28, v25, s4
	v_cndmask_b32_e64 v37, v24, v29, s4
                                        ; implicit-def: $vgpr24_vgpr25
	s_delay_alu instid0(VALU_DEP_2) | instskip(NEXT) | instid1(VALU_DEP_2)
	v_cmp_ge_i32_e64 s6, v36, v39
	v_cmp_lt_i32_e64 s7, v37, v38
	s_delay_alu instid0(VALU_DEP_2)
	s_or_b32 s5, s6, s5
	s_delay_alu instid0(VALU_DEP_1) | instid1(SALU_CYCLE_1)
	s_and_b32 s5, s7, s5
	s_delay_alu instid0(SALU_CYCLE_1) | instskip(NEXT) | instid1(SALU_CYCLE_1)
	s_xor_b32 s6, s5, -1
	s_and_saveexec_b32 s7, s6
	s_delay_alu instid0(SALU_CYCLE_1)
	s_xor_b32 s6, exec_lo, s7
	s_cbranch_execz .LBB176_126
; %bb.125:
	v_lshl_add_u32 v24, v36, 3, v33
	ds_load_b64 v[24:25], v24 offset:8
.LBB176_126:
	s_or_saveexec_b32 s6, s6
	v_dual_mov_b32 v28, v30 :: v_dual_mov_b32 v29, v31
	s_xor_b32 exec_lo, exec_lo, s6
	s_cbranch_execz .LBB176_128
; %bb.127:
	s_waitcnt lgkmcnt(0)
	v_lshl_add_u32 v24, v37, 3, v33
	ds_load_b64 v[28:29], v24 offset:8
	v_dual_mov_b32 v24, v26 :: v_dual_mov_b32 v25, v27
.LBB176_128:
	s_or_b32 exec_lo, exec_lo, s6
	v_dual_cndmask_b32 v2, v0, v2 :: v_dual_add_nc_u32 v41, 1, v36
	v_dual_cndmask_b32 v3, v1, v3 :: v_dual_add_nc_u32 v40, 1, v37
	v_cndmask_b32_e64 v27, v27, v31, s5
	s_delay_alu instid0(VALU_DEP_3) | instskip(SKIP_1) | instid1(VALU_DEP_4)
	v_cndmask_b32_e64 v31, v41, v36, s5
	v_cndmask_b32_e64 v26, v26, v30, s5
	;; [unrolled: 1-line block ×5, first 2 shown]
	s_waitcnt lgkmcnt(0)
	v_cmp_lt_i64_e64 s0, v[28:29], v[24:25]
	v_cndmask_b32_e64 v9, v9, v11, s1
	v_cndmask_b32_e64 v8, v8, v10, s1
	v_cmp_ge_i32_e64 s1, v31, v39
	v_cndmask_b32_e64 v13, v13, v15, s2
	v_cndmask_b32_e64 v12, v12, v14, s2
	v_cmp_lt_i32_e64 s2, v30, v38
	v_cndmask_b32_e64 v21, v21, v23, s4
	s_or_b32 s0, s1, s0
	v_cndmask_b32_e64 v20, v20, v22, s4
	v_cndmask_b32_e64 v17, v17, v19, s3
	s_and_b32 vcc_lo, s2, s0
	v_dual_cndmask_b32 v11, v25, v29 :: v_dual_and_b32 v4, 0xf8, v34
	v_cndmask_b32_e32 v10, v24, v28, vcc_lo
	v_cndmask_b32_e64 v16, v16, v18, s3
	s_mov_b32 s0, exec_lo
	s_delay_alu instid0(VALU_DEP_3)
	v_add_nc_u32_e32 v0, 0xffffff80, v4
	v_cmp_lt_i32_e32 vcc_lo, 0x7f, v4
	v_min_i32_e32 v1, 0x80, v4
	; wave barrier
	ds_store_2addr_b64 v35, v[2:3], v[6:7] offset1:1
	ds_store_2addr_b64 v35, v[8:9], v[12:13] offset0:2 offset1:3
	ds_store_2addr_b64 v35, v[16:17], v[20:21] offset0:4 offset1:5
	;; [unrolled: 1-line block ×3, first 2 shown]
	v_cndmask_b32_e32 v0, 0, v0, vcc_lo
	; wave barrier
	s_delay_alu instid0(VALU_DEP_1)
	v_cmpx_lt_i32_e64 v0, v1
	s_cbranch_execz .LBB176_132
; %bb.129:
	v_lshlrev_b32_e32 v2, 3, v4
	s_mov_b32 s1, 0
	s_delay_alu instid0(VALU_DEP_1)
	v_add3_u32 v2, 0x400, v33, v2
	.p2align	6
.LBB176_130:                            ; =>This Inner Loop Header: Depth=1
	v_sub_nc_u32_e32 v3, v1, v0
	s_delay_alu instid0(VALU_DEP_1) | instskip(NEXT) | instid1(VALU_DEP_1)
	v_lshrrev_b32_e32 v5, 31, v3
	v_add_nc_u32_e32 v3, v3, v5
	s_delay_alu instid0(VALU_DEP_1) | instskip(NEXT) | instid1(VALU_DEP_1)
	v_ashrrev_i32_e32 v3, 1, v3
	v_add_nc_u32_e32 v3, v3, v0
	s_delay_alu instid0(VALU_DEP_1) | instskip(SKIP_1) | instid1(VALU_DEP_2)
	v_not_b32_e32 v5, v3
	v_lshl_add_u32 v6, v3, 3, v33
	v_lshl_add_u32 v7, v5, 3, v2
	ds_load_b64 v[5:6], v6
	ds_load_b64 v[7:8], v7
	s_waitcnt lgkmcnt(0)
	v_cmp_lt_i64_e32 vcc_lo, v[7:8], v[5:6]
	v_add_nc_u32_e32 v5, 1, v3
	s_delay_alu instid0(VALU_DEP_1) | instskip(SKIP_1) | instid1(VALU_DEP_1)
	v_cndmask_b32_e32 v0, v5, v0, vcc_lo
	v_cndmask_b32_e32 v1, v1, v3, vcc_lo
	v_cmp_ge_i32_e32 vcc_lo, v0, v1
	s_or_b32 s1, vcc_lo, s1
	s_delay_alu instid0(SALU_CYCLE_1)
	s_and_not1_b32 exec_lo, exec_lo, s1
	s_cbranch_execnz .LBB176_130
; %bb.131:
	s_or_b32 exec_lo, exec_lo, s1
.LBB176_132:
	s_delay_alu instid0(SALU_CYCLE_1) | instskip(SKIP_3) | instid1(VALU_DEP_3)
	s_or_b32 exec_lo, exec_lo, s0
	v_add_nc_u32_e32 v1, 0x80, v4
	v_lshl_add_u32 v8, v0, 3, v33
	v_cmp_le_i32_e64 s0, 0x80, v0
                                        ; implicit-def: $vgpr6_vgpr7
	v_sub_nc_u32_e32 v1, v1, v0
	s_delay_alu instid0(VALU_DEP_1)
	v_lshl_add_u32 v10, v1, 3, v33
	v_cmp_gt_i32_e64 s1, 0x100, v1
	ds_load_b64 v[2:3], v8
	ds_load_b64 v[4:5], v10
	s_waitcnt lgkmcnt(0)
	v_cmp_lt_i64_e32 vcc_lo, v[4:5], v[2:3]
	s_or_b32 s0, s0, vcc_lo
	s_delay_alu instid0(SALU_CYCLE_1) | instskip(NEXT) | instid1(SALU_CYCLE_1)
	s_and_b32 vcc_lo, s1, s0
	s_xor_b32 s0, vcc_lo, -1
	s_delay_alu instid0(SALU_CYCLE_1) | instskip(NEXT) | instid1(SALU_CYCLE_1)
	s_and_saveexec_b32 s1, s0
	s_xor_b32 s0, exec_lo, s1
	s_cbranch_execz .LBB176_134
; %bb.133:
	ds_load_b64 v[6:7], v8 offset:8
                                        ; implicit-def: $vgpr10
.LBB176_134:
	s_or_saveexec_b32 s0, s0
	v_dual_mov_b32 v9, v5 :: v_dual_mov_b32 v8, v4
	s_xor_b32 exec_lo, exec_lo, s0
	s_cbranch_execz .LBB176_136
; %bb.135:
	ds_load_b64 v[8:9], v10 offset:8
	s_waitcnt lgkmcnt(1)
	v_dual_mov_b32 v7, v3 :: v_dual_mov_b32 v6, v2
.LBB176_136:
	s_or_b32 exec_lo, exec_lo, s0
	v_add_nc_u32_e32 v10, 1, v0
	v_add_nc_u32_e32 v11, 1, v1
	s_waitcnt lgkmcnt(0)
	v_cmp_lt_i64_e64 s0, v[8:9], v[6:7]
	s_delay_alu instid0(VALU_DEP_3) | instskip(NEXT) | instid1(VALU_DEP_3)
	v_cndmask_b32_e32 v14, v10, v0, vcc_lo
	v_cndmask_b32_e32 v0, v1, v11, vcc_lo
                                        ; implicit-def: $vgpr10_vgpr11
	s_delay_alu instid0(VALU_DEP_2) | instskip(NEXT) | instid1(VALU_DEP_2)
	v_cmp_le_i32_e64 s1, 0x80, v14
	v_cmp_gt_i32_e64 s2, 0x100, v0
	s_delay_alu instid0(VALU_DEP_2)
	s_or_b32 s0, s1, s0
	s_delay_alu instid0(VALU_DEP_1) | instid1(SALU_CYCLE_1)
	s_and_b32 s0, s2, s0
	s_delay_alu instid0(SALU_CYCLE_1) | instskip(NEXT) | instid1(SALU_CYCLE_1)
	s_xor_b32 s1, s0, -1
	s_and_saveexec_b32 s2, s1
	s_delay_alu instid0(SALU_CYCLE_1)
	s_xor_b32 s1, exec_lo, s2
	s_cbranch_execz .LBB176_138
; %bb.137:
	v_lshl_add_u32 v1, v14, 3, v33
	ds_load_b64 v[10:11], v1 offset:8
.LBB176_138:
	s_or_saveexec_b32 s1, s1
	v_dual_mov_b32 v13, v9 :: v_dual_mov_b32 v12, v8
	s_xor_b32 exec_lo, exec_lo, s1
	s_cbranch_execz .LBB176_140
; %bb.139:
	v_lshl_add_u32 v1, v0, 3, v33
	s_waitcnt lgkmcnt(0)
	v_dual_mov_b32 v11, v7 :: v_dual_mov_b32 v10, v6
	ds_load_b64 v[12:13], v1 offset:8
.LBB176_140:
	s_or_b32 exec_lo, exec_lo, s1
	v_add_nc_u32_e32 v1, 1, v14
	v_add_nc_u32_e32 v15, 1, v0
	s_waitcnt lgkmcnt(0)
	v_cmp_lt_i64_e64 s1, v[12:13], v[10:11]
	s_delay_alu instid0(VALU_DEP_3) | instskip(NEXT) | instid1(VALU_DEP_3)
	v_cndmask_b32_e64 v1, v1, v14, s0
	v_cndmask_b32_e64 v0, v0, v15, s0
                                        ; implicit-def: $vgpr14_vgpr15
	s_delay_alu instid0(VALU_DEP_2) | instskip(NEXT) | instid1(VALU_DEP_2)
	v_cmp_le_i32_e64 s2, 0x80, v1
	v_cmp_gt_i32_e64 s3, 0x100, v0
	s_delay_alu instid0(VALU_DEP_2)
	s_or_b32 s1, s2, s1
	s_delay_alu instid0(VALU_DEP_1) | instid1(SALU_CYCLE_1)
	s_and_b32 s1, s3, s1
	s_delay_alu instid0(SALU_CYCLE_1) | instskip(NEXT) | instid1(SALU_CYCLE_1)
	s_xor_b32 s2, s1, -1
	s_and_saveexec_b32 s3, s2
	s_delay_alu instid0(SALU_CYCLE_1)
	s_xor_b32 s2, exec_lo, s3
	s_cbranch_execz .LBB176_142
; %bb.141:
	v_lshl_add_u32 v14, v1, 3, v33
	ds_load_b64 v[14:15], v14 offset:8
.LBB176_142:
	s_or_saveexec_b32 s2, s2
	v_dual_mov_b32 v17, v13 :: v_dual_mov_b32 v16, v12
	s_xor_b32 exec_lo, exec_lo, s2
	s_cbranch_execz .LBB176_144
; %bb.143:
	s_waitcnt lgkmcnt(0)
	v_lshl_add_u32 v14, v0, 3, v33
	ds_load_b64 v[16:17], v14 offset:8
	v_dual_mov_b32 v15, v11 :: v_dual_mov_b32 v14, v10
.LBB176_144:
	s_or_b32 exec_lo, exec_lo, s2
	v_add_nc_u32_e32 v18, 1, v1
	v_add_nc_u32_e32 v19, 1, v0
	s_waitcnt lgkmcnt(0)
	v_cmp_lt_i64_e64 s2, v[16:17], v[14:15]
	s_delay_alu instid0(VALU_DEP_3) | instskip(NEXT) | instid1(VALU_DEP_3)
	v_cndmask_b32_e64 v1, v18, v1, s1
	v_cndmask_b32_e64 v0, v0, v19, s1
                                        ; implicit-def: $vgpr18_vgpr19
	s_delay_alu instid0(VALU_DEP_2) | instskip(NEXT) | instid1(VALU_DEP_2)
	v_cmp_le_i32_e64 s3, 0x80, v1
	v_cmp_gt_i32_e64 s4, 0x100, v0
	s_delay_alu instid0(VALU_DEP_2)
	s_or_b32 s2, s3, s2
	s_delay_alu instid0(VALU_DEP_1) | instid1(SALU_CYCLE_1)
	s_and_b32 s2, s4, s2
	s_delay_alu instid0(SALU_CYCLE_1) | instskip(NEXT) | instid1(SALU_CYCLE_1)
	s_xor_b32 s3, s2, -1
	s_and_saveexec_b32 s4, s3
	s_delay_alu instid0(SALU_CYCLE_1)
	s_xor_b32 s3, exec_lo, s4
	s_cbranch_execz .LBB176_146
; %bb.145:
	v_lshl_add_u32 v18, v1, 3, v33
	ds_load_b64 v[18:19], v18 offset:8
.LBB176_146:
	s_or_saveexec_b32 s3, s3
	v_dual_mov_b32 v21, v17 :: v_dual_mov_b32 v20, v16
	s_xor_b32 exec_lo, exec_lo, s3
	s_cbranch_execz .LBB176_148
; %bb.147:
	s_waitcnt lgkmcnt(0)
	v_lshl_add_u32 v18, v0, 3, v33
	ds_load_b64 v[20:21], v18 offset:8
	v_dual_mov_b32 v19, v15 :: v_dual_mov_b32 v18, v14
.LBB176_148:
	s_or_b32 exec_lo, exec_lo, s3
	v_add_nc_u32_e32 v22, 1, v1
	v_add_nc_u32_e32 v23, 1, v0
	s_waitcnt lgkmcnt(0)
	v_cmp_lt_i64_e64 s3, v[20:21], v[18:19]
	s_delay_alu instid0(VALU_DEP_3) | instskip(NEXT) | instid1(VALU_DEP_3)
	v_cndmask_b32_e64 v1, v22, v1, s2
	v_cndmask_b32_e64 v0, v0, v23, s2
                                        ; implicit-def: $vgpr22_vgpr23
	s_delay_alu instid0(VALU_DEP_2) | instskip(NEXT) | instid1(VALU_DEP_2)
	v_cmp_le_i32_e64 s4, 0x80, v1
	v_cmp_gt_i32_e64 s5, 0x100, v0
	s_delay_alu instid0(VALU_DEP_2)
	s_or_b32 s3, s4, s3
	s_delay_alu instid0(VALU_DEP_1) | instid1(SALU_CYCLE_1)
	s_and_b32 s3, s5, s3
	s_delay_alu instid0(SALU_CYCLE_1) | instskip(NEXT) | instid1(SALU_CYCLE_1)
	s_xor_b32 s4, s3, -1
	s_and_saveexec_b32 s5, s4
	s_delay_alu instid0(SALU_CYCLE_1)
	s_xor_b32 s4, exec_lo, s5
	s_cbranch_execz .LBB176_150
; %bb.149:
	v_lshl_add_u32 v22, v1, 3, v33
	ds_load_b64 v[22:23], v22 offset:8
.LBB176_150:
	s_or_saveexec_b32 s4, s4
	v_dual_mov_b32 v25, v21 :: v_dual_mov_b32 v24, v20
	s_xor_b32 exec_lo, exec_lo, s4
	s_cbranch_execz .LBB176_152
; %bb.151:
	s_waitcnt lgkmcnt(0)
	v_lshl_add_u32 v22, v0, 3, v33
	ds_load_b64 v[24:25], v22 offset:8
	v_dual_mov_b32 v23, v19 :: v_dual_mov_b32 v22, v18
.LBB176_152:
	s_or_b32 exec_lo, exec_lo, s4
	v_add_nc_u32_e32 v26, 1, v1
	v_add_nc_u32_e32 v27, 1, v0
	s_waitcnt lgkmcnt(0)
	v_cmp_lt_i64_e64 s4, v[24:25], v[22:23]
                                        ; implicit-def: $vgpr28_vgpr29
	s_delay_alu instid0(VALU_DEP_3) | instskip(NEXT) | instid1(VALU_DEP_3)
	v_cndmask_b32_e64 v1, v26, v1, s3
	v_cndmask_b32_e64 v0, v0, v27, s3
	s_delay_alu instid0(VALU_DEP_2) | instskip(NEXT) | instid1(VALU_DEP_2)
	v_cmp_le_i32_e64 s5, 0x80, v1
	v_cmp_gt_i32_e64 s6, 0x100, v0
	s_delay_alu instid0(VALU_DEP_2)
	s_or_b32 s4, s5, s4
	s_delay_alu instid0(VALU_DEP_1) | instid1(SALU_CYCLE_1)
	s_and_b32 s4, s6, s4
	s_delay_alu instid0(SALU_CYCLE_1) | instskip(NEXT) | instid1(SALU_CYCLE_1)
	s_xor_b32 s5, s4, -1
	s_and_saveexec_b32 s6, s5
	s_delay_alu instid0(SALU_CYCLE_1)
	s_xor_b32 s5, exec_lo, s6
	s_cbranch_execz .LBB176_154
; %bb.153:
	v_lshl_add_u32 v26, v1, 3, v33
	ds_load_b64 v[28:29], v26 offset:8
.LBB176_154:
	s_or_saveexec_b32 s5, s5
	v_dual_mov_b32 v27, v25 :: v_dual_mov_b32 v26, v24
	s_xor_b32 exec_lo, exec_lo, s5
	s_cbranch_execz .LBB176_156
; %bb.155:
	v_lshl_add_u32 v26, v0, 3, v33
	s_waitcnt lgkmcnt(0)
	v_dual_mov_b32 v29, v23 :: v_dual_mov_b32 v28, v22
	ds_load_b64 v[26:27], v26 offset:8
.LBB176_156:
	s_or_b32 exec_lo, exec_lo, s5
	v_add_nc_u32_e32 v30, 1, v1
	v_add_nc_u32_e32 v31, 1, v0
	s_waitcnt lgkmcnt(0)
	v_cmp_ge_i64_e64 s5, v[26:27], v[28:29]
                                        ; implicit-def: $vgpr35
	s_delay_alu instid0(VALU_DEP_3) | instskip(NEXT) | instid1(VALU_DEP_3)
	v_cndmask_b32_e64 v36, v30, v1, s4
	v_cndmask_b32_e64 v34, v0, v31, s4
                                        ; implicit-def: $vgpr30_vgpr31
	s_delay_alu instid0(VALU_DEP_2) | instskip(NEXT) | instid1(VALU_DEP_2)
	v_cmp_gt_i32_e64 s6, 0x80, v36
	v_cmp_le_i32_e64 s7, 0x100, v34
	s_delay_alu instid0(VALU_DEP_2)
	s_and_b32 s5, s6, s5
	s_delay_alu instid0(VALU_DEP_1) | instid1(SALU_CYCLE_1)
	s_or_b32 s5, s7, s5
	s_delay_alu instid0(SALU_CYCLE_1) | instskip(NEXT) | instid1(SALU_CYCLE_1)
	s_and_saveexec_b32 s6, s5
	s_xor_b32 s5, exec_lo, s6
	s_cbranch_execz .LBB176_158
; %bb.157:
	v_lshl_add_u32 v0, v36, 3, v33
	v_add_nc_u32_e32 v35, 1, v36
                                        ; implicit-def: $vgpr36
                                        ; implicit-def: $vgpr33
	ds_load_b64 v[30:31], v0 offset:8
.LBB176_158:
	s_or_saveexec_b32 s5, s5
	v_dual_mov_b32 v0, v28 :: v_dual_mov_b32 v1, v29
	s_xor_b32 exec_lo, exec_lo, s5
	s_cbranch_execz .LBB176_160
; %bb.159:
	v_lshl_add_u32 v0, v34, 3, v33
	s_waitcnt lgkmcnt(0)
	v_dual_mov_b32 v31, v29 :: v_dual_add_nc_u32 v34, 1, v34
	v_mov_b32_e32 v30, v28
	v_mov_b32_e32 v35, v36
	ds_load_b64 v[37:38], v0 offset:8
	v_dual_mov_b32 v0, v26 :: v_dual_mov_b32 v1, v27
	s_waitcnt lgkmcnt(0)
	v_dual_mov_b32 v26, v37 :: v_dual_mov_b32 v27, v38
.LBB176_160:
	s_or_b32 exec_lo, exec_lo, s5
	v_cndmask_b32_e64 v13, v11, v13, s1
	v_cndmask_b32_e64 v12, v10, v12, s1
	s_waitcnt lgkmcnt(0)
	v_cmp_lt_i64_e64 s1, v[26:27], v[30:31]
	v_cndmask_b32_e64 v15, v15, v17, s2
	v_cndmask_b32_e64 v14, v14, v16, s2
	v_cmp_le_i32_e64 s2, 0x80, v35
	v_cndmask_b32_e64 v21, v19, v21, s3
	v_cndmask_b32_e64 v20, v18, v20, s3
	v_cmp_gt_i32_e64 s3, 0x100, v34
	v_cndmask_b32_e64 v7, v7, v9, s0
	v_cndmask_b32_e64 v6, v6, v8, s0
	s_or_b32 s0, s2, s1
	v_dual_cndmask_b32 v5, v3, v5 :: v_dual_cndmask_b32 v4, v2, v4
	s_and_b32 vcc_lo, s3, s0
	v_dual_cndmask_b32 v3, v31, v27 :: v_dual_lshlrev_b32 v8, 3, v32
	v_cndmask_b32_e64 v23, v23, v25, s4
	v_cndmask_b32_e64 v22, v22, v24, s4
	s_add_u32 s0, s10, s12
	v_cndmask_b32_e32 v2, v30, v26, vcc_lo
	s_addc_u32 s1, s11, s13
	s_clause 0x3
	global_store_b128 v8, v[4:7], s[0:1]
	global_store_b128 v8, v[12:15], s[0:1] offset:16
	global_store_b128 v8, v[20:23], s[0:1] offset:32
	;; [unrolled: 1-line block ×3, first 2 shown]
	s_nop 0
	s_sendmsg sendmsg(MSG_DEALLOC_VGPRS)
	s_endpgm
	.section	.rodata,"a",@progbits
	.p2align	6, 0x0
	.amdhsa_kernel _Z9sort_keysILj256ELj32ELj8ExN10test_utils4lessEEvPKT2_PS2_T3_
		.amdhsa_group_segment_fixed_size 16448
		.amdhsa_private_segment_fixed_size 0
		.amdhsa_kernarg_size 20
		.amdhsa_user_sgpr_count 15
		.amdhsa_user_sgpr_dispatch_ptr 0
		.amdhsa_user_sgpr_queue_ptr 0
		.amdhsa_user_sgpr_kernarg_segment_ptr 1
		.amdhsa_user_sgpr_dispatch_id 0
		.amdhsa_user_sgpr_private_segment_size 0
		.amdhsa_wavefront_size32 1
		.amdhsa_uses_dynamic_stack 0
		.amdhsa_enable_private_segment 0
		.amdhsa_system_sgpr_workgroup_id_x 1
		.amdhsa_system_sgpr_workgroup_id_y 0
		.amdhsa_system_sgpr_workgroup_id_z 0
		.amdhsa_system_sgpr_workgroup_info 0
		.amdhsa_system_vgpr_workitem_id 0
		.amdhsa_next_free_vgpr 42
		.amdhsa_next_free_sgpr 16
		.amdhsa_reserve_vcc 1
		.amdhsa_float_round_mode_32 0
		.amdhsa_float_round_mode_16_64 0
		.amdhsa_float_denorm_mode_32 3
		.amdhsa_float_denorm_mode_16_64 3
		.amdhsa_dx10_clamp 1
		.amdhsa_ieee_mode 1
		.amdhsa_fp16_overflow 0
		.amdhsa_workgroup_processor_mode 1
		.amdhsa_memory_ordered 1
		.amdhsa_forward_progress 0
		.amdhsa_shared_vgpr_count 0
		.amdhsa_exception_fp_ieee_invalid_op 0
		.amdhsa_exception_fp_denorm_src 0
		.amdhsa_exception_fp_ieee_div_zero 0
		.amdhsa_exception_fp_ieee_overflow 0
		.amdhsa_exception_fp_ieee_underflow 0
		.amdhsa_exception_fp_ieee_inexact 0
		.amdhsa_exception_int_div_zero 0
	.end_amdhsa_kernel
	.section	.text._Z9sort_keysILj256ELj32ELj8ExN10test_utils4lessEEvPKT2_PS2_T3_,"axG",@progbits,_Z9sort_keysILj256ELj32ELj8ExN10test_utils4lessEEvPKT2_PS2_T3_,comdat
.Lfunc_end176:
	.size	_Z9sort_keysILj256ELj32ELj8ExN10test_utils4lessEEvPKT2_PS2_T3_, .Lfunc_end176-_Z9sort_keysILj256ELj32ELj8ExN10test_utils4lessEEvPKT2_PS2_T3_
                                        ; -- End function
	.section	.AMDGPU.csdata,"",@progbits
; Kernel info:
; codeLenInByte = 9380
; NumSgprs: 18
; NumVgprs: 42
; ScratchSize: 0
; MemoryBound: 0
; FloatMode: 240
; IeeeMode: 1
; LDSByteSize: 16448 bytes/workgroup (compile time only)
; SGPRBlocks: 2
; VGPRBlocks: 5
; NumSGPRsForWavesPerEU: 18
; NumVGPRsForWavesPerEU: 42
; Occupancy: 14
; WaveLimiterHint : 0
; COMPUTE_PGM_RSRC2:SCRATCH_EN: 0
; COMPUTE_PGM_RSRC2:USER_SGPR: 15
; COMPUTE_PGM_RSRC2:TRAP_HANDLER: 0
; COMPUTE_PGM_RSRC2:TGID_X_EN: 1
; COMPUTE_PGM_RSRC2:TGID_Y_EN: 0
; COMPUTE_PGM_RSRC2:TGID_Z_EN: 0
; COMPUTE_PGM_RSRC2:TIDIG_COMP_CNT: 0
	.section	.text._Z10sort_pairsILj256ELj32ELj8ExN10test_utils4lessEEvPKT2_PS2_T3_,"axG",@progbits,_Z10sort_pairsILj256ELj32ELj8ExN10test_utils4lessEEvPKT2_PS2_T3_,comdat
	.protected	_Z10sort_pairsILj256ELj32ELj8ExN10test_utils4lessEEvPKT2_PS2_T3_ ; -- Begin function _Z10sort_pairsILj256ELj32ELj8ExN10test_utils4lessEEvPKT2_PS2_T3_
	.globl	_Z10sort_pairsILj256ELj32ELj8ExN10test_utils4lessEEvPKT2_PS2_T3_
	.p2align	8
	.type	_Z10sort_pairsILj256ELj32ELj8ExN10test_utils4lessEEvPKT2_PS2_T3_,@function
_Z10sort_pairsILj256ELj32ELj8ExN10test_utils4lessEEvPKT2_PS2_T3_: ; @_Z10sort_pairsILj256ELj32ELj8ExN10test_utils4lessEEvPKT2_PS2_T3_
; %bb.0:
	s_load_b128 s[8:11], s[0:1], 0x0
	s_mov_b32 s1, 0
	s_lshl_b32 s0, s15, 11
	v_lshlrev_b32_e32 v9, 6, v0
	s_lshl_b64 s[12:13], s[0:1], 3
	s_waitcnt lgkmcnt(0)
	s_add_u32 s0, s8, s12
	s_addc_u32 s1, s9, s13
	s_clause 0x3
	global_load_b128 v[1:4], v9, s[0:1]
	global_load_b128 v[13:16], v9, s[0:1] offset:16
	global_load_b128 v[5:8], v9, s[0:1] offset:48
	;; [unrolled: 1-line block ×3, first 2 shown]
	s_mov_b32 s0, exec_lo
	s_waitcnt vmcnt(3)
	v_mov_b32_e32 v20, v4
	v_add_co_u32 v23, vcc_lo, v3, 1
	v_add_co_ci_u32_e32 v24, vcc_lo, 0, v4, vcc_lo
	v_add_co_u32 v17, vcc_lo, v1, 1
	s_delay_alu instid0(VALU_DEP_3) | instskip(SKIP_1) | instid1(VALU_DEP_4)
	v_mov_b32_e32 v21, v23
	v_add_co_ci_u32_e32 v18, vcc_lo, 0, v2, vcc_lo
	v_dual_mov_b32 v19, v3 :: v_dual_mov_b32 v22, v24
	v_cmpx_lt_i64_e64 v[3:4], v[1:2]
; %bb.1:
	v_dual_mov_b32 v20, v2 :: v_dual_mov_b32 v19, v1
	v_dual_mov_b32 v1, v3 :: v_dual_mov_b32 v2, v4
	v_dual_mov_b32 v22, v18 :: v_dual_mov_b32 v21, v17
	v_dual_mov_b32 v17, v23 :: v_dual_mov_b32 v18, v24
; %bb.2:
	s_or_b32 exec_lo, exec_lo, s0
	s_waitcnt vmcnt(2)
	v_add_co_u32 v25, vcc_lo, v15, 1
	v_add_co_ci_u32_e32 v26, vcc_lo, 0, v16, vcc_lo
	v_add_co_u32 v31, vcc_lo, v13, 1
	v_add_co_ci_u32_e32 v32, vcc_lo, 0, v14, vcc_lo
	v_dual_mov_b32 v3, v15 :: v_dual_mov_b32 v4, v16
	s_delay_alu instid0(VALU_DEP_4)
	v_dual_mov_b32 v23, v25 :: v_dual_mov_b32 v24, v26
	s_mov_b32 s0, exec_lo
	v_cmpx_lt_i64_e64 v[15:16], v[13:14]
; %bb.3:
	v_dual_mov_b32 v3, v13 :: v_dual_mov_b32 v4, v14
	v_dual_mov_b32 v13, v15 :: v_dual_mov_b32 v14, v16
	;; [unrolled: 1-line block ×4, first 2 shown]
; %bb.4:
	s_or_b32 exec_lo, exec_lo, s0
	s_waitcnt vmcnt(0)
	v_add_co_u32 v27, vcc_lo, v11, 1
	v_add_co_ci_u32_e32 v28, vcc_lo, 0, v12, vcc_lo
	v_add_co_u32 v35, vcc_lo, v9, 1
	v_add_co_ci_u32_e32 v36, vcc_lo, 0, v10, vcc_lo
	v_dual_mov_b32 v16, v12 :: v_dual_mov_b32 v15, v11
	s_delay_alu instid0(VALU_DEP_4)
	v_dual_mov_b32 v25, v27 :: v_dual_mov_b32 v26, v28
	s_mov_b32 s0, exec_lo
	v_cmpx_lt_i64_e64 v[11:12], v[9:10]
; %bb.5:
	v_dual_mov_b32 v16, v10 :: v_dual_mov_b32 v15, v9
	v_dual_mov_b32 v9, v11 :: v_dual_mov_b32 v10, v12
	;; [unrolled: 1-line block ×4, first 2 shown]
; %bb.6:
	s_or_b32 exec_lo, exec_lo, s0
	v_add_co_u32 v29, vcc_lo, v7, 1
	v_add_co_ci_u32_e32 v30, vcc_lo, 0, v8, vcc_lo
	v_add_co_u32 v37, vcc_lo, v5, 1
	v_add_co_ci_u32_e32 v38, vcc_lo, 0, v6, vcc_lo
	v_dual_mov_b32 v12, v8 :: v_dual_mov_b32 v11, v7
	s_delay_alu instid0(VALU_DEP_4)
	v_dual_mov_b32 v27, v29 :: v_dual_mov_b32 v28, v30
	s_mov_b32 s0, exec_lo
	v_cmpx_lt_i64_e64 v[7:8], v[5:6]
; %bb.7:
	v_dual_mov_b32 v12, v6 :: v_dual_mov_b32 v11, v5
	v_dual_mov_b32 v5, v7 :: v_dual_mov_b32 v6, v8
	;; [unrolled: 1-line block ×4, first 2 shown]
; %bb.8:
	s_or_b32 exec_lo, exec_lo, s0
	v_dual_mov_b32 v7, v13 :: v_dual_mov_b32 v8, v14
	v_dual_mov_b32 v29, v31 :: v_dual_mov_b32 v30, v32
	s_mov_b32 s0, exec_lo
	v_cmpx_lt_i64_e64 v[13:14], v[19:20]
	s_xor_b32 s0, exec_lo, s0
; %bb.9:
	v_dual_mov_b32 v7, v19 :: v_dual_mov_b32 v8, v20
	v_dual_mov_b32 v20, v14 :: v_dual_mov_b32 v19, v13
	v_dual_mov_b32 v30, v22 :: v_dual_mov_b32 v29, v21
	v_dual_mov_b32 v21, v31 :: v_dual_mov_b32 v22, v32
; %bb.10:
	s_or_b32 exec_lo, exec_lo, s0
	v_dual_mov_b32 v14, v10 :: v_dual_mov_b32 v13, v9
	v_dual_mov_b32 v33, v35 :: v_dual_mov_b32 v34, v36
	s_mov_b32 s0, exec_lo
	v_cmpx_lt_i64_e64 v[9:10], v[3:4]
; %bb.11:
	v_dual_mov_b32 v14, v4 :: v_dual_mov_b32 v13, v3
	v_dual_mov_b32 v3, v9 :: v_dual_mov_b32 v4, v10
	v_dual_mov_b32 v34, v24 :: v_dual_mov_b32 v33, v23
	v_dual_mov_b32 v23, v35 :: v_dual_mov_b32 v24, v36
; %bb.12:
	s_or_b32 exec_lo, exec_lo, s0
	v_dual_mov_b32 v10, v6 :: v_dual_mov_b32 v9, v5
	v_dual_mov_b32 v35, v37 :: v_dual_mov_b32 v36, v38
	s_mov_b32 s0, exec_lo
	v_cmpx_lt_i64_e64 v[5:6], v[15:16]
	;; [unrolled: 11-line block ×23, first 2 shown]
; %bb.55:
	v_dual_mov_b32 v32, v24 :: v_dual_mov_b32 v31, v23
	v_dual_mov_b32 v23, v29 :: v_dual_mov_b32 v24, v30
	;; [unrolled: 1-line block ×4, first 2 shown]
; %bb.56:
	s_or_b32 exec_lo, exec_lo, s0
	v_mbcnt_lo_u32_b32 v30, -1, 0
	v_lshlrev_b32_e32 v49, 3, v0
	v_lshrrev_b32_e32 v36, 5, v0
	; wave barrier
	s_delay_alu instid0(VALU_DEP_3) | instskip(SKIP_1) | instid1(VALU_DEP_3)
	v_lshlrev_b32_e32 v52, 3, v30
	v_lshlrev_b32_e32 v30, 6, v30
	v_mul_u32_u24_e32 v50, 0x808, v36
	s_mov_b32 s0, 0
	s_mov_b32 s1, exec_lo
	v_and_b32_e32 v29, 0xf0, v52
	v_and_b32_e32 v0, 8, v52
	v_mad_u32_u24 v51, 0x808, v36, v30
	ds_store_2addr_b64 v51, v[1:2], v[19:20] offset1:1
	ds_store_2addr_b64 v51, v[33:34], v[21:22] offset0:2 offset1:3
	v_or_b32_e32 v54, 8, v29
	v_add_nc_u32_e32 v53, 16, v29
	ds_store_2addr_b64 v51, v[27:28], v[23:24] offset0:4 offset1:5
	ds_store_2addr_b64 v51, v[31:32], v[25:26] offset0:6 offset1:7
	; wave barrier
	v_sub_nc_u32_e32 v35, v53, v54
	s_delay_alu instid0(VALU_DEP_1) | instskip(SKIP_1) | instid1(VALU_DEP_2)
	v_sub_nc_u32_e32 v37, v0, v35
	v_cmp_ge_i32_e32 vcc_lo, v0, v35
	v_cndmask_b32_e32 v30, 0, v37, vcc_lo
	v_sub_nc_u32_e32 v38, v54, v29
	v_lshlrev_b32_e32 v39, 3, v29
	s_delay_alu instid0(VALU_DEP_2) | instskip(NEXT) | instid1(VALU_DEP_2)
	v_min_i32_e32 v35, v0, v38
	v_mad_u32_u24 v1, 0x808, v36, v39
	s_delay_alu instid0(VALU_DEP_2)
	v_cmpx_lt_i32_e64 v30, v35
	s_cbranch_execz .LBB177_60
; %bb.57:
	v_lshlrev_b32_e32 v2, 3, v54
	v_lshlrev_b32_e32 v19, 3, v0
	s_delay_alu instid0(VALU_DEP_1)
	v_add3_u32 v2, v50, v2, v19
	.p2align	6
.LBB177_58:                             ; =>This Inner Loop Header: Depth=1
	v_sub_nc_u32_e32 v19, v35, v30
	s_delay_alu instid0(VALU_DEP_1) | instskip(NEXT) | instid1(VALU_DEP_1)
	v_lshrrev_b32_e32 v20, 31, v19
	v_add_nc_u32_e32 v19, v19, v20
	s_delay_alu instid0(VALU_DEP_1) | instskip(NEXT) | instid1(VALU_DEP_1)
	v_ashrrev_i32_e32 v19, 1, v19
	v_add_nc_u32_e32 v23, v19, v30
	s_delay_alu instid0(VALU_DEP_1) | instskip(SKIP_1) | instid1(VALU_DEP_2)
	v_not_b32_e32 v19, v23
	v_lshl_add_u32 v20, v23, 3, v1
	v_lshl_add_u32 v21, v19, 3, v2
	ds_load_b64 v[19:20], v20
	ds_load_b64 v[21:22], v21
	s_waitcnt lgkmcnt(0)
	v_cmp_lt_i64_e32 vcc_lo, v[21:22], v[19:20]
	v_add_nc_u32_e32 v19, 1, v23
	v_cndmask_b32_e32 v35, v35, v23, vcc_lo
	s_delay_alu instid0(VALU_DEP_2) | instskip(NEXT) | instid1(VALU_DEP_1)
	v_cndmask_b32_e32 v30, v19, v30, vcc_lo
	v_cmp_ge_i32_e32 vcc_lo, v30, v35
	s_or_b32 s0, vcc_lo, s0
	s_delay_alu instid0(SALU_CYCLE_1)
	s_and_not1_b32 exec_lo, exec_lo, s0
	s_cbranch_execnz .LBB177_58
; %bb.59:
	s_or_b32 exec_lo, exec_lo, s0
.LBB177_60:
	s_delay_alu instid0(SALU_CYCLE_1) | instskip(SKIP_3) | instid1(VALU_DEP_3)
	s_or_b32 exec_lo, exec_lo, s1
	v_add_nc_u32_e32 v0, v54, v0
	v_lshl_add_u32 v23, v30, 3, v1
	v_add_nc_u32_e32 v55, v30, v29
	v_sub_nc_u32_e32 v2, v0, v30
                                        ; implicit-def: $vgpr0_vgpr1
	s_delay_alu instid0(VALU_DEP_2) | instskip(NEXT) | instid1(VALU_DEP_2)
	v_cmp_le_i32_e64 s0, v54, v55
	v_lshl_add_u32 v25, v2, 3, v50
	v_cmp_gt_i32_e64 s1, v53, v2
	ds_load_b64 v[19:20], v23
	ds_load_b64 v[21:22], v25
	s_waitcnt lgkmcnt(0)
	v_cmp_lt_i64_e32 vcc_lo, v[21:22], v[19:20]
	s_or_b32 s0, s0, vcc_lo
	s_delay_alu instid0(SALU_CYCLE_1) | instskip(NEXT) | instid1(SALU_CYCLE_1)
	s_and_b32 vcc_lo, s1, s0
	s_xor_b32 s0, vcc_lo, -1
	s_delay_alu instid0(SALU_CYCLE_1) | instskip(NEXT) | instid1(SALU_CYCLE_1)
	s_and_saveexec_b32 s1, s0
	s_xor_b32 s0, exec_lo, s1
	s_cbranch_execz .LBB177_62
; %bb.61:
	ds_load_b64 v[0:1], v23 offset:8
                                        ; implicit-def: $vgpr25
.LBB177_62:
	s_or_saveexec_b32 s0, s0
	v_dual_mov_b32 v24, v22 :: v_dual_mov_b32 v23, v21
	s_xor_b32 exec_lo, exec_lo, s0
	s_cbranch_execz .LBB177_64
; %bb.63:
	ds_load_b64 v[23:24], v25 offset:8
	s_waitcnt lgkmcnt(1)
	v_dual_mov_b32 v0, v19 :: v_dual_mov_b32 v1, v20
.LBB177_64:
	s_or_b32 exec_lo, exec_lo, s0
	v_add_nc_u32_e32 v25, 1, v55
	v_add_nc_u32_e32 v26, 1, v2
	s_waitcnt lgkmcnt(0)
	v_cmp_lt_i64_e64 s0, v[23:24], v[0:1]
	s_delay_alu instid0(VALU_DEP_2) | instskip(NEXT) | instid1(VALU_DEP_1)
	v_dual_cndmask_b32 v56, v25, v55 :: v_dual_cndmask_b32 v57, v2, v26
                                        ; implicit-def: $vgpr25_vgpr26
	v_cmp_ge_i32_e64 s1, v56, v54
	s_delay_alu instid0(VALU_DEP_2) | instskip(NEXT) | instid1(VALU_DEP_2)
	v_cmp_lt_i32_e64 s2, v57, v53
	s_or_b32 s0, s1, s0
	s_delay_alu instid0(VALU_DEP_1) | instid1(SALU_CYCLE_1)
	s_and_b32 s0, s2, s0
	s_delay_alu instid0(SALU_CYCLE_1) | instskip(NEXT) | instid1(SALU_CYCLE_1)
	s_xor_b32 s1, s0, -1
	s_and_saveexec_b32 s2, s1
	s_delay_alu instid0(SALU_CYCLE_1)
	s_xor_b32 s1, exec_lo, s2
	s_cbranch_execz .LBB177_66
; %bb.65:
	v_lshl_add_u32 v25, v56, 3, v50
	ds_load_b64 v[25:26], v25 offset:8
.LBB177_66:
	s_or_saveexec_b32 s1, s1
	v_dual_mov_b32 v28, v24 :: v_dual_mov_b32 v27, v23
	s_xor_b32 exec_lo, exec_lo, s1
	s_cbranch_execz .LBB177_68
; %bb.67:
	s_waitcnt lgkmcnt(0)
	v_lshl_add_u32 v25, v57, 3, v50
	ds_load_b64 v[27:28], v25 offset:8
	v_dual_mov_b32 v26, v1 :: v_dual_mov_b32 v25, v0
.LBB177_68:
	s_or_b32 exec_lo, exec_lo, s1
	v_add_nc_u32_e32 v29, 1, v56
	v_add_nc_u32_e32 v30, 1, v57
	s_waitcnt lgkmcnt(0)
	v_cmp_lt_i64_e64 s1, v[27:28], v[25:26]
	s_delay_alu instid0(VALU_DEP_3) | instskip(NEXT) | instid1(VALU_DEP_3)
	v_cndmask_b32_e64 v58, v29, v56, s0
	v_cndmask_b32_e64 v59, v57, v30, s0
                                        ; implicit-def: $vgpr29_vgpr30
	s_delay_alu instid0(VALU_DEP_2) | instskip(NEXT) | instid1(VALU_DEP_2)
	v_cmp_ge_i32_e64 s2, v58, v54
	v_cmp_lt_i32_e64 s3, v59, v53
	s_delay_alu instid0(VALU_DEP_2)
	s_or_b32 s1, s2, s1
	s_delay_alu instid0(VALU_DEP_1) | instid1(SALU_CYCLE_1)
	s_and_b32 s1, s3, s1
	s_delay_alu instid0(SALU_CYCLE_1) | instskip(NEXT) | instid1(SALU_CYCLE_1)
	s_xor_b32 s2, s1, -1
	s_and_saveexec_b32 s3, s2
	s_delay_alu instid0(SALU_CYCLE_1)
	s_xor_b32 s2, exec_lo, s3
	s_cbranch_execz .LBB177_70
; %bb.69:
	v_lshl_add_u32 v29, v58, 3, v50
	ds_load_b64 v[29:30], v29 offset:8
.LBB177_70:
	s_or_saveexec_b32 s2, s2
	v_dual_mov_b32 v32, v28 :: v_dual_mov_b32 v31, v27
	s_xor_b32 exec_lo, exec_lo, s2
	s_cbranch_execz .LBB177_72
; %bb.71:
	s_waitcnt lgkmcnt(0)
	v_lshl_add_u32 v29, v59, 3, v50
	ds_load_b64 v[31:32], v29 offset:8
	v_dual_mov_b32 v30, v26 :: v_dual_mov_b32 v29, v25
.LBB177_72:
	s_or_b32 exec_lo, exec_lo, s2
	v_add_nc_u32_e32 v33, 1, v58
	v_add_nc_u32_e32 v34, 1, v59
	s_waitcnt lgkmcnt(0)
	v_cmp_lt_i64_e64 s2, v[31:32], v[29:30]
	s_delay_alu instid0(VALU_DEP_3) | instskip(NEXT) | instid1(VALU_DEP_3)
	v_cndmask_b32_e64 v60, v33, v58, s1
	v_cndmask_b32_e64 v61, v59, v34, s1
                                        ; implicit-def: $vgpr33_vgpr34
	s_delay_alu instid0(VALU_DEP_2) | instskip(NEXT) | instid1(VALU_DEP_2)
	v_cmp_ge_i32_e64 s3, v60, v54
	v_cmp_lt_i32_e64 s4, v61, v53
	s_delay_alu instid0(VALU_DEP_2)
	s_or_b32 s2, s3, s2
	s_delay_alu instid0(VALU_DEP_1) | instid1(SALU_CYCLE_1)
	s_and_b32 s2, s4, s2
	s_delay_alu instid0(SALU_CYCLE_1) | instskip(NEXT) | instid1(SALU_CYCLE_1)
	s_xor_b32 s3, s2, -1
	s_and_saveexec_b32 s4, s3
	s_delay_alu instid0(SALU_CYCLE_1)
	s_xor_b32 s3, exec_lo, s4
	s_cbranch_execz .LBB177_74
; %bb.73:
	v_lshl_add_u32 v33, v60, 3, v50
	ds_load_b64 v[33:34], v33 offset:8
.LBB177_74:
	s_or_saveexec_b32 s3, s3
	v_dual_mov_b32 v38, v32 :: v_dual_mov_b32 v37, v31
	s_xor_b32 exec_lo, exec_lo, s3
	s_cbranch_execz .LBB177_76
; %bb.75:
	s_waitcnt lgkmcnt(0)
	v_lshl_add_u32 v33, v61, 3, v50
	ds_load_b64 v[37:38], v33 offset:8
	v_dual_mov_b32 v34, v30 :: v_dual_mov_b32 v33, v29
.LBB177_76:
	s_or_b32 exec_lo, exec_lo, s3
	v_add_nc_u32_e32 v35, 1, v60
	v_add_nc_u32_e32 v36, 1, v61
	s_waitcnt lgkmcnt(0)
	v_cmp_lt_i64_e64 s3, v[37:38], v[33:34]
                                        ; implicit-def: $vgpr41_vgpr42
	s_delay_alu instid0(VALU_DEP_3) | instskip(NEXT) | instid1(VALU_DEP_3)
	v_cndmask_b32_e64 v62, v35, v60, s2
	v_cndmask_b32_e64 v63, v61, v36, s2
	s_delay_alu instid0(VALU_DEP_2) | instskip(NEXT) | instid1(VALU_DEP_2)
	v_cmp_ge_i32_e64 s4, v62, v54
	v_cmp_lt_i32_e64 s5, v63, v53
	s_delay_alu instid0(VALU_DEP_2)
	s_or_b32 s3, s4, s3
	s_delay_alu instid0(VALU_DEP_1) | instid1(SALU_CYCLE_1)
	s_and_b32 s3, s5, s3
	s_delay_alu instid0(SALU_CYCLE_1) | instskip(NEXT) | instid1(SALU_CYCLE_1)
	s_xor_b32 s4, s3, -1
	s_and_saveexec_b32 s5, s4
	s_delay_alu instid0(SALU_CYCLE_1)
	s_xor_b32 s4, exec_lo, s5
	s_cbranch_execz .LBB177_78
; %bb.77:
	v_lshl_add_u32 v35, v62, 3, v50
	ds_load_b64 v[41:42], v35 offset:8
.LBB177_78:
	s_or_saveexec_b32 s4, s4
	v_dual_mov_b32 v44, v38 :: v_dual_mov_b32 v43, v37
	s_xor_b32 exec_lo, exec_lo, s4
	s_cbranch_execz .LBB177_80
; %bb.79:
	v_lshl_add_u32 v35, v63, 3, v50
	s_waitcnt lgkmcnt(0)
	v_dual_mov_b32 v42, v34 :: v_dual_mov_b32 v41, v33
	ds_load_b64 v[43:44], v35 offset:8
.LBB177_80:
	s_or_b32 exec_lo, exec_lo, s4
	v_add_nc_u32_e32 v35, 1, v62
	v_add_nc_u32_e32 v36, 1, v63
	s_waitcnt lgkmcnt(0)
	v_cmp_lt_i64_e64 s4, v[43:44], v[41:42]
                                        ; implicit-def: $vgpr45_vgpr46
	s_delay_alu instid0(VALU_DEP_3) | instskip(NEXT) | instid1(VALU_DEP_3)
	v_cndmask_b32_e64 v64, v35, v62, s3
	v_cndmask_b32_e64 v65, v63, v36, s3
	s_delay_alu instid0(VALU_DEP_2) | instskip(NEXT) | instid1(VALU_DEP_2)
	v_cmp_ge_i32_e64 s5, v64, v54
	v_cmp_lt_i32_e64 s6, v65, v53
	s_delay_alu instid0(VALU_DEP_2)
	s_or_b32 s4, s5, s4
	s_delay_alu instid0(VALU_DEP_1) | instid1(SALU_CYCLE_1)
	s_and_b32 s4, s6, s4
	s_delay_alu instid0(SALU_CYCLE_1) | instskip(NEXT) | instid1(SALU_CYCLE_1)
	s_xor_b32 s5, s4, -1
	s_and_saveexec_b32 s6, s5
	s_delay_alu instid0(SALU_CYCLE_1)
	s_xor_b32 s5, exec_lo, s6
	s_cbranch_execz .LBB177_82
; %bb.81:
	v_lshl_add_u32 v35, v64, 3, v50
	ds_load_b64 v[45:46], v35 offset:8
.LBB177_82:
	s_or_saveexec_b32 s5, s5
	v_dual_mov_b32 v48, v44 :: v_dual_mov_b32 v47, v43
	s_xor_b32 exec_lo, exec_lo, s5
	s_cbranch_execz .LBB177_84
; %bb.83:
	v_lshl_add_u32 v35, v65, 3, v50
	s_waitcnt lgkmcnt(0)
	v_dual_mov_b32 v46, v42 :: v_dual_mov_b32 v45, v41
	ds_load_b64 v[47:48], v35 offset:8
.LBB177_84:
	s_or_b32 exec_lo, exec_lo, s5
	v_add_nc_u32_e32 v35, 1, v64
	v_add_nc_u32_e32 v36, 1, v65
	s_waitcnt lgkmcnt(0)
	v_cmp_lt_i64_e64 s5, v[47:48], v[45:46]
	s_delay_alu instid0(VALU_DEP_3) | instskip(NEXT) | instid1(VALU_DEP_3)
	v_cndmask_b32_e64 v66, v35, v64, s4
	v_cndmask_b32_e64 v67, v65, v36, s4
                                        ; implicit-def: $vgpr35_vgpr36
	s_delay_alu instid0(VALU_DEP_2) | instskip(NEXT) | instid1(VALU_DEP_2)
	v_cmp_ge_i32_e64 s6, v66, v54
	v_cmp_lt_i32_e64 s7, v67, v53
	s_delay_alu instid0(VALU_DEP_2)
	s_or_b32 s5, s6, s5
	s_delay_alu instid0(VALU_DEP_1) | instid1(SALU_CYCLE_1)
	s_and_b32 s5, s7, s5
	s_delay_alu instid0(SALU_CYCLE_1) | instskip(NEXT) | instid1(SALU_CYCLE_1)
	s_xor_b32 s6, s5, -1
	s_and_saveexec_b32 s7, s6
	s_delay_alu instid0(SALU_CYCLE_1)
	s_xor_b32 s6, exec_lo, s7
	s_cbranch_execz .LBB177_86
; %bb.85:
	v_lshl_add_u32 v35, v66, 3, v50
	ds_load_b64 v[35:36], v35 offset:8
.LBB177_86:
	s_or_saveexec_b32 s6, s6
	v_dual_mov_b32 v39, v47 :: v_dual_mov_b32 v40, v48
	s_xor_b32 exec_lo, exec_lo, s6
	s_cbranch_execz .LBB177_88
; %bb.87:
	s_waitcnt lgkmcnt(0)
	v_lshl_add_u32 v35, v67, 3, v50
	ds_load_b64 v[39:40], v35 offset:8
	v_dual_mov_b32 v35, v45 :: v_dual_mov_b32 v36, v46
.LBB177_88:
	s_or_b32 exec_lo, exec_lo, s6
	v_add_nc_u32_e32 v69, 1, v66
	v_add_nc_u32_e32 v68, 1, v67
	v_cndmask_b32_e64 v46, v46, v48, s5
	v_cndmask_b32_e64 v45, v45, v47, s5
	;; [unrolled: 1-line block ×5, first 2 shown]
	v_cndmask_b32_e32 v1, v55, v2, vcc_lo
	v_cndmask_b32_e64 v47, v67, v68, s5
	v_cndmask_b32_e64 v34, v34, v38, s3
	;; [unrolled: 1-line block ×4, first 2 shown]
	s_waitcnt lgkmcnt(0)
	v_cmp_lt_i64_e64 s1, v[39:40], v[35:36]
	v_cndmask_b32_e64 v30, v30, v32, s2
	v_cndmask_b32_e64 v29, v29, v31, s2
	;; [unrolled: 1-line block ×3, first 2 shown]
	v_cmp_ge_i32_e64 s2, v48, v54
	v_cndmask_b32_e64 v33, v33, v37, s3
	v_cndmask_b32_e64 v37, v62, v63, s3
	v_cmp_lt_i32_e64 s3, v47, v53
	v_cndmask_b32_e64 v27, v0, v23, s0
	v_cndmask_b32_e64 v0, v56, v57, s0
	s_or_b32 s0, s2, s1
	v_lshl_add_u32 v1, v1, 3, v50
	v_cndmask_b32_e64 v41, v41, v43, s4
	v_cndmask_b32_e64 v43, v64, v65, s4
	s_and_b32 s0, s3, s0
	v_lshl_add_u32 v0, v0, 3, v50
	v_cndmask_b32_e64 v66, v66, v67, s5
	; wave barrier
	ds_store_2addr_b64 v51, v[17:18], v[3:4] offset1:1
	ds_store_2addr_b64 v51, v[11:12], v[5:6] offset0:2 offset1:3
	ds_store_2addr_b64 v51, v[13:14], v[7:8] offset0:4 offset1:5
	;; [unrolled: 1-line block ×3, first 2 shown]
	v_lshl_add_u32 v3, v38, 3, v50
	v_cndmask_b32_e64 v2, v48, v47, s0
	v_lshl_add_u32 v6, v31, 3, v50
	; wave barrier
	ds_load_b64 v[12:13], v1
	ds_load_b64 v[14:15], v0
	;; [unrolled: 1-line block ×4, first 2 shown]
	v_lshl_add_u32 v0, v37, 3, v50
	v_lshl_add_u32 v1, v43, 3, v50
	v_dual_cndmask_b32 v22, v20, v22 :: v_dual_and_b32 v23, 0xe0, v52
	v_lshl_add_u32 v3, v66, 3, v50
	v_lshl_add_u32 v2, v2, 3, v50
	ds_load_b64 v[8:9], v0
	ds_load_b64 v[10:11], v1
	;; [unrolled: 1-line block ×4, first 2 shown]
	v_or_b32_e32 v53, 16, v23
	v_dual_cndmask_b32 v21, v19, v21 :: v_dual_add_nc_u32 v48, 32, v23
	v_and_b32_e32 v16, 24, v52
	v_cndmask_b32_e64 v42, v42, v44, s4
	s_delay_alu instid0(VALU_DEP_4) | instskip(NEXT) | instid1(VALU_DEP_4)
	v_sub_nc_u32_e32 v19, v53, v23
	v_sub_nc_u32_e32 v17, v48, v53
	v_cndmask_b32_e64 v32, v36, v40, s0
	v_cndmask_b32_e64 v31, v35, v39, s0
	s_mov_b32 s1, 0
	s_mov_b32 s0, exec_lo
	v_sub_nc_u32_e32 v18, v16, v17
	v_cmp_ge_i32_e32 vcc_lo, v16, v17
	v_lshl_add_u32 v17, v23, 3, v50
	; wave barrier
	ds_store_2addr_b64 v51, v[21:22], v[27:28] offset1:1
	ds_store_2addr_b64 v51, v[25:26], v[29:30] offset0:2 offset1:3
	v_cndmask_b32_e32 v20, 0, v18, vcc_lo
	v_min_i32_e32 v18, v16, v19
	ds_store_2addr_b64 v51, v[33:34], v[41:42] offset0:4 offset1:5
	ds_store_2addr_b64 v51, v[45:46], v[31:32] offset0:6 offset1:7
	; wave barrier
	v_cmpx_lt_i32_e64 v20, v18
	s_cbranch_execz .LBB177_92
; %bb.89:
	v_lshlrev_b32_e32 v19, 3, v53
	v_lshlrev_b32_e32 v21, 3, v16
	s_delay_alu instid0(VALU_DEP_1)
	v_add3_u32 v19, v50, v19, v21
	.p2align	6
.LBB177_90:                             ; =>This Inner Loop Header: Depth=1
	v_sub_nc_u32_e32 v21, v18, v20
	s_delay_alu instid0(VALU_DEP_1) | instskip(NEXT) | instid1(VALU_DEP_1)
	v_lshrrev_b32_e32 v22, 31, v21
	v_add_nc_u32_e32 v21, v21, v22
	s_delay_alu instid0(VALU_DEP_1) | instskip(NEXT) | instid1(VALU_DEP_1)
	v_ashrrev_i32_e32 v21, 1, v21
	v_add_nc_u32_e32 v26, v21, v20
	s_delay_alu instid0(VALU_DEP_1) | instskip(SKIP_1) | instid1(VALU_DEP_2)
	v_not_b32_e32 v21, v26
	v_lshl_add_u32 v22, v26, 3, v17
	v_lshl_add_u32 v24, v21, 3, v19
	ds_load_b64 v[21:22], v22
	ds_load_b64 v[24:25], v24
	s_waitcnt lgkmcnt(0)
	v_cmp_lt_i64_e32 vcc_lo, v[24:25], v[21:22]
	v_add_nc_u32_e32 v21, 1, v26
	v_cndmask_b32_e32 v18, v18, v26, vcc_lo
	s_delay_alu instid0(VALU_DEP_2) | instskip(NEXT) | instid1(VALU_DEP_1)
	v_cndmask_b32_e32 v20, v21, v20, vcc_lo
	v_cmp_ge_i32_e32 vcc_lo, v20, v18
	s_or_b32 s1, vcc_lo, s1
	s_delay_alu instid0(SALU_CYCLE_1)
	s_and_not1_b32 exec_lo, exec_lo, s1
	s_cbranch_execnz .LBB177_90
; %bb.91:
	s_or_b32 exec_lo, exec_lo, s1
.LBB177_92:
	s_delay_alu instid0(SALU_CYCLE_1) | instskip(SKIP_3) | instid1(VALU_DEP_3)
	s_or_b32 exec_lo, exec_lo, s0
	v_add_nc_u32_e32 v16, v53, v16
	v_lshl_add_u32 v22, v20, 3, v17
	v_add_nc_u32_e32 v55, v20, v23
	v_sub_nc_u32_e32 v54, v16, v20
                                        ; implicit-def: $vgpr20_vgpr21
	s_delay_alu instid0(VALU_DEP_2) | instskip(NEXT) | instid1(VALU_DEP_2)
	v_cmp_le_i32_e64 s0, v53, v55
	v_lshl_add_u32 v24, v54, 3, v50
	v_cmp_gt_i32_e64 s1, v48, v54
	ds_load_b64 v[16:17], v22
	ds_load_b64 v[18:19], v24
	s_waitcnt lgkmcnt(0)
	v_cmp_lt_i64_e32 vcc_lo, v[18:19], v[16:17]
	s_or_b32 s0, s0, vcc_lo
	s_delay_alu instid0(SALU_CYCLE_1) | instskip(NEXT) | instid1(SALU_CYCLE_1)
	s_and_b32 vcc_lo, s1, s0
	s_xor_b32 s0, vcc_lo, -1
	s_delay_alu instid0(SALU_CYCLE_1) | instskip(NEXT) | instid1(SALU_CYCLE_1)
	s_and_saveexec_b32 s1, s0
	s_xor_b32 s0, exec_lo, s1
	s_cbranch_execz .LBB177_94
; %bb.93:
	ds_load_b64 v[20:21], v22 offset:8
                                        ; implicit-def: $vgpr24
.LBB177_94:
	s_or_saveexec_b32 s0, s0
	v_dual_mov_b32 v23, v19 :: v_dual_mov_b32 v22, v18
	s_xor_b32 exec_lo, exec_lo, s0
	s_cbranch_execz .LBB177_96
; %bb.95:
	ds_load_b64 v[22:23], v24 offset:8
	s_waitcnt lgkmcnt(1)
	v_dual_mov_b32 v21, v17 :: v_dual_mov_b32 v20, v16
.LBB177_96:
	s_or_b32 exec_lo, exec_lo, s0
	v_add_nc_u32_e32 v25, 1, v54
	v_add_nc_u32_e32 v24, 1, v55
	s_waitcnt lgkmcnt(0)
	v_cmp_lt_i64_e64 s0, v[22:23], v[20:21]
	s_delay_alu instid0(VALU_DEP_2) | instskip(NEXT) | instid1(VALU_DEP_1)
	v_dual_cndmask_b32 v57, v54, v25 :: v_dual_cndmask_b32 v56, v24, v55
                                        ; implicit-def: $vgpr24_vgpr25
	v_cmp_lt_i32_e64 s2, v57, v48
	s_delay_alu instid0(VALU_DEP_2) | instskip(NEXT) | instid1(VALU_DEP_1)
	v_cmp_ge_i32_e64 s1, v56, v53
	s_or_b32 s0, s1, s0
	s_delay_alu instid0(VALU_DEP_2) | instid1(SALU_CYCLE_1)
	s_and_b32 s0, s2, s0
	s_delay_alu instid0(SALU_CYCLE_1) | instskip(NEXT) | instid1(SALU_CYCLE_1)
	s_xor_b32 s1, s0, -1
	s_and_saveexec_b32 s2, s1
	s_delay_alu instid0(SALU_CYCLE_1)
	s_xor_b32 s1, exec_lo, s2
	s_cbranch_execz .LBB177_98
; %bb.97:
	v_lshl_add_u32 v24, v56, 3, v50
	ds_load_b64 v[24:25], v24 offset:8
.LBB177_98:
	s_or_saveexec_b32 s1, s1
	v_dual_mov_b32 v27, v23 :: v_dual_mov_b32 v26, v22
	s_xor_b32 exec_lo, exec_lo, s1
	s_cbranch_execz .LBB177_100
; %bb.99:
	s_waitcnt lgkmcnt(0)
	v_lshl_add_u32 v24, v57, 3, v50
	ds_load_b64 v[26:27], v24 offset:8
	v_dual_mov_b32 v25, v21 :: v_dual_mov_b32 v24, v20
.LBB177_100:
	s_or_b32 exec_lo, exec_lo, s1
	v_add_nc_u32_e32 v28, 1, v56
	v_add_nc_u32_e32 v29, 1, v57
	s_waitcnt lgkmcnt(0)
	v_cmp_lt_i64_e64 s1, v[26:27], v[24:25]
	s_delay_alu instid0(VALU_DEP_3) | instskip(NEXT) | instid1(VALU_DEP_3)
	v_cndmask_b32_e64 v58, v28, v56, s0
	v_cndmask_b32_e64 v59, v57, v29, s0
                                        ; implicit-def: $vgpr28_vgpr29
	s_delay_alu instid0(VALU_DEP_2) | instskip(NEXT) | instid1(VALU_DEP_2)
	v_cmp_ge_i32_e64 s2, v58, v53
	v_cmp_lt_i32_e64 s3, v59, v48
	s_delay_alu instid0(VALU_DEP_2)
	s_or_b32 s1, s2, s1
	s_delay_alu instid0(VALU_DEP_1) | instid1(SALU_CYCLE_1)
	s_and_b32 s1, s3, s1
	s_delay_alu instid0(SALU_CYCLE_1) | instskip(NEXT) | instid1(SALU_CYCLE_1)
	s_xor_b32 s2, s1, -1
	s_and_saveexec_b32 s3, s2
	s_delay_alu instid0(SALU_CYCLE_1)
	s_xor_b32 s2, exec_lo, s3
	s_cbranch_execz .LBB177_102
; %bb.101:
	v_lshl_add_u32 v28, v58, 3, v50
	ds_load_b64 v[28:29], v28 offset:8
.LBB177_102:
	s_or_saveexec_b32 s2, s2
	v_dual_mov_b32 v31, v27 :: v_dual_mov_b32 v30, v26
	s_xor_b32 exec_lo, exec_lo, s2
	s_cbranch_execz .LBB177_104
; %bb.103:
	s_waitcnt lgkmcnt(0)
	v_lshl_add_u32 v28, v59, 3, v50
	ds_load_b64 v[30:31], v28 offset:8
	v_dual_mov_b32 v29, v25 :: v_dual_mov_b32 v28, v24
.LBB177_104:
	s_or_b32 exec_lo, exec_lo, s2
	v_add_nc_u32_e32 v32, 1, v58
	v_add_nc_u32_e32 v33, 1, v59
	s_waitcnt lgkmcnt(0)
	v_cmp_lt_i64_e64 s2, v[30:31], v[28:29]
	s_delay_alu instid0(VALU_DEP_3) | instskip(NEXT) | instid1(VALU_DEP_3)
	v_cndmask_b32_e64 v60, v32, v58, s1
	v_cndmask_b32_e64 v61, v59, v33, s1
                                        ; implicit-def: $vgpr32_vgpr33
	s_delay_alu instid0(VALU_DEP_2) | instskip(NEXT) | instid1(VALU_DEP_2)
	v_cmp_ge_i32_e64 s3, v60, v53
	v_cmp_lt_i32_e64 s4, v61, v48
	s_delay_alu instid0(VALU_DEP_2)
	s_or_b32 s2, s3, s2
	s_delay_alu instid0(VALU_DEP_1) | instid1(SALU_CYCLE_1)
	s_and_b32 s2, s4, s2
	s_delay_alu instid0(SALU_CYCLE_1) | instskip(NEXT) | instid1(SALU_CYCLE_1)
	s_xor_b32 s3, s2, -1
	s_and_saveexec_b32 s4, s3
	s_delay_alu instid0(SALU_CYCLE_1)
	s_xor_b32 s3, exec_lo, s4
	s_cbranch_execz .LBB177_106
; %bb.105:
	v_lshl_add_u32 v32, v60, 3, v50
	ds_load_b64 v[32:33], v32 offset:8
.LBB177_106:
	s_or_saveexec_b32 s3, s3
	v_dual_mov_b32 v37, v31 :: v_dual_mov_b32 v36, v30
	s_xor_b32 exec_lo, exec_lo, s3
	s_cbranch_execz .LBB177_108
; %bb.107:
	s_waitcnt lgkmcnt(0)
	v_lshl_add_u32 v32, v61, 3, v50
	ds_load_b64 v[36:37], v32 offset:8
	v_dual_mov_b32 v33, v29 :: v_dual_mov_b32 v32, v28
.LBB177_108:
	s_or_b32 exec_lo, exec_lo, s3
	v_add_nc_u32_e32 v34, 1, v60
	v_add_nc_u32_e32 v35, 1, v61
	s_waitcnt lgkmcnt(0)
	v_cmp_lt_i64_e64 s3, v[36:37], v[32:33]
                                        ; implicit-def: $vgpr40_vgpr41
	s_delay_alu instid0(VALU_DEP_3) | instskip(NEXT) | instid1(VALU_DEP_3)
	v_cndmask_b32_e64 v62, v34, v60, s2
	v_cndmask_b32_e64 v63, v61, v35, s2
	s_delay_alu instid0(VALU_DEP_2) | instskip(NEXT) | instid1(VALU_DEP_2)
	v_cmp_ge_i32_e64 s4, v62, v53
	v_cmp_lt_i32_e64 s5, v63, v48
	s_delay_alu instid0(VALU_DEP_2)
	s_or_b32 s3, s4, s3
	s_delay_alu instid0(VALU_DEP_1) | instid1(SALU_CYCLE_1)
	s_and_b32 s3, s5, s3
	s_delay_alu instid0(SALU_CYCLE_1) | instskip(NEXT) | instid1(SALU_CYCLE_1)
	s_xor_b32 s4, s3, -1
	s_and_saveexec_b32 s5, s4
	s_delay_alu instid0(SALU_CYCLE_1)
	s_xor_b32 s4, exec_lo, s5
	s_cbranch_execz .LBB177_110
; %bb.109:
	v_lshl_add_u32 v34, v62, 3, v50
	ds_load_b64 v[40:41], v34 offset:8
.LBB177_110:
	s_or_saveexec_b32 s4, s4
	v_dual_mov_b32 v43, v37 :: v_dual_mov_b32 v42, v36
	s_xor_b32 exec_lo, exec_lo, s4
	s_cbranch_execz .LBB177_112
; %bb.111:
	v_lshl_add_u32 v34, v63, 3, v50
	s_waitcnt lgkmcnt(0)
	v_dual_mov_b32 v41, v33 :: v_dual_mov_b32 v40, v32
	ds_load_b64 v[42:43], v34 offset:8
.LBB177_112:
	s_or_b32 exec_lo, exec_lo, s4
	v_add_nc_u32_e32 v34, 1, v62
	v_add_nc_u32_e32 v35, 1, v63
	s_waitcnt lgkmcnt(0)
	v_cmp_lt_i64_e64 s4, v[42:43], v[40:41]
                                        ; implicit-def: $vgpr44_vgpr45
	s_delay_alu instid0(VALU_DEP_3) | instskip(NEXT) | instid1(VALU_DEP_3)
	v_cndmask_b32_e64 v64, v34, v62, s3
	v_cndmask_b32_e64 v65, v63, v35, s3
	s_delay_alu instid0(VALU_DEP_2) | instskip(NEXT) | instid1(VALU_DEP_2)
	v_cmp_ge_i32_e64 s5, v64, v53
	v_cmp_lt_i32_e64 s6, v65, v48
	s_delay_alu instid0(VALU_DEP_2)
	s_or_b32 s4, s5, s4
	s_delay_alu instid0(VALU_DEP_1) | instid1(SALU_CYCLE_1)
	s_and_b32 s4, s6, s4
	s_delay_alu instid0(SALU_CYCLE_1) | instskip(NEXT) | instid1(SALU_CYCLE_1)
	s_xor_b32 s5, s4, -1
	s_and_saveexec_b32 s6, s5
	s_delay_alu instid0(SALU_CYCLE_1)
	s_xor_b32 s5, exec_lo, s6
	s_cbranch_execz .LBB177_114
; %bb.113:
	v_lshl_add_u32 v34, v64, 3, v50
	ds_load_b64 v[44:45], v34 offset:8
.LBB177_114:
	s_or_saveexec_b32 s5, s5
	v_dual_mov_b32 v47, v43 :: v_dual_mov_b32 v46, v42
	s_xor_b32 exec_lo, exec_lo, s5
	s_cbranch_execz .LBB177_116
; %bb.115:
	v_lshl_add_u32 v34, v65, 3, v50
	s_waitcnt lgkmcnt(0)
	v_dual_mov_b32 v45, v41 :: v_dual_mov_b32 v44, v40
	ds_load_b64 v[46:47], v34 offset:8
.LBB177_116:
	s_or_b32 exec_lo, exec_lo, s5
	v_add_nc_u32_e32 v34, 1, v64
	v_add_nc_u32_e32 v35, 1, v65
	s_waitcnt lgkmcnt(0)
	v_cmp_lt_i64_e64 s5, v[46:47], v[44:45]
	s_delay_alu instid0(VALU_DEP_3) | instskip(NEXT) | instid1(VALU_DEP_3)
	v_cndmask_b32_e64 v66, v34, v64, s4
	v_cndmask_b32_e64 v67, v65, v35, s4
                                        ; implicit-def: $vgpr34_vgpr35
	s_delay_alu instid0(VALU_DEP_2) | instskip(NEXT) | instid1(VALU_DEP_2)
	v_cmp_ge_i32_e64 s6, v66, v53
	v_cmp_lt_i32_e64 s7, v67, v48
	s_delay_alu instid0(VALU_DEP_2)
	s_or_b32 s5, s6, s5
	s_delay_alu instid0(VALU_DEP_1) | instid1(SALU_CYCLE_1)
	s_and_b32 s5, s7, s5
	s_delay_alu instid0(SALU_CYCLE_1) | instskip(NEXT) | instid1(SALU_CYCLE_1)
	s_xor_b32 s6, s5, -1
	s_and_saveexec_b32 s7, s6
	s_delay_alu instid0(SALU_CYCLE_1)
	s_xor_b32 s6, exec_lo, s7
	s_cbranch_execz .LBB177_118
; %bb.117:
	v_lshl_add_u32 v34, v66, 3, v50
	ds_load_b64 v[34:35], v34 offset:8
.LBB177_118:
	s_or_saveexec_b32 s6, s6
	v_dual_mov_b32 v38, v46 :: v_dual_mov_b32 v39, v47
	s_xor_b32 exec_lo, exec_lo, s6
	s_cbranch_execz .LBB177_120
; %bb.119:
	s_waitcnt lgkmcnt(0)
	v_lshl_add_u32 v34, v67, 3, v50
	ds_load_b64 v[38:39], v34 offset:8
	v_dual_mov_b32 v34, v44 :: v_dual_mov_b32 v35, v45
.LBB177_120:
	s_or_b32 exec_lo, exec_lo, s6
	v_add_nc_u32_e32 v69, 1, v66
	v_add_nc_u32_e32 v68, 1, v67
	v_cndmask_b32_e64 v45, v45, v47, s5
	v_cndmask_b32_e64 v44, v44, v46, s5
	;; [unrolled: 1-line block ×5, first 2 shown]
	v_cndmask_b32_e32 v21, v55, v54, vcc_lo
	v_cndmask_b32_e64 v46, v67, v68, s5
	v_cndmask_b32_e64 v33, v33, v37, s3
	;; [unrolled: 1-line block ×4, first 2 shown]
	s_waitcnt lgkmcnt(0)
	v_cmp_lt_i64_e64 s1, v[38:39], v[34:35]
	v_cndmask_b32_e64 v29, v29, v31, s2
	v_cndmask_b32_e64 v28, v28, v30, s2
	;; [unrolled: 1-line block ×3, first 2 shown]
	v_cmp_ge_i32_e64 s2, v47, v53
	v_cndmask_b32_e64 v32, v32, v36, s3
	v_cndmask_b32_e64 v36, v62, v63, s3
	v_cmp_lt_i32_e64 s3, v46, v48
	v_cndmask_b32_e64 v26, v20, v22, s0
	v_cndmask_b32_e64 v20, v56, v57, s0
	s_or_b32 s0, s2, s1
	; wave barrier
	ds_store_2addr_b64 v51, v[12:13], v[14:15] offset1:1
	ds_store_2addr_b64 v51, v[4:5], v[6:7] offset0:2 offset1:3
	ds_store_2addr_b64 v51, v[8:9], v[10:11] offset0:4 offset1:5
	ds_store_2addr_b64 v51, v[0:1], v[2:3] offset0:6 offset1:7
	v_lshl_add_u32 v0, v21, 3, v50
	v_cndmask_b32_e64 v40, v40, v42, s4
	v_cndmask_b32_e64 v42, v64, v65, s4
	s_and_b32 s0, s3, s0
	v_lshl_add_u32 v1, v20, 3, v50
	v_cndmask_b32_e64 v66, v66, v67, s5
	v_lshl_add_u32 v2, v37, 3, v50
	v_cndmask_b32_e64 v22, v47, v46, s0
	v_lshl_add_u32 v3, v30, 3, v50
	; wave barrier
	ds_load_b64 v[12:13], v0
	ds_load_b64 v[14:15], v1
	;; [unrolled: 1-line block ×4, first 2 shown]
	v_lshl_add_u32 v0, v36, 3, v50
	v_lshl_add_u32 v1, v42, 3, v50
	v_dual_cndmask_b32 v19, v17, v19 :: v_dual_and_b32 v20, 0xc0, v52
	v_lshl_add_u32 v2, v66, 3, v50
	v_lshl_add_u32 v3, v22, 3, v50
	ds_load_b64 v[8:9], v0
	ds_load_b64 v[10:11], v1
	;; [unrolled: 1-line block ×4, first 2 shown]
	v_or_b32_e32 v53, 32, v20
	v_add_nc_u32_e32 v48, 64, v20
	v_dual_cndmask_b32 v18, v16, v18 :: v_dual_and_b32 v21, 56, v52
	v_cndmask_b32_e64 v41, v41, v43, s4
	s_delay_alu instid0(VALU_DEP_4) | instskip(NEXT) | instid1(VALU_DEP_4)
	v_sub_nc_u32_e32 v17, v53, v20
	v_sub_nc_u32_e32 v22, v48, v53
	v_cndmask_b32_e64 v31, v35, v39, s0
	v_cndmask_b32_e64 v30, v34, v38, s0
	s_mov_b32 s1, 0
	v_min_i32_e32 v17, v21, v17
	v_sub_nc_u32_e32 v16, v21, v22
	v_cmp_ge_i32_e32 vcc_lo, v21, v22
	s_mov_b32 s0, exec_lo
	; wave barrier
	ds_store_2addr_b64 v51, v[18:19], v[26:27] offset1:1
	ds_store_2addr_b64 v51, v[24:25], v[28:29] offset0:2 offset1:3
	v_cndmask_b32_e32 v22, 0, v16, vcc_lo
	v_lshl_add_u32 v16, v20, 3, v50
	ds_store_2addr_b64 v51, v[32:33], v[40:41] offset0:4 offset1:5
	ds_store_2addr_b64 v51, v[44:45], v[30:31] offset0:6 offset1:7
	; wave barrier
	v_cmpx_lt_i32_e64 v22, v17
	s_cbranch_execz .LBB177_124
; %bb.121:
	v_lshlrev_b32_e32 v18, 3, v53
	v_lshlrev_b32_e32 v19, 3, v21
	s_delay_alu instid0(VALU_DEP_1)
	v_add3_u32 v18, v50, v18, v19
	.p2align	6
.LBB177_122:                            ; =>This Inner Loop Header: Depth=1
	v_sub_nc_u32_e32 v19, v17, v22
	s_delay_alu instid0(VALU_DEP_1) | instskip(NEXT) | instid1(VALU_DEP_1)
	v_lshrrev_b32_e32 v23, 31, v19
	v_add_nc_u32_e32 v19, v19, v23
	s_delay_alu instid0(VALU_DEP_1) | instskip(NEXT) | instid1(VALU_DEP_1)
	v_ashrrev_i32_e32 v19, 1, v19
	v_add_nc_u32_e32 v19, v19, v22
	s_delay_alu instid0(VALU_DEP_1) | instskip(SKIP_1) | instid1(VALU_DEP_2)
	v_not_b32_e32 v23, v19
	v_lshl_add_u32 v24, v19, 3, v16
	v_lshl_add_u32 v25, v23, 3, v18
	ds_load_b64 v[23:24], v24
	ds_load_b64 v[25:26], v25
	s_waitcnt lgkmcnt(0)
	v_cmp_lt_i64_e32 vcc_lo, v[25:26], v[23:24]
	v_add_nc_u32_e32 v23, 1, v19
	s_delay_alu instid0(VALU_DEP_1) | instskip(NEXT) | instid1(VALU_DEP_1)
	v_dual_cndmask_b32 v17, v17, v19 :: v_dual_cndmask_b32 v22, v23, v22
	v_cmp_ge_i32_e32 vcc_lo, v22, v17
	s_or_b32 s1, vcc_lo, s1
	s_delay_alu instid0(SALU_CYCLE_1)
	s_and_not1_b32 exec_lo, exec_lo, s1
	s_cbranch_execnz .LBB177_122
; %bb.123:
	s_or_b32 exec_lo, exec_lo, s1
.LBB177_124:
	s_delay_alu instid0(SALU_CYCLE_1) | instskip(SKIP_3) | instid1(VALU_DEP_3)
	s_or_b32 exec_lo, exec_lo, s0
	v_add_nc_u32_e32 v17, v53, v21
	v_lshl_add_u32 v23, v22, 3, v16
	v_add_nc_u32_e32 v55, v22, v20
                                        ; implicit-def: $vgpr20_vgpr21
	v_sub_nc_u32_e32 v54, v17, v22
	s_delay_alu instid0(VALU_DEP_2) | instskip(NEXT) | instid1(VALU_DEP_2)
	v_cmp_le_i32_e64 s0, v53, v55
	v_lshl_add_u32 v24, v54, 3, v50
	v_cmp_gt_i32_e64 s1, v48, v54
	ds_load_b64 v[16:17], v23
	ds_load_b64 v[18:19], v24
	s_waitcnt lgkmcnt(0)
	v_cmp_lt_i64_e32 vcc_lo, v[18:19], v[16:17]
	s_or_b32 s0, s0, vcc_lo
	s_delay_alu instid0(SALU_CYCLE_1) | instskip(NEXT) | instid1(SALU_CYCLE_1)
	s_and_b32 vcc_lo, s1, s0
	s_xor_b32 s0, vcc_lo, -1
	s_delay_alu instid0(SALU_CYCLE_1) | instskip(NEXT) | instid1(SALU_CYCLE_1)
	s_and_saveexec_b32 s1, s0
	s_xor_b32 s0, exec_lo, s1
	s_cbranch_execz .LBB177_126
; %bb.125:
	ds_load_b64 v[20:21], v23 offset:8
                                        ; implicit-def: $vgpr24
.LBB177_126:
	s_or_saveexec_b32 s0, s0
	v_dual_mov_b32 v23, v19 :: v_dual_mov_b32 v22, v18
	s_xor_b32 exec_lo, exec_lo, s0
	s_cbranch_execz .LBB177_128
; %bb.127:
	ds_load_b64 v[22:23], v24 offset:8
	s_waitcnt lgkmcnt(1)
	v_dual_mov_b32 v21, v17 :: v_dual_mov_b32 v20, v16
.LBB177_128:
	s_or_b32 exec_lo, exec_lo, s0
	v_add_nc_u32_e32 v25, 1, v54
	v_add_nc_u32_e32 v24, 1, v55
	s_waitcnt lgkmcnt(0)
	v_cmp_lt_i64_e64 s0, v[22:23], v[20:21]
	s_delay_alu instid0(VALU_DEP_2) | instskip(NEXT) | instid1(VALU_DEP_1)
	v_dual_cndmask_b32 v57, v54, v25 :: v_dual_cndmask_b32 v56, v24, v55
                                        ; implicit-def: $vgpr24_vgpr25
	v_cmp_lt_i32_e64 s2, v57, v48
	s_delay_alu instid0(VALU_DEP_2) | instskip(NEXT) | instid1(VALU_DEP_1)
	v_cmp_ge_i32_e64 s1, v56, v53
	s_or_b32 s0, s1, s0
	s_delay_alu instid0(VALU_DEP_2) | instid1(SALU_CYCLE_1)
	s_and_b32 s0, s2, s0
	s_delay_alu instid0(SALU_CYCLE_1) | instskip(NEXT) | instid1(SALU_CYCLE_1)
	s_xor_b32 s1, s0, -1
	s_and_saveexec_b32 s2, s1
	s_delay_alu instid0(SALU_CYCLE_1)
	s_xor_b32 s1, exec_lo, s2
	s_cbranch_execz .LBB177_130
; %bb.129:
	v_lshl_add_u32 v24, v56, 3, v50
	ds_load_b64 v[24:25], v24 offset:8
.LBB177_130:
	s_or_saveexec_b32 s1, s1
	v_dual_mov_b32 v27, v23 :: v_dual_mov_b32 v26, v22
	s_xor_b32 exec_lo, exec_lo, s1
	s_cbranch_execz .LBB177_132
; %bb.131:
	s_waitcnt lgkmcnt(0)
	v_lshl_add_u32 v24, v57, 3, v50
	ds_load_b64 v[26:27], v24 offset:8
	v_dual_mov_b32 v25, v21 :: v_dual_mov_b32 v24, v20
.LBB177_132:
	s_or_b32 exec_lo, exec_lo, s1
	v_add_nc_u32_e32 v28, 1, v56
	v_add_nc_u32_e32 v29, 1, v57
	s_waitcnt lgkmcnt(0)
	v_cmp_lt_i64_e64 s1, v[26:27], v[24:25]
	s_delay_alu instid0(VALU_DEP_3) | instskip(NEXT) | instid1(VALU_DEP_3)
	v_cndmask_b32_e64 v58, v28, v56, s0
	v_cndmask_b32_e64 v59, v57, v29, s0
                                        ; implicit-def: $vgpr28_vgpr29
	s_delay_alu instid0(VALU_DEP_2) | instskip(NEXT) | instid1(VALU_DEP_2)
	v_cmp_ge_i32_e64 s2, v58, v53
	v_cmp_lt_i32_e64 s3, v59, v48
	s_delay_alu instid0(VALU_DEP_2)
	s_or_b32 s1, s2, s1
	s_delay_alu instid0(VALU_DEP_1) | instid1(SALU_CYCLE_1)
	s_and_b32 s1, s3, s1
	s_delay_alu instid0(SALU_CYCLE_1) | instskip(NEXT) | instid1(SALU_CYCLE_1)
	s_xor_b32 s2, s1, -1
	s_and_saveexec_b32 s3, s2
	s_delay_alu instid0(SALU_CYCLE_1)
	s_xor_b32 s2, exec_lo, s3
	s_cbranch_execz .LBB177_134
; %bb.133:
	v_lshl_add_u32 v28, v58, 3, v50
	ds_load_b64 v[28:29], v28 offset:8
.LBB177_134:
	s_or_saveexec_b32 s2, s2
	v_dual_mov_b32 v31, v27 :: v_dual_mov_b32 v30, v26
	s_xor_b32 exec_lo, exec_lo, s2
	s_cbranch_execz .LBB177_136
; %bb.135:
	s_waitcnt lgkmcnt(0)
	v_lshl_add_u32 v28, v59, 3, v50
	ds_load_b64 v[30:31], v28 offset:8
	v_dual_mov_b32 v29, v25 :: v_dual_mov_b32 v28, v24
.LBB177_136:
	s_or_b32 exec_lo, exec_lo, s2
	v_add_nc_u32_e32 v32, 1, v58
	v_add_nc_u32_e32 v33, 1, v59
	s_waitcnt lgkmcnt(0)
	v_cmp_lt_i64_e64 s2, v[30:31], v[28:29]
	s_delay_alu instid0(VALU_DEP_3) | instskip(NEXT) | instid1(VALU_DEP_3)
	v_cndmask_b32_e64 v60, v32, v58, s1
	v_cndmask_b32_e64 v61, v59, v33, s1
                                        ; implicit-def: $vgpr32_vgpr33
	s_delay_alu instid0(VALU_DEP_2) | instskip(NEXT) | instid1(VALU_DEP_2)
	v_cmp_ge_i32_e64 s3, v60, v53
	v_cmp_lt_i32_e64 s4, v61, v48
	s_delay_alu instid0(VALU_DEP_2)
	s_or_b32 s2, s3, s2
	s_delay_alu instid0(VALU_DEP_1) | instid1(SALU_CYCLE_1)
	s_and_b32 s2, s4, s2
	s_delay_alu instid0(SALU_CYCLE_1) | instskip(NEXT) | instid1(SALU_CYCLE_1)
	s_xor_b32 s3, s2, -1
	s_and_saveexec_b32 s4, s3
	s_delay_alu instid0(SALU_CYCLE_1)
	s_xor_b32 s3, exec_lo, s4
	s_cbranch_execz .LBB177_138
; %bb.137:
	v_lshl_add_u32 v32, v60, 3, v50
	ds_load_b64 v[32:33], v32 offset:8
.LBB177_138:
	s_or_saveexec_b32 s3, s3
	v_dual_mov_b32 v37, v31 :: v_dual_mov_b32 v36, v30
	s_xor_b32 exec_lo, exec_lo, s3
	s_cbranch_execz .LBB177_140
; %bb.139:
	s_waitcnt lgkmcnt(0)
	v_lshl_add_u32 v32, v61, 3, v50
	ds_load_b64 v[36:37], v32 offset:8
	v_dual_mov_b32 v33, v29 :: v_dual_mov_b32 v32, v28
.LBB177_140:
	s_or_b32 exec_lo, exec_lo, s3
	v_add_nc_u32_e32 v34, 1, v60
	v_add_nc_u32_e32 v35, 1, v61
	s_waitcnt lgkmcnt(0)
	v_cmp_lt_i64_e64 s3, v[36:37], v[32:33]
                                        ; implicit-def: $vgpr40_vgpr41
	s_delay_alu instid0(VALU_DEP_3) | instskip(NEXT) | instid1(VALU_DEP_3)
	v_cndmask_b32_e64 v62, v34, v60, s2
	v_cndmask_b32_e64 v63, v61, v35, s2
	s_delay_alu instid0(VALU_DEP_2) | instskip(NEXT) | instid1(VALU_DEP_2)
	v_cmp_ge_i32_e64 s4, v62, v53
	v_cmp_lt_i32_e64 s5, v63, v48
	s_delay_alu instid0(VALU_DEP_2)
	s_or_b32 s3, s4, s3
	s_delay_alu instid0(VALU_DEP_1) | instid1(SALU_CYCLE_1)
	s_and_b32 s3, s5, s3
	s_delay_alu instid0(SALU_CYCLE_1) | instskip(NEXT) | instid1(SALU_CYCLE_1)
	s_xor_b32 s4, s3, -1
	s_and_saveexec_b32 s5, s4
	s_delay_alu instid0(SALU_CYCLE_1)
	s_xor_b32 s4, exec_lo, s5
	s_cbranch_execz .LBB177_142
; %bb.141:
	v_lshl_add_u32 v34, v62, 3, v50
	ds_load_b64 v[40:41], v34 offset:8
.LBB177_142:
	s_or_saveexec_b32 s4, s4
	v_dual_mov_b32 v43, v37 :: v_dual_mov_b32 v42, v36
	s_xor_b32 exec_lo, exec_lo, s4
	s_cbranch_execz .LBB177_144
; %bb.143:
	v_lshl_add_u32 v34, v63, 3, v50
	s_waitcnt lgkmcnt(0)
	v_dual_mov_b32 v41, v33 :: v_dual_mov_b32 v40, v32
	ds_load_b64 v[42:43], v34 offset:8
.LBB177_144:
	s_or_b32 exec_lo, exec_lo, s4
	v_add_nc_u32_e32 v34, 1, v62
	v_add_nc_u32_e32 v35, 1, v63
	s_waitcnt lgkmcnt(0)
	v_cmp_lt_i64_e64 s4, v[42:43], v[40:41]
                                        ; implicit-def: $vgpr44_vgpr45
	s_delay_alu instid0(VALU_DEP_3) | instskip(NEXT) | instid1(VALU_DEP_3)
	v_cndmask_b32_e64 v64, v34, v62, s3
	v_cndmask_b32_e64 v65, v63, v35, s3
	s_delay_alu instid0(VALU_DEP_2) | instskip(NEXT) | instid1(VALU_DEP_2)
	v_cmp_ge_i32_e64 s5, v64, v53
	v_cmp_lt_i32_e64 s6, v65, v48
	s_delay_alu instid0(VALU_DEP_2)
	s_or_b32 s4, s5, s4
	s_delay_alu instid0(VALU_DEP_1) | instid1(SALU_CYCLE_1)
	s_and_b32 s4, s6, s4
	s_delay_alu instid0(SALU_CYCLE_1) | instskip(NEXT) | instid1(SALU_CYCLE_1)
	s_xor_b32 s5, s4, -1
	s_and_saveexec_b32 s6, s5
	s_delay_alu instid0(SALU_CYCLE_1)
	s_xor_b32 s5, exec_lo, s6
	s_cbranch_execz .LBB177_146
; %bb.145:
	v_lshl_add_u32 v34, v64, 3, v50
	ds_load_b64 v[44:45], v34 offset:8
.LBB177_146:
	s_or_saveexec_b32 s5, s5
	v_dual_mov_b32 v47, v43 :: v_dual_mov_b32 v46, v42
	s_xor_b32 exec_lo, exec_lo, s5
	s_cbranch_execz .LBB177_148
; %bb.147:
	v_lshl_add_u32 v34, v65, 3, v50
	s_waitcnt lgkmcnt(0)
	v_dual_mov_b32 v45, v41 :: v_dual_mov_b32 v44, v40
	ds_load_b64 v[46:47], v34 offset:8
.LBB177_148:
	s_or_b32 exec_lo, exec_lo, s5
	v_add_nc_u32_e32 v34, 1, v64
	v_add_nc_u32_e32 v35, 1, v65
	s_waitcnt lgkmcnt(0)
	v_cmp_lt_i64_e64 s5, v[46:47], v[44:45]
	s_delay_alu instid0(VALU_DEP_3) | instskip(NEXT) | instid1(VALU_DEP_3)
	v_cndmask_b32_e64 v66, v34, v64, s4
	v_cndmask_b32_e64 v67, v65, v35, s4
                                        ; implicit-def: $vgpr34_vgpr35
	s_delay_alu instid0(VALU_DEP_2) | instskip(NEXT) | instid1(VALU_DEP_2)
	v_cmp_ge_i32_e64 s6, v66, v53
	v_cmp_lt_i32_e64 s7, v67, v48
	s_delay_alu instid0(VALU_DEP_2)
	s_or_b32 s5, s6, s5
	s_delay_alu instid0(VALU_DEP_1) | instid1(SALU_CYCLE_1)
	s_and_b32 s5, s7, s5
	s_delay_alu instid0(SALU_CYCLE_1) | instskip(NEXT) | instid1(SALU_CYCLE_1)
	s_xor_b32 s6, s5, -1
	s_and_saveexec_b32 s7, s6
	s_delay_alu instid0(SALU_CYCLE_1)
	s_xor_b32 s6, exec_lo, s7
	s_cbranch_execz .LBB177_150
; %bb.149:
	v_lshl_add_u32 v34, v66, 3, v50
	ds_load_b64 v[34:35], v34 offset:8
.LBB177_150:
	s_or_saveexec_b32 s6, s6
	v_dual_mov_b32 v38, v46 :: v_dual_mov_b32 v39, v47
	s_xor_b32 exec_lo, exec_lo, s6
	s_cbranch_execz .LBB177_152
; %bb.151:
	s_waitcnt lgkmcnt(0)
	v_lshl_add_u32 v34, v67, 3, v50
	ds_load_b64 v[38:39], v34 offset:8
	v_dual_mov_b32 v34, v44 :: v_dual_mov_b32 v35, v45
.LBB177_152:
	s_or_b32 exec_lo, exec_lo, s6
	v_add_nc_u32_e32 v69, 1, v66
	v_add_nc_u32_e32 v68, 1, v67
	v_cndmask_b32_e64 v45, v45, v47, s5
	v_cndmask_b32_e64 v44, v44, v46, s5
	;; [unrolled: 1-line block ×5, first 2 shown]
	v_cndmask_b32_e32 v21, v55, v54, vcc_lo
	v_cndmask_b32_e64 v46, v67, v68, s5
	v_cndmask_b32_e64 v33, v33, v37, s3
	;; [unrolled: 1-line block ×4, first 2 shown]
	s_waitcnt lgkmcnt(0)
	v_cmp_lt_i64_e64 s1, v[38:39], v[34:35]
	v_cndmask_b32_e64 v29, v29, v31, s2
	v_cndmask_b32_e64 v28, v28, v30, s2
	v_cndmask_b32_e64 v30, v60, v61, s2
	v_cmp_ge_i32_e64 s2, v47, v53
	v_cndmask_b32_e64 v32, v32, v36, s3
	v_cndmask_b32_e64 v36, v62, v63, s3
	v_cmp_lt_i32_e64 s3, v46, v48
	v_cndmask_b32_e64 v26, v20, v22, s0
	v_cndmask_b32_e64 v20, v56, v57, s0
	s_or_b32 s0, s2, s1
	; wave barrier
	ds_store_2addr_b64 v51, v[12:13], v[14:15] offset1:1
	ds_store_2addr_b64 v51, v[4:5], v[6:7] offset0:2 offset1:3
	ds_store_2addr_b64 v51, v[8:9], v[10:11] offset0:4 offset1:5
	;; [unrolled: 1-line block ×3, first 2 shown]
	v_lshl_add_u32 v0, v21, 3, v50
	v_cndmask_b32_e64 v40, v40, v42, s4
	v_cndmask_b32_e64 v42, v64, v65, s4
	s_and_b32 s0, s3, s0
	v_lshl_add_u32 v1, v20, 3, v50
	v_cndmask_b32_e64 v66, v66, v67, s5
	v_lshl_add_u32 v2, v37, 3, v50
	v_cndmask_b32_e64 v22, v47, v46, s0
	v_lshl_add_u32 v3, v30, 3, v50
	; wave barrier
	ds_load_b64 v[12:13], v0
	ds_load_b64 v[14:15], v1
	;; [unrolled: 1-line block ×4, first 2 shown]
	v_lshl_add_u32 v0, v36, 3, v50
	v_lshl_add_u32 v1, v42, 3, v50
	v_dual_cndmask_b32 v19, v17, v19 :: v_dual_and_b32 v20, 0x80, v52
	v_lshl_add_u32 v2, v66, 3, v50
	v_lshl_add_u32 v3, v22, 3, v50
	ds_load_b64 v[8:9], v0
	ds_load_b64 v[10:11], v1
	;; [unrolled: 1-line block ×4, first 2 shown]
	v_or_b32_e32 v53, 64, v20
	v_add_nc_u32_e32 v48, 0x80, v20
	v_dual_cndmask_b32 v18, v16, v18 :: v_dual_and_b32 v21, 0x78, v52
	v_cndmask_b32_e64 v41, v41, v43, s4
	s_delay_alu instid0(VALU_DEP_4) | instskip(NEXT) | instid1(VALU_DEP_4)
	v_sub_nc_u32_e32 v17, v53, v20
	v_sub_nc_u32_e32 v22, v48, v53
	v_cndmask_b32_e64 v31, v35, v39, s0
	v_cndmask_b32_e64 v30, v34, v38, s0
	s_mov_b32 s1, 0
	v_min_i32_e32 v17, v21, v17
	v_sub_nc_u32_e32 v16, v21, v22
	v_cmp_ge_i32_e32 vcc_lo, v21, v22
	s_mov_b32 s0, exec_lo
	; wave barrier
	ds_store_2addr_b64 v51, v[18:19], v[26:27] offset1:1
	ds_store_2addr_b64 v51, v[24:25], v[28:29] offset0:2 offset1:3
	v_cndmask_b32_e32 v22, 0, v16, vcc_lo
	v_lshl_add_u32 v16, v20, 3, v50
	ds_store_2addr_b64 v51, v[32:33], v[40:41] offset0:4 offset1:5
	ds_store_2addr_b64 v51, v[44:45], v[30:31] offset0:6 offset1:7
	; wave barrier
	v_cmpx_lt_i32_e64 v22, v17
	s_cbranch_execz .LBB177_156
; %bb.153:
	v_lshlrev_b32_e32 v18, 3, v53
	v_lshlrev_b32_e32 v19, 3, v21
	s_delay_alu instid0(VALU_DEP_1)
	v_add3_u32 v18, v50, v18, v19
	.p2align	6
.LBB177_154:                            ; =>This Inner Loop Header: Depth=1
	v_sub_nc_u32_e32 v19, v17, v22
	s_delay_alu instid0(VALU_DEP_1) | instskip(NEXT) | instid1(VALU_DEP_1)
	v_lshrrev_b32_e32 v23, 31, v19
	v_add_nc_u32_e32 v19, v19, v23
	s_delay_alu instid0(VALU_DEP_1) | instskip(NEXT) | instid1(VALU_DEP_1)
	v_ashrrev_i32_e32 v19, 1, v19
	v_add_nc_u32_e32 v19, v19, v22
	s_delay_alu instid0(VALU_DEP_1) | instskip(SKIP_1) | instid1(VALU_DEP_2)
	v_not_b32_e32 v23, v19
	v_lshl_add_u32 v24, v19, 3, v16
	v_lshl_add_u32 v25, v23, 3, v18
	ds_load_b64 v[23:24], v24
	ds_load_b64 v[25:26], v25
	s_waitcnt lgkmcnt(0)
	v_cmp_lt_i64_e32 vcc_lo, v[25:26], v[23:24]
	v_add_nc_u32_e32 v23, 1, v19
	s_delay_alu instid0(VALU_DEP_1) | instskip(NEXT) | instid1(VALU_DEP_1)
	v_dual_cndmask_b32 v17, v17, v19 :: v_dual_cndmask_b32 v22, v23, v22
	v_cmp_ge_i32_e32 vcc_lo, v22, v17
	s_or_b32 s1, vcc_lo, s1
	s_delay_alu instid0(SALU_CYCLE_1)
	s_and_not1_b32 exec_lo, exec_lo, s1
	s_cbranch_execnz .LBB177_154
; %bb.155:
	s_or_b32 exec_lo, exec_lo, s1
.LBB177_156:
	s_delay_alu instid0(SALU_CYCLE_1) | instskip(SKIP_3) | instid1(VALU_DEP_3)
	s_or_b32 exec_lo, exec_lo, s0
	v_add_nc_u32_e32 v17, v53, v21
	v_lshl_add_u32 v23, v22, 3, v16
	v_add_nc_u32_e32 v55, v22, v20
                                        ; implicit-def: $vgpr20_vgpr21
	v_sub_nc_u32_e32 v54, v17, v22
	s_delay_alu instid0(VALU_DEP_2) | instskip(NEXT) | instid1(VALU_DEP_2)
	v_cmp_le_i32_e64 s0, v53, v55
	v_lshl_add_u32 v24, v54, 3, v50
	v_cmp_gt_i32_e64 s1, v48, v54
	ds_load_b64 v[16:17], v23
	ds_load_b64 v[18:19], v24
	s_waitcnt lgkmcnt(0)
	v_cmp_lt_i64_e32 vcc_lo, v[18:19], v[16:17]
	s_or_b32 s0, s0, vcc_lo
	s_delay_alu instid0(SALU_CYCLE_1) | instskip(NEXT) | instid1(SALU_CYCLE_1)
	s_and_b32 vcc_lo, s1, s0
	s_xor_b32 s0, vcc_lo, -1
	s_delay_alu instid0(SALU_CYCLE_1) | instskip(NEXT) | instid1(SALU_CYCLE_1)
	s_and_saveexec_b32 s1, s0
	s_xor_b32 s0, exec_lo, s1
	s_cbranch_execz .LBB177_158
; %bb.157:
	ds_load_b64 v[20:21], v23 offset:8
                                        ; implicit-def: $vgpr24
.LBB177_158:
	s_or_saveexec_b32 s0, s0
	v_dual_mov_b32 v23, v19 :: v_dual_mov_b32 v22, v18
	s_xor_b32 exec_lo, exec_lo, s0
	s_cbranch_execz .LBB177_160
; %bb.159:
	ds_load_b64 v[22:23], v24 offset:8
	s_waitcnt lgkmcnt(1)
	v_dual_mov_b32 v21, v17 :: v_dual_mov_b32 v20, v16
.LBB177_160:
	s_or_b32 exec_lo, exec_lo, s0
	v_add_nc_u32_e32 v25, 1, v54
	v_add_nc_u32_e32 v24, 1, v55
	s_waitcnt lgkmcnt(0)
	v_cmp_lt_i64_e64 s0, v[22:23], v[20:21]
	s_delay_alu instid0(VALU_DEP_2) | instskip(NEXT) | instid1(VALU_DEP_1)
	v_dual_cndmask_b32 v57, v54, v25 :: v_dual_cndmask_b32 v56, v24, v55
                                        ; implicit-def: $vgpr24_vgpr25
	v_cmp_lt_i32_e64 s2, v57, v48
	s_delay_alu instid0(VALU_DEP_2) | instskip(NEXT) | instid1(VALU_DEP_1)
	v_cmp_ge_i32_e64 s1, v56, v53
	s_or_b32 s0, s1, s0
	s_delay_alu instid0(VALU_DEP_2) | instid1(SALU_CYCLE_1)
	s_and_b32 s0, s2, s0
	s_delay_alu instid0(SALU_CYCLE_1) | instskip(NEXT) | instid1(SALU_CYCLE_1)
	s_xor_b32 s1, s0, -1
	s_and_saveexec_b32 s2, s1
	s_delay_alu instid0(SALU_CYCLE_1)
	s_xor_b32 s1, exec_lo, s2
	s_cbranch_execz .LBB177_162
; %bb.161:
	v_lshl_add_u32 v24, v56, 3, v50
	ds_load_b64 v[24:25], v24 offset:8
.LBB177_162:
	s_or_saveexec_b32 s1, s1
	v_dual_mov_b32 v27, v23 :: v_dual_mov_b32 v26, v22
	s_xor_b32 exec_lo, exec_lo, s1
	s_cbranch_execz .LBB177_164
; %bb.163:
	s_waitcnt lgkmcnt(0)
	v_lshl_add_u32 v24, v57, 3, v50
	ds_load_b64 v[26:27], v24 offset:8
	v_dual_mov_b32 v25, v21 :: v_dual_mov_b32 v24, v20
.LBB177_164:
	s_or_b32 exec_lo, exec_lo, s1
	v_add_nc_u32_e32 v28, 1, v56
	v_add_nc_u32_e32 v29, 1, v57
	s_waitcnt lgkmcnt(0)
	v_cmp_lt_i64_e64 s1, v[26:27], v[24:25]
	s_delay_alu instid0(VALU_DEP_3) | instskip(NEXT) | instid1(VALU_DEP_3)
	v_cndmask_b32_e64 v58, v28, v56, s0
	v_cndmask_b32_e64 v59, v57, v29, s0
                                        ; implicit-def: $vgpr28_vgpr29
	s_delay_alu instid0(VALU_DEP_2) | instskip(NEXT) | instid1(VALU_DEP_2)
	v_cmp_ge_i32_e64 s2, v58, v53
	v_cmp_lt_i32_e64 s3, v59, v48
	s_delay_alu instid0(VALU_DEP_2)
	s_or_b32 s1, s2, s1
	s_delay_alu instid0(VALU_DEP_1) | instid1(SALU_CYCLE_1)
	s_and_b32 s1, s3, s1
	s_delay_alu instid0(SALU_CYCLE_1) | instskip(NEXT) | instid1(SALU_CYCLE_1)
	s_xor_b32 s2, s1, -1
	s_and_saveexec_b32 s3, s2
	s_delay_alu instid0(SALU_CYCLE_1)
	s_xor_b32 s2, exec_lo, s3
	s_cbranch_execz .LBB177_166
; %bb.165:
	v_lshl_add_u32 v28, v58, 3, v50
	ds_load_b64 v[28:29], v28 offset:8
.LBB177_166:
	s_or_saveexec_b32 s2, s2
	v_dual_mov_b32 v31, v27 :: v_dual_mov_b32 v30, v26
	s_xor_b32 exec_lo, exec_lo, s2
	s_cbranch_execz .LBB177_168
; %bb.167:
	s_waitcnt lgkmcnt(0)
	v_lshl_add_u32 v28, v59, 3, v50
	ds_load_b64 v[30:31], v28 offset:8
	v_dual_mov_b32 v29, v25 :: v_dual_mov_b32 v28, v24
.LBB177_168:
	s_or_b32 exec_lo, exec_lo, s2
	v_add_nc_u32_e32 v32, 1, v58
	v_add_nc_u32_e32 v33, 1, v59
	s_waitcnt lgkmcnt(0)
	v_cmp_lt_i64_e64 s2, v[30:31], v[28:29]
	s_delay_alu instid0(VALU_DEP_3) | instskip(NEXT) | instid1(VALU_DEP_3)
	v_cndmask_b32_e64 v60, v32, v58, s1
	v_cndmask_b32_e64 v61, v59, v33, s1
                                        ; implicit-def: $vgpr32_vgpr33
	s_delay_alu instid0(VALU_DEP_2) | instskip(NEXT) | instid1(VALU_DEP_2)
	v_cmp_ge_i32_e64 s3, v60, v53
	v_cmp_lt_i32_e64 s4, v61, v48
	s_delay_alu instid0(VALU_DEP_2)
	s_or_b32 s2, s3, s2
	s_delay_alu instid0(VALU_DEP_1) | instid1(SALU_CYCLE_1)
	s_and_b32 s2, s4, s2
	s_delay_alu instid0(SALU_CYCLE_1) | instskip(NEXT) | instid1(SALU_CYCLE_1)
	s_xor_b32 s3, s2, -1
	s_and_saveexec_b32 s4, s3
	s_delay_alu instid0(SALU_CYCLE_1)
	s_xor_b32 s3, exec_lo, s4
	s_cbranch_execz .LBB177_170
; %bb.169:
	v_lshl_add_u32 v32, v60, 3, v50
	ds_load_b64 v[32:33], v32 offset:8
.LBB177_170:
	s_or_saveexec_b32 s3, s3
	v_dual_mov_b32 v37, v31 :: v_dual_mov_b32 v36, v30
	s_xor_b32 exec_lo, exec_lo, s3
	s_cbranch_execz .LBB177_172
; %bb.171:
	s_waitcnt lgkmcnt(0)
	v_lshl_add_u32 v32, v61, 3, v50
	ds_load_b64 v[36:37], v32 offset:8
	v_dual_mov_b32 v33, v29 :: v_dual_mov_b32 v32, v28
.LBB177_172:
	s_or_b32 exec_lo, exec_lo, s3
	v_add_nc_u32_e32 v34, 1, v60
	v_add_nc_u32_e32 v35, 1, v61
	s_waitcnt lgkmcnt(0)
	v_cmp_lt_i64_e64 s3, v[36:37], v[32:33]
                                        ; implicit-def: $vgpr40_vgpr41
	s_delay_alu instid0(VALU_DEP_3) | instskip(NEXT) | instid1(VALU_DEP_3)
	v_cndmask_b32_e64 v62, v34, v60, s2
	v_cndmask_b32_e64 v63, v61, v35, s2
	s_delay_alu instid0(VALU_DEP_2) | instskip(NEXT) | instid1(VALU_DEP_2)
	v_cmp_ge_i32_e64 s4, v62, v53
	v_cmp_lt_i32_e64 s5, v63, v48
	s_delay_alu instid0(VALU_DEP_2)
	s_or_b32 s3, s4, s3
	s_delay_alu instid0(VALU_DEP_1) | instid1(SALU_CYCLE_1)
	s_and_b32 s3, s5, s3
	s_delay_alu instid0(SALU_CYCLE_1) | instskip(NEXT) | instid1(SALU_CYCLE_1)
	s_xor_b32 s4, s3, -1
	s_and_saveexec_b32 s5, s4
	s_delay_alu instid0(SALU_CYCLE_1)
	s_xor_b32 s4, exec_lo, s5
	s_cbranch_execz .LBB177_174
; %bb.173:
	v_lshl_add_u32 v34, v62, 3, v50
	ds_load_b64 v[40:41], v34 offset:8
.LBB177_174:
	s_or_saveexec_b32 s4, s4
	v_dual_mov_b32 v43, v37 :: v_dual_mov_b32 v42, v36
	s_xor_b32 exec_lo, exec_lo, s4
	s_cbranch_execz .LBB177_176
; %bb.175:
	v_lshl_add_u32 v34, v63, 3, v50
	s_waitcnt lgkmcnt(0)
	v_dual_mov_b32 v41, v33 :: v_dual_mov_b32 v40, v32
	ds_load_b64 v[42:43], v34 offset:8
.LBB177_176:
	s_or_b32 exec_lo, exec_lo, s4
	v_add_nc_u32_e32 v34, 1, v62
	v_add_nc_u32_e32 v35, 1, v63
	s_waitcnt lgkmcnt(0)
	v_cmp_lt_i64_e64 s4, v[42:43], v[40:41]
                                        ; implicit-def: $vgpr44_vgpr45
	s_delay_alu instid0(VALU_DEP_3) | instskip(NEXT) | instid1(VALU_DEP_3)
	v_cndmask_b32_e64 v64, v34, v62, s3
	v_cndmask_b32_e64 v65, v63, v35, s3
	s_delay_alu instid0(VALU_DEP_2) | instskip(NEXT) | instid1(VALU_DEP_2)
	v_cmp_ge_i32_e64 s5, v64, v53
	v_cmp_lt_i32_e64 s6, v65, v48
	s_delay_alu instid0(VALU_DEP_2)
	s_or_b32 s4, s5, s4
	s_delay_alu instid0(VALU_DEP_1) | instid1(SALU_CYCLE_1)
	s_and_b32 s4, s6, s4
	s_delay_alu instid0(SALU_CYCLE_1) | instskip(NEXT) | instid1(SALU_CYCLE_1)
	s_xor_b32 s5, s4, -1
	s_and_saveexec_b32 s6, s5
	s_delay_alu instid0(SALU_CYCLE_1)
	s_xor_b32 s5, exec_lo, s6
	s_cbranch_execz .LBB177_178
; %bb.177:
	v_lshl_add_u32 v34, v64, 3, v50
	ds_load_b64 v[44:45], v34 offset:8
.LBB177_178:
	s_or_saveexec_b32 s5, s5
	v_dual_mov_b32 v47, v43 :: v_dual_mov_b32 v46, v42
	s_xor_b32 exec_lo, exec_lo, s5
	s_cbranch_execz .LBB177_180
; %bb.179:
	v_lshl_add_u32 v34, v65, 3, v50
	s_waitcnt lgkmcnt(0)
	v_dual_mov_b32 v45, v41 :: v_dual_mov_b32 v44, v40
	ds_load_b64 v[46:47], v34 offset:8
.LBB177_180:
	s_or_b32 exec_lo, exec_lo, s5
	v_add_nc_u32_e32 v34, 1, v64
	v_add_nc_u32_e32 v35, 1, v65
	s_waitcnt lgkmcnt(0)
	v_cmp_lt_i64_e64 s5, v[46:47], v[44:45]
	s_delay_alu instid0(VALU_DEP_3) | instskip(NEXT) | instid1(VALU_DEP_3)
	v_cndmask_b32_e64 v66, v34, v64, s4
	v_cndmask_b32_e64 v67, v65, v35, s4
                                        ; implicit-def: $vgpr34_vgpr35
	s_delay_alu instid0(VALU_DEP_2) | instskip(NEXT) | instid1(VALU_DEP_2)
	v_cmp_ge_i32_e64 s6, v66, v53
	v_cmp_lt_i32_e64 s7, v67, v48
	s_delay_alu instid0(VALU_DEP_2)
	s_or_b32 s5, s6, s5
	s_delay_alu instid0(VALU_DEP_1) | instid1(SALU_CYCLE_1)
	s_and_b32 s5, s7, s5
	s_delay_alu instid0(SALU_CYCLE_1) | instskip(NEXT) | instid1(SALU_CYCLE_1)
	s_xor_b32 s6, s5, -1
	s_and_saveexec_b32 s7, s6
	s_delay_alu instid0(SALU_CYCLE_1)
	s_xor_b32 s6, exec_lo, s7
	s_cbranch_execz .LBB177_182
; %bb.181:
	v_lshl_add_u32 v34, v66, 3, v50
	ds_load_b64 v[34:35], v34 offset:8
.LBB177_182:
	s_or_saveexec_b32 s6, s6
	v_dual_mov_b32 v38, v46 :: v_dual_mov_b32 v39, v47
	s_xor_b32 exec_lo, exec_lo, s6
	s_cbranch_execz .LBB177_184
; %bb.183:
	s_waitcnt lgkmcnt(0)
	v_lshl_add_u32 v34, v67, 3, v50
	ds_load_b64 v[38:39], v34 offset:8
	v_dual_mov_b32 v34, v44 :: v_dual_mov_b32 v35, v45
.LBB177_184:
	s_or_b32 exec_lo, exec_lo, s6
	v_add_nc_u32_e32 v69, 1, v66
	v_add_nc_u32_e32 v68, 1, v67
	v_cndmask_b32_e64 v45, v45, v47, s5
	v_cndmask_b32_e64 v44, v44, v46, s5
	v_cndmask_b32_e64 v41, v41, v43, s4
	v_cndmask_b32_e32 v43, v55, v54, vcc_lo
	v_cndmask_b32_e64 v47, v69, v66, s5
	v_cndmask_b32_e64 v46, v67, v68, s5
	;; [unrolled: 1-line block ×5, first 2 shown]
	s_waitcnt lgkmcnt(0)
	v_cmp_lt_i64_e64 s2, v[38:39], v[34:35]
	v_cndmask_b32_e64 v33, v33, v37, s3
	v_cndmask_b32_e64 v32, v32, v36, s3
	;; [unrolled: 1-line block ×3, first 2 shown]
	v_cmp_ge_i32_e64 s3, v47, v53
	v_cndmask_b32_e64 v40, v40, v42, s4
	v_cndmask_b32_e64 v42, v64, v65, s4
	v_cmp_lt_i32_e64 s4, v46, v48
	v_cndmask_b32_e64 v37, v56, v57, s0
	s_or_b32 s2, s3, s2
	v_cndmask_b32_e64 v66, v66, v67, s5
	v_cndmask_b32_e64 v27, v25, v27, s1
	s_and_b32 s2, s4, s2
	v_cndmask_b32_e64 v25, v58, v59, s1
	v_cndmask_b32_e64 v31, v35, v39, s2
	;; [unrolled: 1-line block ×3, first 2 shown]
	; wave barrier
	ds_store_2addr_b64 v51, v[12:13], v[14:15] offset1:1
	ds_store_2addr_b64 v51, v[4:5], v[6:7] offset0:2 offset1:3
	ds_store_2addr_b64 v51, v[8:9], v[10:11] offset0:4 offset1:5
	;; [unrolled: 1-line block ×3, first 2 shown]
	v_lshl_add_u32 v0, v43, 3, v50
	v_lshl_add_u32 v8, v36, 3, v50
	;; [unrolled: 1-line block ×8, first 2 shown]
	; wave barrier
	ds_load_b64 v[4:5], v0
	ds_load_b64 v[6:7], v1
	;; [unrolled: 1-line block ×8, first 2 shown]
	v_dual_cndmask_b32 v18, v16, v18 :: v_dual_and_b32 v25, 0xf8, v52
	v_cndmask_b32_e64 v20, v20, v22, s0
	v_cndmask_b32_e32 v19, v17, v19, vcc_lo
	v_cndmask_b32_e64 v21, v21, v23, s0
	s_delay_alu instid0(VALU_DEP_4)
	v_add_nc_u32_e32 v22, 0xffffff80, v25
	v_cmp_lt_i32_e32 vcc_lo, 0x7f, v25
	v_min_i32_e32 v16, 0x80, v25
	v_cndmask_b32_e64 v26, v24, v26, s1
	v_cndmask_b32_e64 v30, v34, v38, s2
	s_mov_b32 s0, exec_lo
	v_cndmask_b32_e32 v48, 0, v22, vcc_lo
	; wave barrier
	ds_store_2addr_b64 v51, v[18:19], v[20:21] offset1:1
	ds_store_2addr_b64 v51, v[26:27], v[28:29] offset0:2 offset1:3
	ds_store_2addr_b64 v51, v[32:33], v[40:41] offset0:4 offset1:5
	;; [unrolled: 1-line block ×3, first 2 shown]
	; wave barrier
	v_cmpx_lt_i32_e64 v48, v16
	s_cbranch_execz .LBB177_188
; %bb.185:
	v_lshlrev_b32_e32 v17, 3, v25
	s_mov_b32 s1, 0
	s_delay_alu instid0(VALU_DEP_1)
	v_add3_u32 v17, 0x400, v50, v17
	.p2align	6
.LBB177_186:                            ; =>This Inner Loop Header: Depth=1
	v_sub_nc_u32_e32 v18, v16, v48
	s_delay_alu instid0(VALU_DEP_1) | instskip(NEXT) | instid1(VALU_DEP_1)
	v_lshrrev_b32_e32 v19, 31, v18
	v_add_nc_u32_e32 v18, v18, v19
	s_delay_alu instid0(VALU_DEP_1) | instskip(NEXT) | instid1(VALU_DEP_1)
	v_ashrrev_i32_e32 v18, 1, v18
	v_add_nc_u32_e32 v22, v18, v48
	s_delay_alu instid0(VALU_DEP_1) | instskip(SKIP_1) | instid1(VALU_DEP_2)
	v_not_b32_e32 v18, v22
	v_lshl_add_u32 v19, v22, 3, v50
	v_lshl_add_u32 v20, v18, 3, v17
	ds_load_b64 v[18:19], v19
	ds_load_b64 v[20:21], v20
	s_waitcnt lgkmcnt(0)
	v_cmp_lt_i64_e32 vcc_lo, v[20:21], v[18:19]
	v_add_nc_u32_e32 v18, 1, v22
	v_cndmask_b32_e32 v16, v16, v22, vcc_lo
	s_delay_alu instid0(VALU_DEP_2) | instskip(NEXT) | instid1(VALU_DEP_1)
	v_cndmask_b32_e32 v48, v18, v48, vcc_lo
	v_cmp_ge_i32_e32 vcc_lo, v48, v16
	s_or_b32 s1, vcc_lo, s1
	s_delay_alu instid0(SALU_CYCLE_1)
	s_and_not1_b32 exec_lo, exec_lo, s1
	s_cbranch_execnz .LBB177_186
; %bb.187:
	s_or_b32 exec_lo, exec_lo, s1
.LBB177_188:
	s_delay_alu instid0(SALU_CYCLE_1) | instskip(SKIP_3) | instid1(VALU_DEP_3)
	s_or_b32 exec_lo, exec_lo, s0
	v_add_nc_u32_e32 v16, 0x80, v25
	v_lshl_add_u32 v22, v48, 3, v50
	v_cmp_le_i32_e64 s0, 0x80, v48
                                        ; implicit-def: $vgpr20_vgpr21
	v_sub_nc_u32_e32 v52, v16, v48
	s_delay_alu instid0(VALU_DEP_1)
	v_lshl_add_u32 v24, v52, 3, v50
	v_cmp_gt_i32_e64 s1, 0x100, v52
	ds_load_b64 v[16:17], v22
	ds_load_b64 v[18:19], v24
	s_waitcnt lgkmcnt(0)
	v_cmp_lt_i64_e32 vcc_lo, v[18:19], v[16:17]
	s_or_b32 s0, s0, vcc_lo
	s_delay_alu instid0(SALU_CYCLE_1) | instskip(NEXT) | instid1(SALU_CYCLE_1)
	s_and_b32 vcc_lo, s1, s0
	s_xor_b32 s0, vcc_lo, -1
	s_delay_alu instid0(SALU_CYCLE_1) | instskip(NEXT) | instid1(SALU_CYCLE_1)
	s_and_saveexec_b32 s1, s0
	s_xor_b32 s0, exec_lo, s1
	s_cbranch_execz .LBB177_190
; %bb.189:
	ds_load_b64 v[20:21], v22 offset:8
                                        ; implicit-def: $vgpr24
.LBB177_190:
	s_or_saveexec_b32 s0, s0
	v_dual_mov_b32 v23, v19 :: v_dual_mov_b32 v22, v18
	s_xor_b32 exec_lo, exec_lo, s0
	s_cbranch_execz .LBB177_192
; %bb.191:
	ds_load_b64 v[22:23], v24 offset:8
	s_waitcnt lgkmcnt(1)
	v_dual_mov_b32 v21, v17 :: v_dual_mov_b32 v20, v16
.LBB177_192:
	s_or_b32 exec_lo, exec_lo, s0
	v_add_nc_u32_e32 v24, 1, v48
	v_add_nc_u32_e32 v25, 1, v52
	s_waitcnt lgkmcnt(0)
	v_cmp_lt_i64_e64 s0, v[22:23], v[20:21]
	s_delay_alu instid0(VALU_DEP_3) | instskip(NEXT) | instid1(VALU_DEP_3)
	v_cndmask_b32_e32 v53, v24, v48, vcc_lo
	v_cndmask_b32_e32 v54, v52, v25, vcc_lo
                                        ; implicit-def: $vgpr24_vgpr25
	s_delay_alu instid0(VALU_DEP_2) | instskip(NEXT) | instid1(VALU_DEP_2)
	v_cmp_le_i32_e64 s1, 0x80, v53
	v_cmp_gt_i32_e64 s2, 0x100, v54
	s_delay_alu instid0(VALU_DEP_2)
	s_or_b32 s0, s1, s0
	s_delay_alu instid0(VALU_DEP_1) | instid1(SALU_CYCLE_1)
	s_and_b32 s0, s2, s0
	s_delay_alu instid0(SALU_CYCLE_1) | instskip(NEXT) | instid1(SALU_CYCLE_1)
	s_xor_b32 s1, s0, -1
	s_and_saveexec_b32 s2, s1
	s_delay_alu instid0(SALU_CYCLE_1)
	s_xor_b32 s1, exec_lo, s2
	s_cbranch_execz .LBB177_194
; %bb.193:
	v_lshl_add_u32 v24, v53, 3, v50
	ds_load_b64 v[24:25], v24 offset:8
.LBB177_194:
	s_or_saveexec_b32 s1, s1
	v_dual_mov_b32 v27, v23 :: v_dual_mov_b32 v26, v22
	s_xor_b32 exec_lo, exec_lo, s1
	s_cbranch_execz .LBB177_196
; %bb.195:
	s_waitcnt lgkmcnt(0)
	v_lshl_add_u32 v24, v54, 3, v50
	ds_load_b64 v[26:27], v24 offset:8
	v_dual_mov_b32 v25, v21 :: v_dual_mov_b32 v24, v20
.LBB177_196:
	s_or_b32 exec_lo, exec_lo, s1
	v_add_nc_u32_e32 v28, 1, v53
	v_add_nc_u32_e32 v29, 1, v54
	s_waitcnt lgkmcnt(0)
	v_cmp_lt_i64_e64 s1, v[26:27], v[24:25]
	s_delay_alu instid0(VALU_DEP_3) | instskip(NEXT) | instid1(VALU_DEP_3)
	v_cndmask_b32_e64 v55, v28, v53, s0
	v_cndmask_b32_e64 v56, v54, v29, s0
                                        ; implicit-def: $vgpr28_vgpr29
	s_delay_alu instid0(VALU_DEP_2) | instskip(NEXT) | instid1(VALU_DEP_2)
	v_cmp_le_i32_e64 s2, 0x80, v55
	v_cmp_gt_i32_e64 s3, 0x100, v56
	s_delay_alu instid0(VALU_DEP_2)
	s_or_b32 s1, s2, s1
	s_delay_alu instid0(VALU_DEP_1) | instid1(SALU_CYCLE_1)
	s_and_b32 s1, s3, s1
	s_delay_alu instid0(SALU_CYCLE_1) | instskip(NEXT) | instid1(SALU_CYCLE_1)
	s_xor_b32 s2, s1, -1
	s_and_saveexec_b32 s3, s2
	s_delay_alu instid0(SALU_CYCLE_1)
	s_xor_b32 s2, exec_lo, s3
	s_cbranch_execz .LBB177_198
; %bb.197:
	v_lshl_add_u32 v28, v55, 3, v50
	ds_load_b64 v[28:29], v28 offset:8
.LBB177_198:
	s_or_saveexec_b32 s2, s2
	v_dual_mov_b32 v31, v27 :: v_dual_mov_b32 v30, v26
	s_xor_b32 exec_lo, exec_lo, s2
	s_cbranch_execz .LBB177_200
; %bb.199:
	s_waitcnt lgkmcnt(0)
	v_lshl_add_u32 v28, v56, 3, v50
	ds_load_b64 v[30:31], v28 offset:8
	v_dual_mov_b32 v29, v25 :: v_dual_mov_b32 v28, v24
.LBB177_200:
	s_or_b32 exec_lo, exec_lo, s2
	v_add_nc_u32_e32 v32, 1, v55
	v_add_nc_u32_e32 v33, 1, v56
	s_waitcnt lgkmcnt(0)
	v_cmp_lt_i64_e64 s2, v[30:31], v[28:29]
	s_delay_alu instid0(VALU_DEP_3) | instskip(NEXT) | instid1(VALU_DEP_3)
	v_cndmask_b32_e64 v57, v32, v55, s1
	v_cndmask_b32_e64 v58, v56, v33, s1
                                        ; implicit-def: $vgpr32_vgpr33
	s_delay_alu instid0(VALU_DEP_2) | instskip(NEXT) | instid1(VALU_DEP_2)
	v_cmp_le_i32_e64 s3, 0x80, v57
	v_cmp_gt_i32_e64 s4, 0x100, v58
	s_delay_alu instid0(VALU_DEP_2)
	s_or_b32 s2, s3, s2
	s_delay_alu instid0(VALU_DEP_1) | instid1(SALU_CYCLE_1)
	s_and_b32 s2, s4, s2
	s_delay_alu instid0(SALU_CYCLE_1) | instskip(NEXT) | instid1(SALU_CYCLE_1)
	s_xor_b32 s3, s2, -1
	s_and_saveexec_b32 s4, s3
	s_delay_alu instid0(SALU_CYCLE_1)
	s_xor_b32 s3, exec_lo, s4
	s_cbranch_execz .LBB177_202
; %bb.201:
	v_lshl_add_u32 v32, v57, 3, v50
	ds_load_b64 v[32:33], v32 offset:8
.LBB177_202:
	s_or_saveexec_b32 s3, s3
	v_dual_mov_b32 v35, v31 :: v_dual_mov_b32 v34, v30
	s_xor_b32 exec_lo, exec_lo, s3
	s_cbranch_execz .LBB177_204
; %bb.203:
	s_waitcnt lgkmcnt(0)
	v_lshl_add_u32 v32, v58, 3, v50
	ds_load_b64 v[34:35], v32 offset:8
	v_dual_mov_b32 v33, v29 :: v_dual_mov_b32 v32, v28
.LBB177_204:
	s_or_b32 exec_lo, exec_lo, s3
	v_add_nc_u32_e32 v36, 1, v57
	v_add_nc_u32_e32 v37, 1, v58
	s_waitcnt lgkmcnt(0)
	v_cmp_lt_i64_e64 s3, v[34:35], v[32:33]
                                        ; implicit-def: $vgpr38_vgpr39
	s_delay_alu instid0(VALU_DEP_3) | instskip(NEXT) | instid1(VALU_DEP_3)
	v_cndmask_b32_e64 v59, v36, v57, s2
	v_cndmask_b32_e64 v60, v58, v37, s2
	s_delay_alu instid0(VALU_DEP_2) | instskip(NEXT) | instid1(VALU_DEP_2)
	v_cmp_le_i32_e64 s4, 0x80, v59
	v_cmp_gt_i32_e64 s5, 0x100, v60
	s_delay_alu instid0(VALU_DEP_2)
	s_or_b32 s3, s4, s3
	s_delay_alu instid0(VALU_DEP_1) | instid1(SALU_CYCLE_1)
	s_and_b32 s3, s5, s3
	s_delay_alu instid0(SALU_CYCLE_1) | instskip(NEXT) | instid1(SALU_CYCLE_1)
	s_xor_b32 s4, s3, -1
	s_and_saveexec_b32 s5, s4
	s_delay_alu instid0(SALU_CYCLE_1)
	s_xor_b32 s4, exec_lo, s5
	s_cbranch_execz .LBB177_206
; %bb.205:
	v_lshl_add_u32 v36, v59, 3, v50
	ds_load_b64 v[38:39], v36 offset:8
.LBB177_206:
	s_or_saveexec_b32 s4, s4
	v_dual_mov_b32 v45, v35 :: v_dual_mov_b32 v44, v34
	s_xor_b32 exec_lo, exec_lo, s4
	s_cbranch_execz .LBB177_208
; %bb.207:
	v_lshl_add_u32 v36, v60, 3, v50
	s_waitcnt lgkmcnt(0)
	v_dual_mov_b32 v39, v33 :: v_dual_mov_b32 v38, v32
	ds_load_b64 v[44:45], v36 offset:8
.LBB177_208:
	s_or_b32 exec_lo, exec_lo, s4
	v_add_nc_u32_e32 v36, 1, v59
	v_add_nc_u32_e32 v37, 1, v60
	s_waitcnt lgkmcnt(0)
	v_cmp_lt_i64_e64 s4, v[44:45], v[38:39]
                                        ; implicit-def: $vgpr46_vgpr47
	s_delay_alu instid0(VALU_DEP_3) | instskip(NEXT) | instid1(VALU_DEP_3)
	v_cndmask_b32_e64 v63, v36, v59, s3
	v_cndmask_b32_e64 v64, v60, v37, s3
	s_delay_alu instid0(VALU_DEP_2) | instskip(NEXT) | instid1(VALU_DEP_2)
	v_cmp_le_i32_e64 s5, 0x80, v63
	v_cmp_gt_i32_e64 s6, 0x100, v64
	s_delay_alu instid0(VALU_DEP_2)
	s_or_b32 s4, s5, s4
	s_delay_alu instid0(VALU_DEP_1) | instid1(SALU_CYCLE_1)
	s_and_b32 s4, s6, s4
	s_delay_alu instid0(SALU_CYCLE_1) | instskip(NEXT) | instid1(SALU_CYCLE_1)
	s_xor_b32 s5, s4, -1
	s_and_saveexec_b32 s6, s5
	s_delay_alu instid0(SALU_CYCLE_1)
	s_xor_b32 s5, exec_lo, s6
	s_cbranch_execz .LBB177_210
; %bb.209:
	v_lshl_add_u32 v36, v63, 3, v50
	ds_load_b64 v[46:47], v36 offset:8
.LBB177_210:
	s_or_saveexec_b32 s5, s5
	v_dual_mov_b32 v36, v44 :: v_dual_mov_b32 v37, v45
	s_xor_b32 exec_lo, exec_lo, s5
	s_cbranch_execz .LBB177_212
; %bb.211:
	v_lshl_add_u32 v36, v64, 3, v50
	s_waitcnt lgkmcnt(0)
	v_dual_mov_b32 v47, v39 :: v_dual_mov_b32 v46, v38
	ds_load_b64 v[36:37], v36 offset:8
.LBB177_212:
	s_or_b32 exec_lo, exec_lo, s5
	v_add_nc_u32_e32 v40, 1, v63
	v_add_nc_u32_e32 v41, 1, v64
	s_waitcnt lgkmcnt(0)
	v_cmp_ge_i64_e64 s5, v[36:37], v[46:47]
                                        ; implicit-def: $vgpr62
	s_delay_alu instid0(VALU_DEP_3) | instskip(NEXT) | instid1(VALU_DEP_3)
	v_cndmask_b32_e64 v66, v40, v63, s4
	v_cndmask_b32_e64 v61, v64, v41, s4
                                        ; implicit-def: $vgpr40_vgpr41
	s_delay_alu instid0(VALU_DEP_2) | instskip(NEXT) | instid1(VALU_DEP_2)
	v_cmp_gt_i32_e64 s6, 0x80, v66
	v_cmp_le_i32_e64 s7, 0x100, v61
	s_delay_alu instid0(VALU_DEP_2)
	s_and_b32 s5, s6, s5
	s_delay_alu instid0(VALU_DEP_1) | instid1(SALU_CYCLE_1)
	s_or_b32 s5, s7, s5
	s_delay_alu instid0(SALU_CYCLE_1) | instskip(NEXT) | instid1(SALU_CYCLE_1)
	s_and_saveexec_b32 s6, s5
	s_xor_b32 s5, exec_lo, s6
	s_cbranch_execz .LBB177_214
; %bb.213:
	v_lshl_add_u32 v40, v66, 3, v50
	v_add_nc_u32_e32 v62, 1, v66
	ds_load_b64 v[40:41], v40 offset:8
.LBB177_214:
	s_or_saveexec_b32 s5, s5
	v_dual_mov_b32 v42, v46 :: v_dual_mov_b32 v43, v47
	v_mov_b32_e32 v65, v66
	s_xor_b32 exec_lo, exec_lo, s5
	s_cbranch_execz .LBB177_216
; %bb.215:
	s_waitcnt lgkmcnt(0)
	v_lshl_add_u32 v40, v61, 3, v50
	v_dual_mov_b32 v43, v37 :: v_dual_mov_b32 v42, v36
	v_mov_b32_e32 v65, v61
	ds_load_b64 v[67:68], v40 offset:8
	v_add_nc_u32_e32 v40, 1, v61
	s_delay_alu instid0(VALU_DEP_1)
	v_dual_mov_b32 v62, v66 :: v_dual_mov_b32 v61, v40
	v_dual_mov_b32 v40, v46 :: v_dual_mov_b32 v41, v47
	s_waitcnt lgkmcnt(0)
	v_dual_mov_b32 v36, v67 :: v_dual_mov_b32 v37, v68
.LBB177_216:
	s_or_b32 exec_lo, exec_lo, s5
	v_cndmask_b32_e64 v25, v25, v27, s1
	v_cndmask_b32_e64 v24, v24, v26, s1
	;; [unrolled: 1-line block ×4, first 2 shown]
	s_waitcnt lgkmcnt(0)
	v_cmp_lt_i64_e64 s1, v[36:37], v[40:41]
	v_cndmask_b32_e64 v20, v20, v22, s0
	v_cndmask_b32_e64 v26, v53, v54, s0
	v_cmp_le_i32_e64 s0, 0x80, v62
	v_dual_cndmask_b32 v17, v17, v19 :: v_dual_cndmask_b32 v16, v16, v18
	v_cndmask_b32_e32 v27, v48, v52, vcc_lo
	v_cmp_gt_i32_e32 vcc_lo, 0x100, v61
	v_cndmask_b32_e64 v22, v57, v58, s2
	s_or_b32 s0, s0, s1
	; wave barrier
	s_delay_alu instid0(SALU_CYCLE_1)
	s_and_b32 vcc_lo, vcc_lo, s0
	ds_store_2addr_b64 v51, v[4:5], v[6:7] offset1:1
	ds_store_2addr_b64 v51, v[0:1], v[2:3] offset0:2 offset1:3
	v_lshl_add_u32 v6, v22, 3, v50
	v_cndmask_b32_e32 v22, v41, v37, vcc_lo
	v_lshl_add_u32 v0, v27, 3, v50
	v_lshl_add_u32 v2, v26, 3, v50
	ds_store_2addr_b64 v51, v[8:9], v[12:13] offset0:4 offset1:5
	ds_store_2addr_b64 v51, v[10:11], v[14:15] offset0:6 offset1:7
	; wave barrier
	ds_load_b64 v[0:1], v0
	ds_load_b64 v[2:3], v2
	v_lshl_add_u32 v4, v23, 3, v50
	v_cndmask_b32_e64 v19, v59, v60, s3
	v_cndmask_b32_e64 v18, v63, v64, s4
	ds_load_b64 v[4:5], v4
	ds_load_b64 v[6:7], v6
	v_cndmask_b32_e32 v8, v62, v61, vcc_lo
	v_lshl_add_u32 v9, v19, 3, v50
	v_lshl_add_u32 v10, v18, 3, v50
	;; [unrolled: 1-line block ×3, first 2 shown]
	v_cndmask_b32_e32 v18, v40, v36, vcc_lo
	v_lshl_add_u32 v14, v8, 3, v50
	ds_load_b64 v[8:9], v9
	ds_load_b64 v[10:11], v10
	;; [unrolled: 1-line block ×4, first 2 shown]
	v_cndmask_b32_e64 v28, v28, v30, s2
	v_cndmask_b32_e64 v29, v29, v31, s2
	v_cndmask_b32_e64 v32, v32, v34, s3
	v_cndmask_b32_e64 v33, v33, v35, s3
	s_waitcnt lgkmcnt(7)
	v_add_co_u32 v0, vcc_lo, v0, v16
	v_add_co_ci_u32_e32 v1, vcc_lo, v1, v17, vcc_lo
	s_waitcnt lgkmcnt(6)
	v_add_co_u32 v2, vcc_lo, v2, v20
	v_add_co_ci_u32_e32 v3, vcc_lo, v3, v21, vcc_lo
	;; [unrolled: 3-line block ×3, first 2 shown]
	s_waitcnt lgkmcnt(4)
	v_add_co_u32 v6, vcc_lo, v6, v28
	v_cndmask_b32_e64 v38, v38, v44, s4
	v_add_co_ci_u32_e32 v7, vcc_lo, v7, v29, vcc_lo
	v_cndmask_b32_e64 v39, v39, v45, s4
	s_waitcnt lgkmcnt(3)
	v_add_co_u32 v8, vcc_lo, v8, v32
	v_add_co_ci_u32_e32 v9, vcc_lo, v9, v33, vcc_lo
	s_waitcnt lgkmcnt(2)
	v_add_co_u32 v10, vcc_lo, v10, v38
	v_add_co_ci_u32_e32 v11, vcc_lo, v11, v39, vcc_lo
	;; [unrolled: 3-line block ×3, first 2 shown]
	v_lshlrev_b32_e32 v16, 3, v49
	s_waitcnt lgkmcnt(0)
	v_add_co_u32 v14, vcc_lo, v14, v18
	s_add_u32 s0, s10, s12
	v_add_co_ci_u32_e32 v15, vcc_lo, v15, v22, vcc_lo
	s_addc_u32 s1, s11, s13
	s_clause 0x3
	global_store_b128 v16, v[0:3], s[0:1]
	global_store_b128 v16, v[4:7], s[0:1] offset:16
	global_store_b128 v16, v[8:11], s[0:1] offset:32
	;; [unrolled: 1-line block ×3, first 2 shown]
	s_nop 0
	s_sendmsg sendmsg(MSG_DEALLOC_VGPRS)
	s_endpgm
	.section	.rodata,"a",@progbits
	.p2align	6, 0x0
	.amdhsa_kernel _Z10sort_pairsILj256ELj32ELj8ExN10test_utils4lessEEvPKT2_PS2_T3_
		.amdhsa_group_segment_fixed_size 16448
		.amdhsa_private_segment_fixed_size 0
		.amdhsa_kernarg_size 20
		.amdhsa_user_sgpr_count 15
		.amdhsa_user_sgpr_dispatch_ptr 0
		.amdhsa_user_sgpr_queue_ptr 0
		.amdhsa_user_sgpr_kernarg_segment_ptr 1
		.amdhsa_user_sgpr_dispatch_id 0
		.amdhsa_user_sgpr_private_segment_size 0
		.amdhsa_wavefront_size32 1
		.amdhsa_uses_dynamic_stack 0
		.amdhsa_enable_private_segment 0
		.amdhsa_system_sgpr_workgroup_id_x 1
		.amdhsa_system_sgpr_workgroup_id_y 0
		.amdhsa_system_sgpr_workgroup_id_z 0
		.amdhsa_system_sgpr_workgroup_info 0
		.amdhsa_system_vgpr_workitem_id 0
		.amdhsa_next_free_vgpr 70
		.amdhsa_next_free_sgpr 16
		.amdhsa_reserve_vcc 1
		.amdhsa_float_round_mode_32 0
		.amdhsa_float_round_mode_16_64 0
		.amdhsa_float_denorm_mode_32 3
		.amdhsa_float_denorm_mode_16_64 3
		.amdhsa_dx10_clamp 1
		.amdhsa_ieee_mode 1
		.amdhsa_fp16_overflow 0
		.amdhsa_workgroup_processor_mode 1
		.amdhsa_memory_ordered 1
		.amdhsa_forward_progress 0
		.amdhsa_shared_vgpr_count 0
		.amdhsa_exception_fp_ieee_invalid_op 0
		.amdhsa_exception_fp_denorm_src 0
		.amdhsa_exception_fp_ieee_div_zero 0
		.amdhsa_exception_fp_ieee_overflow 0
		.amdhsa_exception_fp_ieee_underflow 0
		.amdhsa_exception_fp_ieee_inexact 0
		.amdhsa_exception_int_div_zero 0
	.end_amdhsa_kernel
	.section	.text._Z10sort_pairsILj256ELj32ELj8ExN10test_utils4lessEEvPKT2_PS2_T3_,"axG",@progbits,_Z10sort_pairsILj256ELj32ELj8ExN10test_utils4lessEEvPKT2_PS2_T3_,comdat
.Lfunc_end177:
	.size	_Z10sort_pairsILj256ELj32ELj8ExN10test_utils4lessEEvPKT2_PS2_T3_, .Lfunc_end177-_Z10sort_pairsILj256ELj32ELj8ExN10test_utils4lessEEvPKT2_PS2_T3_
                                        ; -- End function
	.section	.AMDGPU.csdata,"",@progbits
; Kernel info:
; codeLenInByte = 11304
; NumSgprs: 18
; NumVgprs: 70
; ScratchSize: 0
; MemoryBound: 1
; FloatMode: 240
; IeeeMode: 1
; LDSByteSize: 16448 bytes/workgroup (compile time only)
; SGPRBlocks: 2
; VGPRBlocks: 8
; NumSGPRsForWavesPerEU: 18
; NumVGPRsForWavesPerEU: 70
; Occupancy: 14
; WaveLimiterHint : 0
; COMPUTE_PGM_RSRC2:SCRATCH_EN: 0
; COMPUTE_PGM_RSRC2:USER_SGPR: 15
; COMPUTE_PGM_RSRC2:TRAP_HANDLER: 0
; COMPUTE_PGM_RSRC2:TGID_X_EN: 1
; COMPUTE_PGM_RSRC2:TGID_Y_EN: 0
; COMPUTE_PGM_RSRC2:TGID_Z_EN: 0
; COMPUTE_PGM_RSRC2:TIDIG_COMP_CNT: 0
	.section	.text._Z19sort_keys_segmentedILj256ELj32ELj8ExN10test_utils4lessEEvPKT2_PS2_PKjT3_,"axG",@progbits,_Z19sort_keys_segmentedILj256ELj32ELj8ExN10test_utils4lessEEvPKT2_PS2_PKjT3_,comdat
	.protected	_Z19sort_keys_segmentedILj256ELj32ELj8ExN10test_utils4lessEEvPKT2_PS2_PKjT3_ ; -- Begin function _Z19sort_keys_segmentedILj256ELj32ELj8ExN10test_utils4lessEEvPKT2_PS2_PKjT3_
	.globl	_Z19sort_keys_segmentedILj256ELj32ELj8ExN10test_utils4lessEEvPKT2_PS2_PKjT3_
	.p2align	8
	.type	_Z19sort_keys_segmentedILj256ELj32ELj8ExN10test_utils4lessEEvPKT2_PS2_PKjT3_,@function
_Z19sort_keys_segmentedILj256ELj32ELj8ExN10test_utils4lessEEvPKT2_PS2_PKjT3_: ; @_Z19sort_keys_segmentedILj256ELj32ELj8ExN10test_utils4lessEEvPKT2_PS2_PKjT3_
; %bb.0:
	s_clause 0x1
	s_load_b64 s[2:3], s[0:1], 0x10
	s_load_b128 s[16:19], s[0:1], 0x0
	v_lshrrev_b32_e32 v24, 5, v0
	s_delay_alu instid0(VALU_DEP_1) | instskip(SKIP_1) | instid1(VALU_DEP_1)
	v_lshl_or_b32 v0, s15, 3, v24
	v_mov_b32_e32 v1, 0
	v_lshlrev_b64 v[2:3], 2, v[0:1]
	v_lshlrev_b32_e32 v0, 8, v0
	s_delay_alu instid0(VALU_DEP_1) | instskip(SKIP_1) | instid1(VALU_DEP_3)
	v_lshlrev_b64 v[0:1], 3, v[0:1]
	s_waitcnt lgkmcnt(0)
	v_add_co_u32 v2, vcc_lo, s2, v2
	s_delay_alu instid0(VALU_DEP_4) | instskip(NEXT) | instid1(VALU_DEP_3)
	v_add_co_ci_u32_e32 v3, vcc_lo, s3, v3, vcc_lo
	v_add_co_u32 v4, vcc_lo, s16, v0
	global_load_b32 v34, v[2:3], off
	v_mbcnt_lo_u32_b32 v2, -1, 0
	v_add_co_ci_u32_e32 v5, vcc_lo, s17, v1, vcc_lo
	s_delay_alu instid0(VALU_DEP_2) | instskip(SKIP_1) | instid1(VALU_DEP_2)
	v_lshlrev_b32_e32 v3, 6, v2
	v_lshlrev_b32_e32 v35, 3, v2
	v_add_co_u32 v4, vcc_lo, v4, v3
	s_delay_alu instid0(VALU_DEP_4) | instskip(SKIP_1) | instid1(VALU_DEP_3)
	v_add_co_ci_u32_e32 v5, vcc_lo, 0, v5, vcc_lo
                                        ; implicit-def: $vgpr2_vgpr3
	s_waitcnt vmcnt(0)
	v_cmp_lt_u32_e32 vcc_lo, v35, v34
	s_and_saveexec_b32 s0, vcc_lo
	s_cbranch_execz .LBB178_2
; %bb.1:
	global_load_b64 v[2:3], v[4:5], off
.LBB178_2:
	s_or_b32 exec_lo, exec_lo, s0
	v_or_b32_e32 v10, 1, v35
                                        ; implicit-def: $vgpr6_vgpr7
	s_delay_alu instid0(VALU_DEP_1) | instskip(NEXT) | instid1(VALU_DEP_1)
	v_cmp_lt_u32_e64 s0, v10, v34
	s_and_saveexec_b32 s1, s0
	s_cbranch_execz .LBB178_4
; %bb.3:
	global_load_b64 v[6:7], v[4:5], off offset:8
.LBB178_4:
	s_or_b32 exec_lo, exec_lo, s1
	v_or_b32_e32 v11, 2, v35
                                        ; implicit-def: $vgpr8_vgpr9
	s_delay_alu instid0(VALU_DEP_1) | instskip(NEXT) | instid1(VALU_DEP_1)
	v_cmp_lt_u32_e64 s1, v11, v34
	s_and_saveexec_b32 s2, s1
	s_cbranch_execz .LBB178_6
; %bb.5:
	global_load_b64 v[8:9], v[4:5], off offset:16
.LBB178_6:
	s_or_b32 exec_lo, exec_lo, s2
	v_or_b32_e32 v14, 3, v35
                                        ; implicit-def: $vgpr12_vgpr13
	s_delay_alu instid0(VALU_DEP_1) | instskip(NEXT) | instid1(VALU_DEP_1)
	v_cmp_lt_u32_e64 s2, v14, v34
	s_and_saveexec_b32 s3, s2
	s_cbranch_execz .LBB178_8
; %bb.7:
	global_load_b64 v[12:13], v[4:5], off offset:24
.LBB178_8:
	s_or_b32 exec_lo, exec_lo, s3
	v_or_b32_e32 v15, 4, v35
                                        ; implicit-def: $vgpr16_vgpr17
	s_delay_alu instid0(VALU_DEP_1) | instskip(NEXT) | instid1(VALU_DEP_1)
	v_cmp_lt_u32_e64 s3, v15, v34
	s_and_saveexec_b32 s4, s3
	s_cbranch_execz .LBB178_10
; %bb.9:
	global_load_b64 v[16:17], v[4:5], off offset:32
.LBB178_10:
	s_or_b32 exec_lo, exec_lo, s4
	v_or_b32_e32 v25, 5, v35
                                        ; implicit-def: $vgpr18_vgpr19
	s_delay_alu instid0(VALU_DEP_1) | instskip(NEXT) | instid1(VALU_DEP_1)
	v_cmp_lt_u32_e64 s4, v25, v34
	s_and_saveexec_b32 s5, s4
	s_cbranch_execz .LBB178_12
; %bb.11:
	global_load_b64 v[18:19], v[4:5], off offset:40
.LBB178_12:
	s_or_b32 exec_lo, exec_lo, s5
	v_or_b32_e32 v26, 6, v35
                                        ; implicit-def: $vgpr20_vgpr21
	s_delay_alu instid0(VALU_DEP_1) | instskip(NEXT) | instid1(VALU_DEP_1)
	v_cmp_lt_u32_e64 s5, v26, v34
	s_and_saveexec_b32 s6, s5
	s_cbranch_execz .LBB178_14
; %bb.13:
	global_load_b64 v[20:21], v[4:5], off offset:48
.LBB178_14:
	s_or_b32 exec_lo, exec_lo, s6
	v_or_b32_e32 v27, 7, v35
                                        ; implicit-def: $vgpr22_vgpr23
	s_delay_alu instid0(VALU_DEP_1) | instskip(NEXT) | instid1(VALU_DEP_1)
	v_cmp_lt_u32_e64 s6, v27, v34
	s_and_saveexec_b32 s7, s6
	s_cbranch_execz .LBB178_16
; %bb.15:
	global_load_b64 v[22:23], v[4:5], off offset:56
.LBB178_16:
	s_or_b32 exec_lo, exec_lo, s7
	v_cmp_lt_i32_e64 s7, v10, v34
	v_cmp_lt_i32_e64 s8, v11, v34
	;; [unrolled: 1-line block ×3, first 2 shown]
	s_mov_b32 s10, exec_lo
	s_waitcnt vmcnt(0)
	v_cndmask_b32_e64 v11, 0x7fffffff, v7, s7
	v_cndmask_b32_e64 v10, -1, v6, s7
	v_cmp_lt_i32_e64 s7, v15, v34
	v_cndmask_b32_e64 v7, 0x7fffffff, v9, s8
	v_cndmask_b32_e64 v6, -1, v8, s8
	v_cndmask_b32_e64 v15, 0x7fffffff, v13, s9
	v_cndmask_b32_e64 v14, -1, v12, s9
	v_cndmask_b32_e64 v9, 0x7fffffff, v17, s7
	v_cmp_lt_i32_e64 s8, v25, v34
	v_cndmask_b32_e64 v8, -1, v16, s7
	v_cmp_lt_i32_e64 s7, v26, v34
	v_cmp_lt_i32_e64 s9, v27, v34
	s_delay_alu instid0(VALU_DEP_4) | instskip(SKIP_1) | instid1(VALU_DEP_4)
	v_cndmask_b32_e64 v17, 0x7fffffff, v19, s8
	v_cndmask_b32_e64 v16, -1, v18, s8
	v_cndmask_b32_e64 v13, 0x7fffffff, v21, s7
	v_cndmask_b32_e64 v12, -1, v20, s7
	;; [unrolled: 2-line block ×3, first 2 shown]
	v_cmpx_lt_i32_e64 v35, v34
	s_cbranch_execz .LBB178_18
; %bb.17:
	v_cmp_gt_i64_e64 s7, v[10:11], v[2:3]
	v_cmp_lt_i64_e64 s8, v[10:11], v[2:3]
	v_cmp_gt_i64_e64 s9, v[14:15], v[6:7]
	s_delay_alu instid0(VALU_DEP_3)
	v_cndmask_b32_e64 v19, v3, v11, s7
	v_cndmask_b32_e64 v18, v2, v10, s7
	v_cmp_lt_i64_e64 s7, v[14:15], v[6:7]
	v_cndmask_b32_e64 v3, v3, v11, s8
	v_cndmask_b32_e64 v2, v2, v10, s8
	v_cmp_gt_i64_e64 s8, v[16:17], v[8:9]
	v_cndmask_b32_e64 v11, v7, v15, s9
	v_cndmask_b32_e64 v10, v6, v14, s9
	;; [unrolled: 1-line block ×3, first 2 shown]
	v_cmp_lt_i64_e64 s9, v[16:17], v[8:9]
	v_cndmask_b32_e64 v6, v6, v14, s7
	v_cmp_gt_i64_e64 s7, v[4:5], v[12:13]
	v_cndmask_b32_e64 v15, v9, v17, s8
	v_cndmask_b32_e64 v14, v8, v16, s8
	v_cmp_lt_i64_e64 s8, v[4:5], v[12:13]
	v_cndmask_b32_e64 v9, v9, v17, s9
	v_cndmask_b32_e64 v8, v8, v16, s9
	;; [unrolled: 1-line block ×4, first 2 shown]
	v_cmp_gt_i64_e64 s7, v[6:7], v[18:19]
	v_cndmask_b32_e64 v5, v13, v5, s8
	v_cmp_lt_i64_e64 s9, v[6:7], v[18:19]
	v_cndmask_b32_e64 v4, v12, v4, s8
	v_cmp_gt_i64_e64 s8, v[8:9], v[10:11]
	v_cndmask_b32_e64 v13, v19, v7, s7
	v_cndmask_b32_e64 v12, v18, v6, s7
	v_cmp_lt_i64_e64 s7, v[8:9], v[10:11]
	v_cndmask_b32_e64 v20, v18, v6, s9
	v_cndmask_b32_e64 v21, v19, v7, s9
	;; [unrolled: 1-line block ×4, first 2 shown]
	v_cmp_gt_i64_e64 s8, v[4:5], v[14:15]
	v_cndmask_b32_e64 v9, v11, v9, s7
	v_cmp_lt_i64_e64 s9, v[4:5], v[14:15]
	v_cndmask_b32_e64 v8, v10, v8, s7
	v_cmp_lt_i64_e64 s7, v[6:7], v[2:3]
	v_cndmask_b32_e64 v22, v14, v4, s8
	v_cndmask_b32_e64 v23, v15, v5, s8
	s_delay_alu instid0(VALU_DEP_4)
	v_cmp_gt_i64_e64 s8, v[8:9], v[12:13]
	v_cndmask_b32_e64 v5, v15, v5, s9
	v_cndmask_b32_e64 v4, v14, v4, s9
	;; [unrolled: 1-line block ×6, first 2 shown]
	v_cmp_lt_i64_e64 s7, v[8:9], v[12:13]
	v_cndmask_b32_e64 v11, v13, v9, s8
	v_cndmask_b32_e64 v10, v12, v8, s8
	v_cmp_gt_i64_e64 s8, v[4:5], v[18:19]
	v_cmp_lt_i64_e64 s9, v[4:5], v[18:19]
	v_cndmask_b32_e64 v9, v13, v9, s7
	v_cndmask_b32_e64 v8, v12, v8, s7
	v_cmp_gt_i64_e64 s7, v[14:15], v[16:17]
	v_cndmask_b32_e64 v13, v19, v5, s8
	v_cndmask_b32_e64 v12, v18, v4, s8
	;; [unrolled: 1-line block ×3, first 2 shown]
	v_cmp_gt_i64_e64 s8, v[8:9], v[6:7]
	v_cndmask_b32_e64 v4, v18, v4, s9
	v_cndmask_b32_e64 v15, v17, v23, s7
	;; [unrolled: 1-line block ×5, first 2 shown]
	v_cmp_lt_i64_e64 s7, v[8:9], v[6:7]
	v_cndmask_b32_e64 v19, v7, v9, s8
	v_cmp_gt_i64_e64 s9, v[4:5], v[10:11]
	v_cndmask_b32_e64 v18, v6, v8, s8
	v_cmp_lt_i64_e64 s8, v[4:5], v[10:11]
	v_cndmask_b32_e64 v7, v7, v9, s7
	v_cndmask_b32_e64 v6, v6, v8, s7
	v_cmp_gt_i64_e64 s7, v[16:17], v[12:13]
	v_cndmask_b32_e64 v9, v11, v5, s9
	v_cndmask_b32_e64 v8, v10, v4, s9
	v_cndmask_b32_e64 v5, v11, v5, s8
	v_cndmask_b32_e64 v4, v10, v4, s8
	v_cmp_lt_i64_e64 s8, v[16:17], v[12:13]
	v_cndmask_b32_e64 v11, v13, v17, s7
	v_cmp_gt_i64_e64 s9, v[6:7], v[2:3]
	v_cndmask_b32_e64 v10, v12, v16, s7
	v_cmp_lt_i64_e64 s7, v[6:7], v[2:3]
	v_cndmask_b32_e64 v13, v13, v17, s8
	v_cndmask_b32_e64 v12, v12, v16, s8
	v_cmp_gt_i64_e64 s8, v[4:5], v[18:19]
	v_cndmask_b32_e64 v17, v3, v7, s9
	v_cndmask_b32_e64 v16, v2, v6, s9
	v_cndmask_b32_e64 v7, v3, v7, s7
	v_cndmask_b32_e64 v6, v2, v6, s7
	;; [unrolled: 12-line block ×4, first 2 shown]
	v_cmp_lt_i64_e64 s7, v[8:9], v[2:3]
	v_cndmask_b32_e64 v21, v3, v9, s8
	v_cndmask_b32_e64 v20, v2, v8, s8
	v_cmp_lt_i64_e64 s8, v[10:11], v[18:19]
	v_cmp_gt_i64_e64 s9, v[10:11], v[18:19]
	v_cndmask_b32_e64 v9, v3, v9, s7
	v_cndmask_b32_e64 v8, v2, v8, s7
	v_cmp_lt_i64_e64 s7, v[4:5], v[6:7]
	v_cndmask_b32_e64 v5, v19, v11, s8
	v_cndmask_b32_e64 v4, v18, v10, s8
	v_cmp_lt_i64_e64 s8, v[16:17], v[6:7]
	v_cndmask_b32_e64 v25, v18, v10, s9
	v_cndmask_b32_e64 v26, v19, v11, s9
	;; [unrolled: 1-line block ×3, first 2 shown]
	v_cmp_gt_i64_e64 s9, v[16:17], v[6:7]
	v_cndmask_b32_e64 v11, v17, v7, s7
	v_cmp_gt_i64_e64 s7, v[8:9], v[14:15]
	v_cndmask_b32_e64 v3, v7, v17, s8
	v_cndmask_b32_e64 v2, v6, v16, s8
	v_cmp_lt_i64_e64 s8, v[8:9], v[14:15]
	v_cndmask_b32_e64 v7, v7, v17, s9
	v_cndmask_b32_e64 v6, v6, v16, s9
	;; [unrolled: 1-line block ×4, first 2 shown]
	v_cmp_gt_i64_e64 s7, v[4:5], v[20:21]
	v_cndmask_b32_e64 v9, v15, v9, s8
	v_cmp_lt_i64_e64 s9, v[4:5], v[20:21]
	v_cndmask_b32_e64 v8, v14, v8, s8
	v_cmp_gt_i64_e64 s8, v[18:19], v[12:13]
	v_cndmask_b32_e64 v23, v21, v5, s7
	v_cndmask_b32_e64 v22, v20, v4, s7
	s_delay_alu instid0(VALU_DEP_4)
	v_cmp_gt_i64_e64 s7, v[8:9], v[6:7]
	v_cndmask_b32_e64 v15, v21, v5, s9
	v_cndmask_b32_e64 v14, v20, v4, s9
	v_cmp_lt_i64_e64 s9, v[8:9], v[6:7]
	v_cndmask_b32_e64 v19, v26, v13, s8
	v_cndmask_b32_e64 v18, v25, v12, s8
	;; [unrolled: 1-line block ×4, first 2 shown]
	v_cmp_gt_i64_e64 s7, v[14:15], v[16:17]
	v_cndmask_b32_e64 v5, v13, v26, s8
	v_cndmask_b32_e64 v4, v12, v25, s8
	;; [unrolled: 1-line block ×4, first 2 shown]
	v_cmp_lt_i64_e64 s8, v[14:15], v[16:17]
	v_cndmask_b32_e64 v9, v17, v15, s7
	v_cmp_gt_i64_e64 s9, v[18:19], v[22:23]
	v_cndmask_b32_e64 v8, v16, v14, s7
	v_cmp_lt_i64_e64 s7, v[18:19], v[22:23]
	v_cndmask_b32_e64 v15, v17, v15, s8
	v_cndmask_b32_e64 v14, v16, v14, s8
	;; [unrolled: 1-line block ×6, first 2 shown]
.LBB178_18:
	s_or_b32 exec_lo, exec_lo, s10
	v_and_b32_e32 v18, 0xf0, v35
	v_and_b32_e32 v20, 8, v35
	v_lshlrev_b32_e32 v36, 3, v35
	v_mul_u32_u24_e32 v37, 0x808, v24
	s_delay_alu instid0(VALU_DEP_4) | instskip(NEXT) | instid1(VALU_DEP_3)
	v_min_i32_e32 v18, v34, v18
	; wave barrier
	v_mad_u32_u24 v38, 0x808, v24, v36
	s_mov_b32 s9, 0
	s_mov_b32 s8, exec_lo
	s_delay_alu instid0(VALU_DEP_2)
	v_add_nc_u32_e32 v19, 8, v18
	v_lshlrev_b32_e32 v23, 3, v18
	ds_store_2addr_b64 v38, v[2:3], v[10:11] offset1:1
	ds_store_2addr_b64 v38, v[6:7], v[14:15] offset0:2 offset1:3
	ds_store_2addr_b64 v38, v[8:9], v[16:17] offset0:4 offset1:5
	;; [unrolled: 1-line block ×3, first 2 shown]
	v_min_i32_e32 v40, v34, v19
	v_mad_u32_u24 v2, 0x808, v24, v23
	; wave barrier
	s_delay_alu instid0(VALU_DEP_2) | instskip(SKIP_1) | instid1(VALU_DEP_2)
	v_add_nc_u32_e32 v19, 8, v40
	v_sub_nc_u32_e32 v21, v40, v18
	v_min_i32_e32 v41, v34, v19
	v_min_i32_e32 v19, v34, v20
	s_delay_alu instid0(VALU_DEP_2) | instskip(NEXT) | instid1(VALU_DEP_2)
	v_sub_nc_u32_e32 v20, v41, v40
	v_min_i32_e32 v21, v19, v21
	s_delay_alu instid0(VALU_DEP_2) | instskip(SKIP_1) | instid1(VALU_DEP_1)
	v_sub_nc_u32_e32 v22, v19, v20
	v_cmp_ge_i32_e64 s7, v19, v20
	v_cndmask_b32_e64 v20, 0, v22, s7
	s_delay_alu instid0(VALU_DEP_1)
	v_cmpx_lt_i32_e64 v20, v21
	s_cbranch_execz .LBB178_22
; %bb.19:
	v_lshlrev_b32_e32 v3, 3, v40
	v_lshlrev_b32_e32 v4, 3, v19
	s_delay_alu instid0(VALU_DEP_1)
	v_add3_u32 v3, v37, v3, v4
	.p2align	6
.LBB178_20:                             ; =>This Inner Loop Header: Depth=1
	v_sub_nc_u32_e32 v4, v21, v20
	s_delay_alu instid0(VALU_DEP_1) | instskip(NEXT) | instid1(VALU_DEP_1)
	v_lshrrev_b32_e32 v5, 31, v4
	v_add_nc_u32_e32 v4, v4, v5
	s_delay_alu instid0(VALU_DEP_1) | instskip(NEXT) | instid1(VALU_DEP_1)
	v_ashrrev_i32_e32 v4, 1, v4
	v_add_nc_u32_e32 v8, v4, v20
	s_delay_alu instid0(VALU_DEP_1) | instskip(SKIP_1) | instid1(VALU_DEP_2)
	v_not_b32_e32 v4, v8
	v_lshl_add_u32 v5, v8, 3, v2
	v_lshl_add_u32 v6, v4, 3, v3
	ds_load_b64 v[4:5], v5
	ds_load_b64 v[6:7], v6
	s_waitcnt lgkmcnt(0)
	v_cmp_lt_i64_e64 s7, v[6:7], v[4:5]
	v_add_nc_u32_e32 v4, 1, v8
	s_delay_alu instid0(VALU_DEP_2) | instskip(NEXT) | instid1(VALU_DEP_2)
	v_cndmask_b32_e64 v21, v21, v8, s7
	v_cndmask_b32_e64 v20, v4, v20, s7
	s_delay_alu instid0(VALU_DEP_1) | instskip(NEXT) | instid1(VALU_DEP_1)
	v_cmp_ge_i32_e64 s7, v20, v21
	s_or_b32 s9, s7, s9
	s_delay_alu instid0(SALU_CYCLE_1)
	s_and_not1_b32 exec_lo, exec_lo, s9
	s_cbranch_execnz .LBB178_20
; %bb.21:
	s_or_b32 exec_lo, exec_lo, s9
.LBB178_22:
	s_delay_alu instid0(SALU_CYCLE_1) | instskip(SKIP_3) | instid1(VALU_DEP_3)
	s_or_b32 exec_lo, exec_lo, s8
	v_add_nc_u32_e32 v3, v40, v19
	v_lshl_add_u32 v8, v20, 3, v2
	v_add_nc_u32_e32 v11, v20, v18
                                        ; implicit-def: $vgpr6_vgpr7
	v_sub_nc_u32_e32 v10, v3, v20
	s_delay_alu instid0(VALU_DEP_2) | instskip(NEXT) | instid1(VALU_DEP_2)
	v_cmp_le_i32_e64 s8, v40, v11
	v_lshl_add_u32 v12, v10, 3, v37
	v_cmp_gt_i32_e64 s9, v41, v10
	ds_load_b64 v[2:3], v8
	ds_load_b64 v[4:5], v12
	s_waitcnt lgkmcnt(0)
	v_cmp_lt_i64_e64 s7, v[4:5], v[2:3]
	s_delay_alu instid0(VALU_DEP_1) | instskip(NEXT) | instid1(SALU_CYCLE_1)
	s_or_b32 s7, s8, s7
	s_and_b32 s7, s9, s7
	s_delay_alu instid0(SALU_CYCLE_1) | instskip(NEXT) | instid1(SALU_CYCLE_1)
	s_xor_b32 s8, s7, -1
	s_and_saveexec_b32 s9, s8
	s_delay_alu instid0(SALU_CYCLE_1)
	s_xor_b32 s8, exec_lo, s9
	s_cbranch_execz .LBB178_24
; %bb.23:
	ds_load_b64 v[6:7], v8 offset:8
                                        ; implicit-def: $vgpr12
.LBB178_24:
	s_or_saveexec_b32 s8, s8
	v_dual_mov_b32 v9, v5 :: v_dual_mov_b32 v8, v4
	s_xor_b32 exec_lo, exec_lo, s8
	s_cbranch_execz .LBB178_26
; %bb.25:
	ds_load_b64 v[8:9], v12 offset:8
	s_waitcnt lgkmcnt(1)
	v_dual_mov_b32 v7, v3 :: v_dual_mov_b32 v6, v2
.LBB178_26:
	s_or_b32 exec_lo, exec_lo, s8
	v_add_nc_u32_e32 v12, 1, v11
	v_add_nc_u32_e32 v13, 1, v10
	s_waitcnt lgkmcnt(0)
	v_cmp_lt_i64_e64 s8, v[8:9], v[6:7]
	s_delay_alu instid0(VALU_DEP_3) | instskip(NEXT) | instid1(VALU_DEP_3)
	v_cndmask_b32_e64 v15, v12, v11, s7
	v_cndmask_b32_e64 v14, v10, v13, s7
                                        ; implicit-def: $vgpr10_vgpr11
	s_delay_alu instid0(VALU_DEP_2) | instskip(NEXT) | instid1(VALU_DEP_2)
	v_cmp_ge_i32_e64 s9, v15, v40
	v_cmp_lt_i32_e64 s10, v14, v41
	s_delay_alu instid0(VALU_DEP_2)
	s_or_b32 s8, s9, s8
	s_delay_alu instid0(VALU_DEP_1) | instid1(SALU_CYCLE_1)
	s_and_b32 s8, s10, s8
	s_delay_alu instid0(SALU_CYCLE_1) | instskip(NEXT) | instid1(SALU_CYCLE_1)
	s_xor_b32 s9, s8, -1
	s_and_saveexec_b32 s10, s9
	s_delay_alu instid0(SALU_CYCLE_1)
	s_xor_b32 s9, exec_lo, s10
	s_cbranch_execz .LBB178_28
; %bb.27:
	v_lshl_add_u32 v10, v15, 3, v37
	ds_load_b64 v[10:11], v10 offset:8
.LBB178_28:
	s_or_saveexec_b32 s9, s9
	v_dual_mov_b32 v13, v9 :: v_dual_mov_b32 v12, v8
	s_xor_b32 exec_lo, exec_lo, s9
	s_cbranch_execz .LBB178_30
; %bb.29:
	s_waitcnt lgkmcnt(0)
	v_lshl_add_u32 v10, v14, 3, v37
	ds_load_b64 v[12:13], v10 offset:8
	v_dual_mov_b32 v11, v7 :: v_dual_mov_b32 v10, v6
.LBB178_30:
	s_or_b32 exec_lo, exec_lo, s9
	v_add_nc_u32_e32 v16, 1, v15
	v_add_nc_u32_e32 v17, 1, v14
	s_waitcnt lgkmcnt(0)
	v_cmp_lt_i64_e64 s9, v[12:13], v[10:11]
	s_delay_alu instid0(VALU_DEP_3) | instskip(NEXT) | instid1(VALU_DEP_3)
	v_cndmask_b32_e64 v19, v16, v15, s8
	v_cndmask_b32_e64 v18, v14, v17, s8
                                        ; implicit-def: $vgpr14_vgpr15
	s_delay_alu instid0(VALU_DEP_2) | instskip(NEXT) | instid1(VALU_DEP_2)
	v_cmp_ge_i32_e64 s10, v19, v40
	v_cmp_lt_i32_e64 s11, v18, v41
	s_delay_alu instid0(VALU_DEP_2)
	s_or_b32 s9, s10, s9
	s_delay_alu instid0(VALU_DEP_1) | instid1(SALU_CYCLE_1)
	s_and_b32 s9, s11, s9
	s_delay_alu instid0(SALU_CYCLE_1) | instskip(NEXT) | instid1(SALU_CYCLE_1)
	s_xor_b32 s10, s9, -1
	s_and_saveexec_b32 s11, s10
	s_delay_alu instid0(SALU_CYCLE_1)
	s_xor_b32 s10, exec_lo, s11
	s_cbranch_execz .LBB178_32
; %bb.31:
	v_lshl_add_u32 v14, v19, 3, v37
	ds_load_b64 v[14:15], v14 offset:8
.LBB178_32:
	s_or_saveexec_b32 s10, s10
	v_dual_mov_b32 v17, v13 :: v_dual_mov_b32 v16, v12
	s_xor_b32 exec_lo, exec_lo, s10
	s_cbranch_execz .LBB178_34
; %bb.33:
	s_waitcnt lgkmcnt(0)
	v_lshl_add_u32 v14, v18, 3, v37
	ds_load_b64 v[16:17], v14 offset:8
	v_dual_mov_b32 v15, v11 :: v_dual_mov_b32 v14, v10
.LBB178_34:
	s_or_b32 exec_lo, exec_lo, s10
	v_add_nc_u32_e32 v20, 1, v19
	v_add_nc_u32_e32 v21, 1, v18
	s_waitcnt lgkmcnt(0)
	v_cmp_lt_i64_e64 s10, v[16:17], v[14:15]
	s_delay_alu instid0(VALU_DEP_3) | instskip(NEXT) | instid1(VALU_DEP_3)
	v_cndmask_b32_e64 v23, v20, v19, s9
	v_cndmask_b32_e64 v22, v18, v21, s9
                                        ; implicit-def: $vgpr18_vgpr19
	s_delay_alu instid0(VALU_DEP_2) | instskip(NEXT) | instid1(VALU_DEP_2)
	v_cmp_ge_i32_e64 s11, v23, v40
	v_cmp_lt_i32_e64 s12, v22, v41
	s_delay_alu instid0(VALU_DEP_2)
	s_or_b32 s10, s11, s10
	s_delay_alu instid0(VALU_DEP_1) | instid1(SALU_CYCLE_1)
	s_and_b32 s10, s12, s10
	s_delay_alu instid0(SALU_CYCLE_1) | instskip(NEXT) | instid1(SALU_CYCLE_1)
	s_xor_b32 s11, s10, -1
	s_and_saveexec_b32 s12, s11
	s_delay_alu instid0(SALU_CYCLE_1)
	s_xor_b32 s11, exec_lo, s12
	s_cbranch_execz .LBB178_36
; %bb.35:
	v_lshl_add_u32 v18, v23, 3, v37
	ds_load_b64 v[18:19], v18 offset:8
.LBB178_36:
	s_or_saveexec_b32 s11, s11
	v_dual_mov_b32 v21, v17 :: v_dual_mov_b32 v20, v16
	s_xor_b32 exec_lo, exec_lo, s11
	s_cbranch_execz .LBB178_38
; %bb.37:
	s_waitcnt lgkmcnt(0)
	v_lshl_add_u32 v18, v22, 3, v37
	ds_load_b64 v[20:21], v18 offset:8
	v_dual_mov_b32 v19, v15 :: v_dual_mov_b32 v18, v14
.LBB178_38:
	s_or_b32 exec_lo, exec_lo, s11
	v_add_nc_u32_e32 v24, 1, v23
	v_add_nc_u32_e32 v25, 1, v22
	s_waitcnt lgkmcnt(0)
	v_cmp_lt_i64_e64 s11, v[20:21], v[18:19]
	s_delay_alu instid0(VALU_DEP_3) | instskip(NEXT) | instid1(VALU_DEP_3)
	v_cndmask_b32_e64 v27, v24, v23, s10
	v_cndmask_b32_e64 v26, v22, v25, s10
                                        ; implicit-def: $vgpr22_vgpr23
	s_delay_alu instid0(VALU_DEP_2) | instskip(NEXT) | instid1(VALU_DEP_2)
	v_cmp_ge_i32_e64 s12, v27, v40
	v_cmp_lt_i32_e64 s13, v26, v41
	s_delay_alu instid0(VALU_DEP_2)
	s_or_b32 s11, s12, s11
	s_delay_alu instid0(VALU_DEP_1) | instid1(SALU_CYCLE_1)
	s_and_b32 s11, s13, s11
	s_delay_alu instid0(SALU_CYCLE_1) | instskip(NEXT) | instid1(SALU_CYCLE_1)
	s_xor_b32 s12, s11, -1
	s_and_saveexec_b32 s13, s12
	s_delay_alu instid0(SALU_CYCLE_1)
	s_xor_b32 s12, exec_lo, s13
	s_cbranch_execz .LBB178_40
; %bb.39:
	v_lshl_add_u32 v22, v27, 3, v37
	ds_load_b64 v[22:23], v22 offset:8
.LBB178_40:
	s_or_saveexec_b32 s12, s12
	v_dual_mov_b32 v25, v21 :: v_dual_mov_b32 v24, v20
	s_xor_b32 exec_lo, exec_lo, s12
	s_cbranch_execz .LBB178_42
; %bb.41:
	s_waitcnt lgkmcnt(0)
	v_lshl_add_u32 v22, v26, 3, v37
	ds_load_b64 v[24:25], v22 offset:8
	v_dual_mov_b32 v23, v19 :: v_dual_mov_b32 v22, v18
.LBB178_42:
	s_or_b32 exec_lo, exec_lo, s12
	v_add_nc_u32_e32 v28, 1, v27
	v_add_nc_u32_e32 v30, 1, v26
	s_waitcnt lgkmcnt(0)
	v_cmp_lt_i64_e64 s12, v[24:25], v[22:23]
	s_delay_alu instid0(VALU_DEP_3) | instskip(NEXT) | instid1(VALU_DEP_3)
	v_cndmask_b32_e64 v29, v28, v27, s11
	v_cndmask_b32_e64 v28, v26, v30, s11
                                        ; implicit-def: $vgpr26_vgpr27
	s_delay_alu instid0(VALU_DEP_2) | instskip(NEXT) | instid1(VALU_DEP_2)
	v_cmp_ge_i32_e64 s13, v29, v40
	v_cmp_lt_i32_e64 s14, v28, v41
	s_delay_alu instid0(VALU_DEP_2)
	s_or_b32 s12, s13, s12
	s_delay_alu instid0(VALU_DEP_1) | instid1(SALU_CYCLE_1)
	s_and_b32 s12, s14, s12
	s_delay_alu instid0(SALU_CYCLE_1) | instskip(NEXT) | instid1(SALU_CYCLE_1)
	s_xor_b32 s13, s12, -1
	s_and_saveexec_b32 s14, s13
	s_delay_alu instid0(SALU_CYCLE_1)
	s_xor_b32 s13, exec_lo, s14
	s_cbranch_execz .LBB178_44
; %bb.43:
	v_lshl_add_u32 v26, v29, 3, v37
	ds_load_b64 v[26:27], v26 offset:8
.LBB178_44:
	s_or_saveexec_b32 s13, s13
	v_dual_mov_b32 v31, v25 :: v_dual_mov_b32 v30, v24
	s_xor_b32 exec_lo, exec_lo, s13
	s_cbranch_execz .LBB178_46
; %bb.45:
	s_waitcnt lgkmcnt(0)
	v_lshl_add_u32 v26, v28, 3, v37
	ds_load_b64 v[30:31], v26 offset:8
	v_dual_mov_b32 v27, v23 :: v_dual_mov_b32 v26, v22
.LBB178_46:
	s_or_b32 exec_lo, exec_lo, s13
	v_add_nc_u32_e32 v32, 1, v29
	v_add_nc_u32_e32 v33, 1, v28
	s_waitcnt lgkmcnt(0)
	v_cmp_lt_i64_e64 s13, v[30:31], v[26:27]
	s_delay_alu instid0(VALU_DEP_3) | instskip(NEXT) | instid1(VALU_DEP_3)
	v_cndmask_b32_e64 v42, v32, v29, s12
	v_cndmask_b32_e64 v43, v28, v33, s12
                                        ; implicit-def: $vgpr28_vgpr29
	s_delay_alu instid0(VALU_DEP_2) | instskip(NEXT) | instid1(VALU_DEP_2)
	v_cmp_ge_i32_e64 s14, v42, v40
	v_cmp_lt_i32_e64 s15, v43, v41
	s_delay_alu instid0(VALU_DEP_2)
	s_or_b32 s13, s14, s13
	s_delay_alu instid0(VALU_DEP_1) | instid1(SALU_CYCLE_1)
	s_and_b32 s13, s15, s13
	s_delay_alu instid0(SALU_CYCLE_1) | instskip(NEXT) | instid1(SALU_CYCLE_1)
	s_xor_b32 s14, s13, -1
	s_and_saveexec_b32 s15, s14
	s_delay_alu instid0(SALU_CYCLE_1)
	s_xor_b32 s14, exec_lo, s15
	s_cbranch_execz .LBB178_48
; %bb.47:
	v_lshl_add_u32 v28, v42, 3, v37
	ds_load_b64 v[28:29], v28 offset:8
.LBB178_48:
	s_or_saveexec_b32 s14, s14
	v_dual_mov_b32 v33, v31 :: v_dual_mov_b32 v32, v30
	s_xor_b32 exec_lo, exec_lo, s14
	s_cbranch_execz .LBB178_50
; %bb.49:
	s_waitcnt lgkmcnt(0)
	v_lshl_add_u32 v28, v43, 3, v37
	ds_load_b64 v[32:33], v28 offset:8
	v_dual_mov_b32 v29, v27 :: v_dual_mov_b32 v28, v26
.LBB178_50:
	s_or_b32 exec_lo, exec_lo, s14
	v_and_b32_e32 v39, 0xe0, v35
	v_cndmask_b32_e64 v30, v26, v30, s13
	v_cndmask_b32_e64 v19, v19, v21, s11
	v_add_nc_u32_e32 v44, 1, v42
	v_cndmask_b32_e64 v11, v11, v13, s9
	v_min_i32_e32 v26, v34, v39
	v_cndmask_b32_e64 v13, v3, v5, s7
	v_cndmask_b32_e64 v31, v27, v31, s13
	v_add_nc_u32_e32 v27, 1, v43
	v_cndmask_b32_e64 v10, v10, v12, s9
	v_add_nc_u32_e32 v21, 16, v26
	v_cndmask_b32_e64 v12, v2, v4, s7
	v_and_b32_e32 v2, 24, v35
	v_cndmask_b32_e64 v4, v44, v42, s13
	s_waitcnt lgkmcnt(0)
	v_cmp_lt_i64_e64 s7, v[32:33], v[28:29]
	v_min_i32_e32 v39, v34, v21
	v_cndmask_b32_e64 v9, v7, v9, s8
	v_cndmask_b32_e64 v8, v6, v8, s8
	v_min_i32_e32 v2, v34, v2
	v_cmp_ge_i32_e64 s8, v4, v40
	v_add_nc_u32_e32 v3, 16, v39
	v_cndmask_b32_e64 v23, v23, v25, s12
	v_cndmask_b32_e64 v22, v22, v24, s12
	v_cndmask_b32_e64 v18, v18, v20, s11
	s_or_b32 s7, s8, s7
	v_min_i32_e32 v42, v34, v3
	v_cndmask_b32_e64 v3, v43, v27, s13
	v_cndmask_b32_e64 v15, v15, v17, s10
	;; [unrolled: 1-line block ×3, first 2 shown]
	s_delay_alu instid0(VALU_DEP_4) | instskip(NEXT) | instid1(VALU_DEP_4)
	v_sub_nc_u32_e32 v5, v42, v39
	v_cmp_lt_i32_e64 s9, v3, v41
	v_sub_nc_u32_e32 v3, v39, v26
	; wave barrier
	ds_store_2addr_b64 v38, v[12:13], v[8:9] offset1:1
	ds_store_2addr_b64 v38, v[10:11], v[14:15] offset0:2 offset1:3
	v_sub_nc_u32_e32 v6, v2, v5
	v_cmp_ge_i32_e64 s8, v2, v5
	s_and_b32 s7, s9, s7
	v_min_i32_e32 v4, v2, v3
	v_lshl_add_u32 v3, v26, 3, v37
	v_cndmask_b32_e64 v17, v29, v33, s7
	v_cndmask_b32_e64 v6, 0, v6, s8
	;; [unrolled: 1-line block ×3, first 2 shown]
	s_mov_b32 s9, 0
	s_mov_b32 s8, exec_lo
	ds_store_2addr_b64 v38, v[18:19], v[22:23] offset0:4 offset1:5
	ds_store_2addr_b64 v38, v[30:31], v[16:17] offset0:6 offset1:7
	; wave barrier
	v_cmpx_lt_i32_e64 v6, v4
	s_cbranch_execz .LBB178_54
; %bb.51:
	v_lshlrev_b32_e32 v5, 3, v39
	v_lshlrev_b32_e32 v7, 3, v2
	s_delay_alu instid0(VALU_DEP_1)
	v_add3_u32 v5, v37, v5, v7
	.p2align	6
.LBB178_52:                             ; =>This Inner Loop Header: Depth=1
	v_sub_nc_u32_e32 v7, v4, v6
	s_delay_alu instid0(VALU_DEP_1) | instskip(NEXT) | instid1(VALU_DEP_1)
	v_lshrrev_b32_e32 v8, 31, v7
	v_add_nc_u32_e32 v7, v7, v8
	s_delay_alu instid0(VALU_DEP_1) | instskip(NEXT) | instid1(VALU_DEP_1)
	v_ashrrev_i32_e32 v7, 1, v7
	v_add_nc_u32_e32 v11, v7, v6
	s_delay_alu instid0(VALU_DEP_1) | instskip(SKIP_1) | instid1(VALU_DEP_2)
	v_not_b32_e32 v7, v11
	v_lshl_add_u32 v8, v11, 3, v3
	v_lshl_add_u32 v9, v7, 3, v5
	ds_load_b64 v[7:8], v8
	ds_load_b64 v[9:10], v9
	s_waitcnt lgkmcnt(0)
	v_cmp_lt_i64_e64 s7, v[9:10], v[7:8]
	v_add_nc_u32_e32 v7, 1, v11
	s_delay_alu instid0(VALU_DEP_2) | instskip(NEXT) | instid1(VALU_DEP_2)
	v_cndmask_b32_e64 v4, v4, v11, s7
	v_cndmask_b32_e64 v6, v7, v6, s7
	s_delay_alu instid0(VALU_DEP_1) | instskip(NEXT) | instid1(VALU_DEP_1)
	v_cmp_ge_i32_e64 s7, v6, v4
	s_or_b32 s9, s7, s9
	s_delay_alu instid0(SALU_CYCLE_1)
	s_and_not1_b32 exec_lo, exec_lo, s9
	s_cbranch_execnz .LBB178_52
; %bb.53:
	s_or_b32 exec_lo, exec_lo, s9
.LBB178_54:
	s_delay_alu instid0(SALU_CYCLE_1) | instskip(SKIP_3) | instid1(VALU_DEP_3)
	s_or_b32 exec_lo, exec_lo, s8
	v_add_nc_u32_e32 v2, v39, v2
	v_lshl_add_u32 v8, v6, 3, v3
	v_add_nc_u32_e32 v11, v6, v26
	v_sub_nc_u32_e32 v10, v2, v6
                                        ; implicit-def: $vgpr6_vgpr7
	s_delay_alu instid0(VALU_DEP_2) | instskip(NEXT) | instid1(VALU_DEP_2)
	v_cmp_le_i32_e64 s8, v39, v11
	v_lshl_add_u32 v12, v10, 3, v37
	v_cmp_gt_i32_e64 s9, v42, v10
	ds_load_b64 v[2:3], v8
	ds_load_b64 v[4:5], v12
	s_waitcnt lgkmcnt(0)
	v_cmp_lt_i64_e64 s7, v[4:5], v[2:3]
	s_delay_alu instid0(VALU_DEP_1) | instskip(NEXT) | instid1(SALU_CYCLE_1)
	s_or_b32 s7, s8, s7
	s_and_b32 s7, s9, s7
	s_delay_alu instid0(SALU_CYCLE_1) | instskip(NEXT) | instid1(SALU_CYCLE_1)
	s_xor_b32 s8, s7, -1
	s_and_saveexec_b32 s9, s8
	s_delay_alu instid0(SALU_CYCLE_1)
	s_xor_b32 s8, exec_lo, s9
	s_cbranch_execz .LBB178_56
; %bb.55:
	ds_load_b64 v[6:7], v8 offset:8
                                        ; implicit-def: $vgpr12
.LBB178_56:
	s_or_saveexec_b32 s8, s8
	v_dual_mov_b32 v9, v5 :: v_dual_mov_b32 v8, v4
	s_xor_b32 exec_lo, exec_lo, s8
	s_cbranch_execz .LBB178_58
; %bb.57:
	ds_load_b64 v[8:9], v12 offset:8
	s_waitcnt lgkmcnt(1)
	v_dual_mov_b32 v7, v3 :: v_dual_mov_b32 v6, v2
.LBB178_58:
	s_or_b32 exec_lo, exec_lo, s8
	v_add_nc_u32_e32 v12, 1, v11
	v_add_nc_u32_e32 v13, 1, v10
	s_waitcnt lgkmcnt(0)
	v_cmp_lt_i64_e64 s8, v[8:9], v[6:7]
	s_delay_alu instid0(VALU_DEP_3) | instskip(NEXT) | instid1(VALU_DEP_3)
	v_cndmask_b32_e64 v15, v12, v11, s7
	v_cndmask_b32_e64 v14, v10, v13, s7
                                        ; implicit-def: $vgpr10_vgpr11
	s_delay_alu instid0(VALU_DEP_2) | instskip(NEXT) | instid1(VALU_DEP_2)
	v_cmp_ge_i32_e64 s9, v15, v39
	v_cmp_lt_i32_e64 s10, v14, v42
	s_delay_alu instid0(VALU_DEP_2)
	s_or_b32 s8, s9, s8
	s_delay_alu instid0(VALU_DEP_1) | instid1(SALU_CYCLE_1)
	s_and_b32 s8, s10, s8
	s_delay_alu instid0(SALU_CYCLE_1) | instskip(NEXT) | instid1(SALU_CYCLE_1)
	s_xor_b32 s9, s8, -1
	s_and_saveexec_b32 s10, s9
	s_delay_alu instid0(SALU_CYCLE_1)
	s_xor_b32 s9, exec_lo, s10
	s_cbranch_execz .LBB178_60
; %bb.59:
	v_lshl_add_u32 v10, v15, 3, v37
	ds_load_b64 v[10:11], v10 offset:8
.LBB178_60:
	s_or_saveexec_b32 s9, s9
	v_dual_mov_b32 v13, v9 :: v_dual_mov_b32 v12, v8
	s_xor_b32 exec_lo, exec_lo, s9
	s_cbranch_execz .LBB178_62
; %bb.61:
	s_waitcnt lgkmcnt(0)
	v_lshl_add_u32 v10, v14, 3, v37
	ds_load_b64 v[12:13], v10 offset:8
	v_dual_mov_b32 v11, v7 :: v_dual_mov_b32 v10, v6
.LBB178_62:
	s_or_b32 exec_lo, exec_lo, s9
	v_add_nc_u32_e32 v16, 1, v15
	v_add_nc_u32_e32 v17, 1, v14
	s_waitcnt lgkmcnt(0)
	v_cmp_lt_i64_e64 s9, v[12:13], v[10:11]
	s_delay_alu instid0(VALU_DEP_3) | instskip(NEXT) | instid1(VALU_DEP_3)
	v_cndmask_b32_e64 v19, v16, v15, s8
	v_cndmask_b32_e64 v18, v14, v17, s8
                                        ; implicit-def: $vgpr14_vgpr15
	s_delay_alu instid0(VALU_DEP_2) | instskip(NEXT) | instid1(VALU_DEP_2)
	v_cmp_ge_i32_e64 s10, v19, v39
	v_cmp_lt_i32_e64 s11, v18, v42
	s_delay_alu instid0(VALU_DEP_2)
	s_or_b32 s9, s10, s9
	s_delay_alu instid0(VALU_DEP_1) | instid1(SALU_CYCLE_1)
	s_and_b32 s9, s11, s9
	s_delay_alu instid0(SALU_CYCLE_1) | instskip(NEXT) | instid1(SALU_CYCLE_1)
	s_xor_b32 s10, s9, -1
	s_and_saveexec_b32 s11, s10
	s_delay_alu instid0(SALU_CYCLE_1)
	s_xor_b32 s10, exec_lo, s11
	s_cbranch_execz .LBB178_64
; %bb.63:
	v_lshl_add_u32 v14, v19, 3, v37
	ds_load_b64 v[14:15], v14 offset:8
.LBB178_64:
	s_or_saveexec_b32 s10, s10
	v_dual_mov_b32 v17, v13 :: v_dual_mov_b32 v16, v12
	s_xor_b32 exec_lo, exec_lo, s10
	s_cbranch_execz .LBB178_66
; %bb.65:
	s_waitcnt lgkmcnt(0)
	v_lshl_add_u32 v14, v18, 3, v37
	ds_load_b64 v[16:17], v14 offset:8
	v_dual_mov_b32 v15, v11 :: v_dual_mov_b32 v14, v10
.LBB178_66:
	s_or_b32 exec_lo, exec_lo, s10
	v_add_nc_u32_e32 v20, 1, v19
	v_add_nc_u32_e32 v21, 1, v18
	s_waitcnt lgkmcnt(0)
	v_cmp_lt_i64_e64 s10, v[16:17], v[14:15]
	s_delay_alu instid0(VALU_DEP_3) | instskip(NEXT) | instid1(VALU_DEP_3)
	v_cndmask_b32_e64 v23, v20, v19, s9
	v_cndmask_b32_e64 v22, v18, v21, s9
                                        ; implicit-def: $vgpr18_vgpr19
	s_delay_alu instid0(VALU_DEP_2) | instskip(NEXT) | instid1(VALU_DEP_2)
	v_cmp_ge_i32_e64 s11, v23, v39
	v_cmp_lt_i32_e64 s12, v22, v42
	s_delay_alu instid0(VALU_DEP_2)
	s_or_b32 s10, s11, s10
	s_delay_alu instid0(VALU_DEP_1) | instid1(SALU_CYCLE_1)
	s_and_b32 s10, s12, s10
	s_delay_alu instid0(SALU_CYCLE_1) | instskip(NEXT) | instid1(SALU_CYCLE_1)
	s_xor_b32 s11, s10, -1
	s_and_saveexec_b32 s12, s11
	s_delay_alu instid0(SALU_CYCLE_1)
	s_xor_b32 s11, exec_lo, s12
	s_cbranch_execz .LBB178_68
; %bb.67:
	v_lshl_add_u32 v18, v23, 3, v37
	ds_load_b64 v[18:19], v18 offset:8
.LBB178_68:
	s_or_saveexec_b32 s11, s11
	v_dual_mov_b32 v21, v17 :: v_dual_mov_b32 v20, v16
	s_xor_b32 exec_lo, exec_lo, s11
	s_cbranch_execz .LBB178_70
; %bb.69:
	s_waitcnt lgkmcnt(0)
	v_lshl_add_u32 v18, v22, 3, v37
	ds_load_b64 v[20:21], v18 offset:8
	v_dual_mov_b32 v19, v15 :: v_dual_mov_b32 v18, v14
.LBB178_70:
	s_or_b32 exec_lo, exec_lo, s11
	v_add_nc_u32_e32 v24, 1, v23
	v_add_nc_u32_e32 v25, 1, v22
	s_waitcnt lgkmcnt(0)
	v_cmp_lt_i64_e64 s11, v[20:21], v[18:19]
	s_delay_alu instid0(VALU_DEP_3) | instskip(NEXT) | instid1(VALU_DEP_3)
	v_cndmask_b32_e64 v27, v24, v23, s10
	v_cndmask_b32_e64 v26, v22, v25, s10
                                        ; implicit-def: $vgpr22_vgpr23
	s_delay_alu instid0(VALU_DEP_2) | instskip(NEXT) | instid1(VALU_DEP_2)
	v_cmp_ge_i32_e64 s12, v27, v39
	v_cmp_lt_i32_e64 s13, v26, v42
	s_delay_alu instid0(VALU_DEP_2)
	s_or_b32 s11, s12, s11
	s_delay_alu instid0(VALU_DEP_1) | instid1(SALU_CYCLE_1)
	s_and_b32 s11, s13, s11
	s_delay_alu instid0(SALU_CYCLE_1) | instskip(NEXT) | instid1(SALU_CYCLE_1)
	s_xor_b32 s12, s11, -1
	s_and_saveexec_b32 s13, s12
	s_delay_alu instid0(SALU_CYCLE_1)
	s_xor_b32 s12, exec_lo, s13
	s_cbranch_execz .LBB178_72
; %bb.71:
	v_lshl_add_u32 v22, v27, 3, v37
	ds_load_b64 v[22:23], v22 offset:8
.LBB178_72:
	s_or_saveexec_b32 s12, s12
	v_dual_mov_b32 v25, v21 :: v_dual_mov_b32 v24, v20
	s_xor_b32 exec_lo, exec_lo, s12
	s_cbranch_execz .LBB178_74
; %bb.73:
	s_waitcnt lgkmcnt(0)
	v_lshl_add_u32 v22, v26, 3, v37
	ds_load_b64 v[24:25], v22 offset:8
	v_dual_mov_b32 v23, v19 :: v_dual_mov_b32 v22, v18
.LBB178_74:
	s_or_b32 exec_lo, exec_lo, s12
	v_add_nc_u32_e32 v28, 1, v27
	v_add_nc_u32_e32 v30, 1, v26
	s_waitcnt lgkmcnt(0)
	v_cmp_lt_i64_e64 s12, v[24:25], v[22:23]
	s_delay_alu instid0(VALU_DEP_3) | instskip(NEXT) | instid1(VALU_DEP_3)
	v_cndmask_b32_e64 v29, v28, v27, s11
	v_cndmask_b32_e64 v28, v26, v30, s11
                                        ; implicit-def: $vgpr26_vgpr27
	s_delay_alu instid0(VALU_DEP_2) | instskip(NEXT) | instid1(VALU_DEP_2)
	v_cmp_ge_i32_e64 s13, v29, v39
	v_cmp_lt_i32_e64 s14, v28, v42
	s_delay_alu instid0(VALU_DEP_2)
	s_or_b32 s12, s13, s12
	s_delay_alu instid0(VALU_DEP_1) | instid1(SALU_CYCLE_1)
	s_and_b32 s12, s14, s12
	s_delay_alu instid0(SALU_CYCLE_1) | instskip(NEXT) | instid1(SALU_CYCLE_1)
	s_xor_b32 s13, s12, -1
	s_and_saveexec_b32 s14, s13
	s_delay_alu instid0(SALU_CYCLE_1)
	s_xor_b32 s13, exec_lo, s14
	s_cbranch_execz .LBB178_76
; %bb.75:
	v_lshl_add_u32 v26, v29, 3, v37
	ds_load_b64 v[26:27], v26 offset:8
.LBB178_76:
	s_or_saveexec_b32 s13, s13
	v_dual_mov_b32 v31, v25 :: v_dual_mov_b32 v30, v24
	s_xor_b32 exec_lo, exec_lo, s13
	s_cbranch_execz .LBB178_78
; %bb.77:
	s_waitcnt lgkmcnt(0)
	v_lshl_add_u32 v26, v28, 3, v37
	ds_load_b64 v[30:31], v26 offset:8
	v_dual_mov_b32 v27, v23 :: v_dual_mov_b32 v26, v22
.LBB178_78:
	s_or_b32 exec_lo, exec_lo, s13
	v_add_nc_u32_e32 v32, 1, v29
	v_add_nc_u32_e32 v33, 1, v28
	s_waitcnt lgkmcnt(0)
	v_cmp_lt_i64_e64 s13, v[30:31], v[26:27]
	s_delay_alu instid0(VALU_DEP_3) | instskip(NEXT) | instid1(VALU_DEP_3)
	v_cndmask_b32_e64 v41, v32, v29, s12
	v_cndmask_b32_e64 v43, v28, v33, s12
                                        ; implicit-def: $vgpr28_vgpr29
	s_delay_alu instid0(VALU_DEP_2) | instskip(NEXT) | instid1(VALU_DEP_2)
	v_cmp_ge_i32_e64 s14, v41, v39
	v_cmp_lt_i32_e64 s15, v43, v42
	s_delay_alu instid0(VALU_DEP_2)
	s_or_b32 s13, s14, s13
	s_delay_alu instid0(VALU_DEP_1) | instid1(SALU_CYCLE_1)
	s_and_b32 s13, s15, s13
	s_delay_alu instid0(SALU_CYCLE_1) | instskip(NEXT) | instid1(SALU_CYCLE_1)
	s_xor_b32 s14, s13, -1
	s_and_saveexec_b32 s15, s14
	s_delay_alu instid0(SALU_CYCLE_1)
	s_xor_b32 s14, exec_lo, s15
	s_cbranch_execz .LBB178_80
; %bb.79:
	v_lshl_add_u32 v28, v41, 3, v37
	ds_load_b64 v[28:29], v28 offset:8
.LBB178_80:
	s_or_saveexec_b32 s14, s14
	v_dual_mov_b32 v33, v31 :: v_dual_mov_b32 v32, v30
	s_xor_b32 exec_lo, exec_lo, s14
	s_cbranch_execz .LBB178_82
; %bb.81:
	s_waitcnt lgkmcnt(0)
	v_lshl_add_u32 v28, v43, 3, v37
	ds_load_b64 v[32:33], v28 offset:8
	v_dual_mov_b32 v29, v27 :: v_dual_mov_b32 v28, v26
.LBB178_82:
	s_or_b32 exec_lo, exec_lo, s14
	v_and_b32_e32 v40, 0xc0, v35
	v_cndmask_b32_e64 v30, v26, v30, s13
	v_cndmask_b32_e64 v19, v19, v21, s11
	v_add_nc_u32_e32 v44, 1, v41
	v_cndmask_b32_e64 v11, v11, v13, s9
	v_min_i32_e32 v26, v34, v40
	v_cndmask_b32_e64 v13, v3, v5, s7
	v_cndmask_b32_e64 v31, v27, v31, s13
	v_add_nc_u32_e32 v27, 1, v43
	v_cndmask_b32_e64 v10, v10, v12, s9
	v_add_nc_u32_e32 v21, 32, v26
	v_cndmask_b32_e64 v12, v2, v4, s7
	v_and_b32_e32 v2, 56, v35
	v_cndmask_b32_e64 v4, v44, v41, s13
	s_waitcnt lgkmcnt(0)
	v_cmp_lt_i64_e64 s7, v[32:33], v[28:29]
	v_min_i32_e32 v40, v34, v21
	v_cndmask_b32_e64 v9, v7, v9, s8
	v_cndmask_b32_e64 v8, v6, v8, s8
	v_min_i32_e32 v2, v34, v2
	v_cmp_ge_i32_e64 s8, v4, v39
	v_add_nc_u32_e32 v3, 32, v40
	v_cndmask_b32_e64 v23, v23, v25, s12
	v_cndmask_b32_e64 v22, v22, v24, s12
	;; [unrolled: 1-line block ×3, first 2 shown]
	s_or_b32 s7, s8, s7
	v_min_i32_e32 v41, v34, v3
	v_cndmask_b32_e64 v3, v43, v27, s13
	v_cndmask_b32_e64 v15, v15, v17, s10
	;; [unrolled: 1-line block ×3, first 2 shown]
	s_delay_alu instid0(VALU_DEP_4) | instskip(NEXT) | instid1(VALU_DEP_4)
	v_sub_nc_u32_e32 v5, v41, v40
	v_cmp_lt_i32_e64 s9, v3, v42
	v_sub_nc_u32_e32 v3, v40, v26
	; wave barrier
	ds_store_2addr_b64 v38, v[12:13], v[8:9] offset1:1
	ds_store_2addr_b64 v38, v[10:11], v[14:15] offset0:2 offset1:3
	v_sub_nc_u32_e32 v6, v2, v5
	v_cmp_ge_i32_e64 s8, v2, v5
	s_and_b32 s7, s9, s7
	v_min_i32_e32 v4, v2, v3
	v_lshl_add_u32 v3, v26, 3, v37
	v_cndmask_b32_e64 v17, v29, v33, s7
	v_cndmask_b32_e64 v6, 0, v6, s8
	;; [unrolled: 1-line block ×3, first 2 shown]
	s_mov_b32 s9, 0
	s_mov_b32 s8, exec_lo
	ds_store_2addr_b64 v38, v[18:19], v[22:23] offset0:4 offset1:5
	ds_store_2addr_b64 v38, v[30:31], v[16:17] offset0:6 offset1:7
	; wave barrier
	v_cmpx_lt_i32_e64 v6, v4
	s_cbranch_execz .LBB178_86
; %bb.83:
	v_lshlrev_b32_e32 v5, 3, v40
	v_lshlrev_b32_e32 v7, 3, v2
	s_delay_alu instid0(VALU_DEP_1)
	v_add3_u32 v5, v37, v5, v7
	.p2align	6
.LBB178_84:                             ; =>This Inner Loop Header: Depth=1
	v_sub_nc_u32_e32 v7, v4, v6
	s_delay_alu instid0(VALU_DEP_1) | instskip(NEXT) | instid1(VALU_DEP_1)
	v_lshrrev_b32_e32 v8, 31, v7
	v_add_nc_u32_e32 v7, v7, v8
	s_delay_alu instid0(VALU_DEP_1) | instskip(NEXT) | instid1(VALU_DEP_1)
	v_ashrrev_i32_e32 v7, 1, v7
	v_add_nc_u32_e32 v11, v7, v6
	s_delay_alu instid0(VALU_DEP_1) | instskip(SKIP_1) | instid1(VALU_DEP_2)
	v_not_b32_e32 v7, v11
	v_lshl_add_u32 v8, v11, 3, v3
	v_lshl_add_u32 v9, v7, 3, v5
	ds_load_b64 v[7:8], v8
	ds_load_b64 v[9:10], v9
	s_waitcnt lgkmcnt(0)
	v_cmp_lt_i64_e64 s7, v[9:10], v[7:8]
	v_add_nc_u32_e32 v7, 1, v11
	s_delay_alu instid0(VALU_DEP_2) | instskip(NEXT) | instid1(VALU_DEP_2)
	v_cndmask_b32_e64 v4, v4, v11, s7
	v_cndmask_b32_e64 v6, v7, v6, s7
	s_delay_alu instid0(VALU_DEP_1) | instskip(NEXT) | instid1(VALU_DEP_1)
	v_cmp_ge_i32_e64 s7, v6, v4
	s_or_b32 s9, s7, s9
	s_delay_alu instid0(SALU_CYCLE_1)
	s_and_not1_b32 exec_lo, exec_lo, s9
	s_cbranch_execnz .LBB178_84
; %bb.85:
	s_or_b32 exec_lo, exec_lo, s9
.LBB178_86:
	s_delay_alu instid0(SALU_CYCLE_1) | instskip(SKIP_3) | instid1(VALU_DEP_3)
	s_or_b32 exec_lo, exec_lo, s8
	v_add_nc_u32_e32 v2, v40, v2
	v_lshl_add_u32 v8, v6, 3, v3
	v_add_nc_u32_e32 v11, v6, v26
	v_sub_nc_u32_e32 v10, v2, v6
                                        ; implicit-def: $vgpr6_vgpr7
	s_delay_alu instid0(VALU_DEP_2) | instskip(NEXT) | instid1(VALU_DEP_2)
	v_cmp_le_i32_e64 s8, v40, v11
	v_lshl_add_u32 v12, v10, 3, v37
	v_cmp_gt_i32_e64 s9, v41, v10
	ds_load_b64 v[2:3], v8
	ds_load_b64 v[4:5], v12
	s_waitcnt lgkmcnt(0)
	v_cmp_lt_i64_e64 s7, v[4:5], v[2:3]
	s_delay_alu instid0(VALU_DEP_1) | instskip(NEXT) | instid1(SALU_CYCLE_1)
	s_or_b32 s7, s8, s7
	s_and_b32 s7, s9, s7
	s_delay_alu instid0(SALU_CYCLE_1) | instskip(NEXT) | instid1(SALU_CYCLE_1)
	s_xor_b32 s8, s7, -1
	s_and_saveexec_b32 s9, s8
	s_delay_alu instid0(SALU_CYCLE_1)
	s_xor_b32 s8, exec_lo, s9
	s_cbranch_execz .LBB178_88
; %bb.87:
	ds_load_b64 v[6:7], v8 offset:8
                                        ; implicit-def: $vgpr12
.LBB178_88:
	s_or_saveexec_b32 s8, s8
	v_dual_mov_b32 v9, v5 :: v_dual_mov_b32 v8, v4
	s_xor_b32 exec_lo, exec_lo, s8
	s_cbranch_execz .LBB178_90
; %bb.89:
	ds_load_b64 v[8:9], v12 offset:8
	s_waitcnt lgkmcnt(1)
	v_dual_mov_b32 v7, v3 :: v_dual_mov_b32 v6, v2
.LBB178_90:
	s_or_b32 exec_lo, exec_lo, s8
	v_add_nc_u32_e32 v12, 1, v11
	v_add_nc_u32_e32 v13, 1, v10
	s_waitcnt lgkmcnt(0)
	v_cmp_lt_i64_e64 s8, v[8:9], v[6:7]
	s_delay_alu instid0(VALU_DEP_3) | instskip(NEXT) | instid1(VALU_DEP_3)
	v_cndmask_b32_e64 v15, v12, v11, s7
	v_cndmask_b32_e64 v14, v10, v13, s7
                                        ; implicit-def: $vgpr10_vgpr11
	s_delay_alu instid0(VALU_DEP_2) | instskip(NEXT) | instid1(VALU_DEP_2)
	v_cmp_ge_i32_e64 s9, v15, v40
	v_cmp_lt_i32_e64 s10, v14, v41
	s_delay_alu instid0(VALU_DEP_2)
	s_or_b32 s8, s9, s8
	s_delay_alu instid0(VALU_DEP_1) | instid1(SALU_CYCLE_1)
	s_and_b32 s8, s10, s8
	s_delay_alu instid0(SALU_CYCLE_1) | instskip(NEXT) | instid1(SALU_CYCLE_1)
	s_xor_b32 s9, s8, -1
	s_and_saveexec_b32 s10, s9
	s_delay_alu instid0(SALU_CYCLE_1)
	s_xor_b32 s9, exec_lo, s10
	s_cbranch_execz .LBB178_92
; %bb.91:
	v_lshl_add_u32 v10, v15, 3, v37
	ds_load_b64 v[10:11], v10 offset:8
.LBB178_92:
	s_or_saveexec_b32 s9, s9
	v_dual_mov_b32 v13, v9 :: v_dual_mov_b32 v12, v8
	s_xor_b32 exec_lo, exec_lo, s9
	s_cbranch_execz .LBB178_94
; %bb.93:
	s_waitcnt lgkmcnt(0)
	v_lshl_add_u32 v10, v14, 3, v37
	ds_load_b64 v[12:13], v10 offset:8
	v_dual_mov_b32 v11, v7 :: v_dual_mov_b32 v10, v6
.LBB178_94:
	s_or_b32 exec_lo, exec_lo, s9
	v_add_nc_u32_e32 v16, 1, v15
	v_add_nc_u32_e32 v17, 1, v14
	s_waitcnt lgkmcnt(0)
	v_cmp_lt_i64_e64 s9, v[12:13], v[10:11]
	s_delay_alu instid0(VALU_DEP_3) | instskip(NEXT) | instid1(VALU_DEP_3)
	v_cndmask_b32_e64 v19, v16, v15, s8
	v_cndmask_b32_e64 v18, v14, v17, s8
                                        ; implicit-def: $vgpr14_vgpr15
	s_delay_alu instid0(VALU_DEP_2) | instskip(NEXT) | instid1(VALU_DEP_2)
	v_cmp_ge_i32_e64 s10, v19, v40
	v_cmp_lt_i32_e64 s11, v18, v41
	s_delay_alu instid0(VALU_DEP_2)
	s_or_b32 s9, s10, s9
	s_delay_alu instid0(VALU_DEP_1) | instid1(SALU_CYCLE_1)
	s_and_b32 s9, s11, s9
	s_delay_alu instid0(SALU_CYCLE_1) | instskip(NEXT) | instid1(SALU_CYCLE_1)
	s_xor_b32 s10, s9, -1
	s_and_saveexec_b32 s11, s10
	s_delay_alu instid0(SALU_CYCLE_1)
	s_xor_b32 s10, exec_lo, s11
	s_cbranch_execz .LBB178_96
; %bb.95:
	v_lshl_add_u32 v14, v19, 3, v37
	ds_load_b64 v[14:15], v14 offset:8
.LBB178_96:
	s_or_saveexec_b32 s10, s10
	v_dual_mov_b32 v17, v13 :: v_dual_mov_b32 v16, v12
	s_xor_b32 exec_lo, exec_lo, s10
	s_cbranch_execz .LBB178_98
; %bb.97:
	s_waitcnt lgkmcnt(0)
	v_lshl_add_u32 v14, v18, 3, v37
	ds_load_b64 v[16:17], v14 offset:8
	v_dual_mov_b32 v15, v11 :: v_dual_mov_b32 v14, v10
.LBB178_98:
	s_or_b32 exec_lo, exec_lo, s10
	v_add_nc_u32_e32 v20, 1, v19
	v_add_nc_u32_e32 v21, 1, v18
	s_waitcnt lgkmcnt(0)
	v_cmp_lt_i64_e64 s10, v[16:17], v[14:15]
	s_delay_alu instid0(VALU_DEP_3) | instskip(NEXT) | instid1(VALU_DEP_3)
	v_cndmask_b32_e64 v23, v20, v19, s9
	v_cndmask_b32_e64 v22, v18, v21, s9
                                        ; implicit-def: $vgpr18_vgpr19
	s_delay_alu instid0(VALU_DEP_2) | instskip(NEXT) | instid1(VALU_DEP_2)
	v_cmp_ge_i32_e64 s11, v23, v40
	v_cmp_lt_i32_e64 s12, v22, v41
	s_delay_alu instid0(VALU_DEP_2)
	s_or_b32 s10, s11, s10
	s_delay_alu instid0(VALU_DEP_1) | instid1(SALU_CYCLE_1)
	s_and_b32 s10, s12, s10
	s_delay_alu instid0(SALU_CYCLE_1) | instskip(NEXT) | instid1(SALU_CYCLE_1)
	s_xor_b32 s11, s10, -1
	s_and_saveexec_b32 s12, s11
	s_delay_alu instid0(SALU_CYCLE_1)
	s_xor_b32 s11, exec_lo, s12
	s_cbranch_execz .LBB178_100
; %bb.99:
	v_lshl_add_u32 v18, v23, 3, v37
	ds_load_b64 v[18:19], v18 offset:8
.LBB178_100:
	s_or_saveexec_b32 s11, s11
	v_dual_mov_b32 v21, v17 :: v_dual_mov_b32 v20, v16
	s_xor_b32 exec_lo, exec_lo, s11
	s_cbranch_execz .LBB178_102
; %bb.101:
	s_waitcnt lgkmcnt(0)
	v_lshl_add_u32 v18, v22, 3, v37
	ds_load_b64 v[20:21], v18 offset:8
	v_dual_mov_b32 v19, v15 :: v_dual_mov_b32 v18, v14
.LBB178_102:
	s_or_b32 exec_lo, exec_lo, s11
	v_add_nc_u32_e32 v24, 1, v23
	v_add_nc_u32_e32 v25, 1, v22
	s_waitcnt lgkmcnt(0)
	v_cmp_lt_i64_e64 s11, v[20:21], v[18:19]
	s_delay_alu instid0(VALU_DEP_3) | instskip(NEXT) | instid1(VALU_DEP_3)
	v_cndmask_b32_e64 v27, v24, v23, s10
	v_cndmask_b32_e64 v26, v22, v25, s10
                                        ; implicit-def: $vgpr22_vgpr23
	s_delay_alu instid0(VALU_DEP_2) | instskip(NEXT) | instid1(VALU_DEP_2)
	v_cmp_ge_i32_e64 s12, v27, v40
	v_cmp_lt_i32_e64 s13, v26, v41
	s_delay_alu instid0(VALU_DEP_2)
	s_or_b32 s11, s12, s11
	s_delay_alu instid0(VALU_DEP_1) | instid1(SALU_CYCLE_1)
	s_and_b32 s11, s13, s11
	s_delay_alu instid0(SALU_CYCLE_1) | instskip(NEXT) | instid1(SALU_CYCLE_1)
	s_xor_b32 s12, s11, -1
	s_and_saveexec_b32 s13, s12
	s_delay_alu instid0(SALU_CYCLE_1)
	s_xor_b32 s12, exec_lo, s13
	s_cbranch_execz .LBB178_104
; %bb.103:
	v_lshl_add_u32 v22, v27, 3, v37
	ds_load_b64 v[22:23], v22 offset:8
.LBB178_104:
	s_or_saveexec_b32 s12, s12
	v_dual_mov_b32 v25, v21 :: v_dual_mov_b32 v24, v20
	s_xor_b32 exec_lo, exec_lo, s12
	s_cbranch_execz .LBB178_106
; %bb.105:
	s_waitcnt lgkmcnt(0)
	v_lshl_add_u32 v22, v26, 3, v37
	ds_load_b64 v[24:25], v22 offset:8
	v_dual_mov_b32 v23, v19 :: v_dual_mov_b32 v22, v18
.LBB178_106:
	s_or_b32 exec_lo, exec_lo, s12
	v_add_nc_u32_e32 v28, 1, v27
	v_add_nc_u32_e32 v30, 1, v26
	s_waitcnt lgkmcnt(0)
	v_cmp_lt_i64_e64 s12, v[24:25], v[22:23]
	s_delay_alu instid0(VALU_DEP_3) | instskip(NEXT) | instid1(VALU_DEP_3)
	v_cndmask_b32_e64 v29, v28, v27, s11
	v_cndmask_b32_e64 v28, v26, v30, s11
                                        ; implicit-def: $vgpr26_vgpr27
	s_delay_alu instid0(VALU_DEP_2) | instskip(NEXT) | instid1(VALU_DEP_2)
	v_cmp_ge_i32_e64 s13, v29, v40
	v_cmp_lt_i32_e64 s14, v28, v41
	s_delay_alu instid0(VALU_DEP_2)
	s_or_b32 s12, s13, s12
	s_delay_alu instid0(VALU_DEP_1) | instid1(SALU_CYCLE_1)
	s_and_b32 s12, s14, s12
	s_delay_alu instid0(SALU_CYCLE_1) | instskip(NEXT) | instid1(SALU_CYCLE_1)
	s_xor_b32 s13, s12, -1
	s_and_saveexec_b32 s14, s13
	s_delay_alu instid0(SALU_CYCLE_1)
	s_xor_b32 s13, exec_lo, s14
	s_cbranch_execz .LBB178_108
; %bb.107:
	v_lshl_add_u32 v26, v29, 3, v37
	ds_load_b64 v[26:27], v26 offset:8
.LBB178_108:
	s_or_saveexec_b32 s13, s13
	v_dual_mov_b32 v31, v25 :: v_dual_mov_b32 v30, v24
	s_xor_b32 exec_lo, exec_lo, s13
	s_cbranch_execz .LBB178_110
; %bb.109:
	s_waitcnt lgkmcnt(0)
	v_lshl_add_u32 v26, v28, 3, v37
	ds_load_b64 v[30:31], v26 offset:8
	v_dual_mov_b32 v27, v23 :: v_dual_mov_b32 v26, v22
.LBB178_110:
	s_or_b32 exec_lo, exec_lo, s13
	v_add_nc_u32_e32 v32, 1, v29
	v_add_nc_u32_e32 v33, 1, v28
	s_waitcnt lgkmcnt(0)
	v_cmp_lt_i64_e64 s13, v[30:31], v[26:27]
	s_delay_alu instid0(VALU_DEP_3) | instskip(NEXT) | instid1(VALU_DEP_3)
	v_cndmask_b32_e64 v43, v32, v29, s12
	v_cndmask_b32_e64 v39, v28, v33, s12
                                        ; implicit-def: $vgpr28_vgpr29
	s_delay_alu instid0(VALU_DEP_2) | instskip(NEXT) | instid1(VALU_DEP_2)
	v_cmp_ge_i32_e64 s14, v43, v40
	v_cmp_lt_i32_e64 s15, v39, v41
	s_delay_alu instid0(VALU_DEP_2)
	s_or_b32 s13, s14, s13
	s_delay_alu instid0(VALU_DEP_1) | instid1(SALU_CYCLE_1)
	s_and_b32 s13, s15, s13
	s_delay_alu instid0(SALU_CYCLE_1) | instskip(NEXT) | instid1(SALU_CYCLE_1)
	s_xor_b32 s14, s13, -1
	s_and_saveexec_b32 s15, s14
	s_delay_alu instid0(SALU_CYCLE_1)
	s_xor_b32 s14, exec_lo, s15
	s_cbranch_execz .LBB178_112
; %bb.111:
	v_lshl_add_u32 v28, v43, 3, v37
	ds_load_b64 v[28:29], v28 offset:8
.LBB178_112:
	s_or_saveexec_b32 s14, s14
	v_dual_mov_b32 v33, v31 :: v_dual_mov_b32 v32, v30
	s_xor_b32 exec_lo, exec_lo, s14
	s_cbranch_execz .LBB178_114
; %bb.113:
	s_waitcnt lgkmcnt(0)
	v_lshl_add_u32 v28, v39, 3, v37
	ds_load_b64 v[32:33], v28 offset:8
	v_dual_mov_b32 v29, v27 :: v_dual_mov_b32 v28, v26
.LBB178_114:
	s_or_b32 exec_lo, exec_lo, s14
	v_and_b32_e32 v42, 0x80, v35
	v_cndmask_b32_e64 v30, v26, v30, s13
	v_cndmask_b32_e64 v19, v19, v21, s11
	v_add_nc_u32_e32 v44, 1, v43
	v_cndmask_b32_e64 v11, v11, v13, s9
	v_min_i32_e32 v26, v34, v42
	v_cndmask_b32_e64 v13, v3, v5, s7
	v_cndmask_b32_e64 v31, v27, v31, s13
	v_add_nc_u32_e32 v27, 1, v39
	v_cndmask_b32_e64 v10, v10, v12, s9
	v_add_nc_u32_e32 v21, 64, v26
	v_cndmask_b32_e64 v12, v2, v4, s7
	v_and_b32_e32 v2, 0x78, v35
	v_cndmask_b32_e64 v4, v44, v43, s13
	s_waitcnt lgkmcnt(0)
	v_cmp_lt_i64_e64 s7, v[32:33], v[28:29]
	v_min_i32_e32 v42, v34, v21
	v_cndmask_b32_e64 v9, v7, v9, s8
	v_cndmask_b32_e64 v8, v6, v8, s8
	v_min_i32_e32 v2, v34, v2
	v_cmp_ge_i32_e64 s8, v4, v40
	v_add_nc_u32_e32 v3, 64, v42
	v_cndmask_b32_e64 v23, v23, v25, s12
	v_cndmask_b32_e64 v22, v22, v24, s12
	;; [unrolled: 1-line block ×3, first 2 shown]
	s_or_b32 s7, s8, s7
	v_min_i32_e32 v43, v34, v3
	v_cndmask_b32_e64 v3, v39, v27, s13
	v_cndmask_b32_e64 v15, v15, v17, s10
	;; [unrolled: 1-line block ×3, first 2 shown]
	s_delay_alu instid0(VALU_DEP_4) | instskip(NEXT) | instid1(VALU_DEP_4)
	v_sub_nc_u32_e32 v5, v43, v42
	v_cmp_lt_i32_e64 s9, v3, v41
	v_sub_nc_u32_e32 v3, v42, v26
	; wave barrier
	ds_store_2addr_b64 v38, v[12:13], v[8:9] offset1:1
	ds_store_2addr_b64 v38, v[10:11], v[14:15] offset0:2 offset1:3
	v_sub_nc_u32_e32 v6, v2, v5
	v_cmp_ge_i32_e64 s8, v2, v5
	s_and_b32 s7, s9, s7
	v_min_i32_e32 v4, v2, v3
	v_lshl_add_u32 v3, v26, 3, v37
	v_cndmask_b32_e64 v17, v29, v33, s7
	v_cndmask_b32_e64 v6, 0, v6, s8
	;; [unrolled: 1-line block ×3, first 2 shown]
	s_mov_b32 s9, 0
	s_mov_b32 s8, exec_lo
	ds_store_2addr_b64 v38, v[18:19], v[22:23] offset0:4 offset1:5
	ds_store_2addr_b64 v38, v[30:31], v[16:17] offset0:6 offset1:7
	; wave barrier
	v_cmpx_lt_i32_e64 v6, v4
	s_cbranch_execz .LBB178_118
; %bb.115:
	v_lshlrev_b32_e32 v5, 3, v42
	v_lshlrev_b32_e32 v7, 3, v2
	s_delay_alu instid0(VALU_DEP_1)
	v_add3_u32 v5, v37, v5, v7
	.p2align	6
.LBB178_116:                            ; =>This Inner Loop Header: Depth=1
	v_sub_nc_u32_e32 v7, v4, v6
	s_delay_alu instid0(VALU_DEP_1) | instskip(NEXT) | instid1(VALU_DEP_1)
	v_lshrrev_b32_e32 v8, 31, v7
	v_add_nc_u32_e32 v7, v7, v8
	s_delay_alu instid0(VALU_DEP_1) | instskip(NEXT) | instid1(VALU_DEP_1)
	v_ashrrev_i32_e32 v7, 1, v7
	v_add_nc_u32_e32 v11, v7, v6
	s_delay_alu instid0(VALU_DEP_1) | instskip(SKIP_1) | instid1(VALU_DEP_2)
	v_not_b32_e32 v7, v11
	v_lshl_add_u32 v8, v11, 3, v3
	v_lshl_add_u32 v9, v7, 3, v5
	ds_load_b64 v[7:8], v8
	ds_load_b64 v[9:10], v9
	s_waitcnt lgkmcnt(0)
	v_cmp_lt_i64_e64 s7, v[9:10], v[7:8]
	v_add_nc_u32_e32 v7, 1, v11
	s_delay_alu instid0(VALU_DEP_2) | instskip(NEXT) | instid1(VALU_DEP_2)
	v_cndmask_b32_e64 v4, v4, v11, s7
	v_cndmask_b32_e64 v6, v7, v6, s7
	s_delay_alu instid0(VALU_DEP_1) | instskip(NEXT) | instid1(VALU_DEP_1)
	v_cmp_ge_i32_e64 s7, v6, v4
	s_or_b32 s9, s7, s9
	s_delay_alu instid0(SALU_CYCLE_1)
	s_and_not1_b32 exec_lo, exec_lo, s9
	s_cbranch_execnz .LBB178_116
; %bb.117:
	s_or_b32 exec_lo, exec_lo, s9
.LBB178_118:
	s_delay_alu instid0(SALU_CYCLE_1) | instskip(SKIP_3) | instid1(VALU_DEP_3)
	s_or_b32 exec_lo, exec_lo, s8
	v_add_nc_u32_e32 v2, v42, v2
	v_lshl_add_u32 v8, v6, 3, v3
	v_add_nc_u32_e32 v11, v6, v26
	v_sub_nc_u32_e32 v10, v2, v6
                                        ; implicit-def: $vgpr6_vgpr7
	s_delay_alu instid0(VALU_DEP_2) | instskip(NEXT) | instid1(VALU_DEP_2)
	v_cmp_le_i32_e64 s8, v42, v11
	v_lshl_add_u32 v12, v10, 3, v37
	v_cmp_gt_i32_e64 s9, v43, v10
	ds_load_b64 v[2:3], v8
	ds_load_b64 v[4:5], v12
	s_waitcnt lgkmcnt(0)
	v_cmp_lt_i64_e64 s7, v[4:5], v[2:3]
	s_delay_alu instid0(VALU_DEP_1) | instskip(NEXT) | instid1(SALU_CYCLE_1)
	s_or_b32 s7, s8, s7
	s_and_b32 s7, s9, s7
	s_delay_alu instid0(SALU_CYCLE_1) | instskip(NEXT) | instid1(SALU_CYCLE_1)
	s_xor_b32 s8, s7, -1
	s_and_saveexec_b32 s9, s8
	s_delay_alu instid0(SALU_CYCLE_1)
	s_xor_b32 s8, exec_lo, s9
	s_cbranch_execz .LBB178_120
; %bb.119:
	ds_load_b64 v[6:7], v8 offset:8
                                        ; implicit-def: $vgpr12
.LBB178_120:
	s_or_saveexec_b32 s8, s8
	v_dual_mov_b32 v9, v5 :: v_dual_mov_b32 v8, v4
	s_xor_b32 exec_lo, exec_lo, s8
	s_cbranch_execz .LBB178_122
; %bb.121:
	ds_load_b64 v[8:9], v12 offset:8
	s_waitcnt lgkmcnt(1)
	v_dual_mov_b32 v7, v3 :: v_dual_mov_b32 v6, v2
.LBB178_122:
	s_or_b32 exec_lo, exec_lo, s8
	v_add_nc_u32_e32 v12, 1, v11
	v_add_nc_u32_e32 v13, 1, v10
	s_waitcnt lgkmcnt(0)
	v_cmp_lt_i64_e64 s8, v[8:9], v[6:7]
	s_delay_alu instid0(VALU_DEP_3) | instskip(NEXT) | instid1(VALU_DEP_3)
	v_cndmask_b32_e64 v15, v12, v11, s7
	v_cndmask_b32_e64 v14, v10, v13, s7
                                        ; implicit-def: $vgpr10_vgpr11
	s_delay_alu instid0(VALU_DEP_2) | instskip(NEXT) | instid1(VALU_DEP_2)
	v_cmp_ge_i32_e64 s9, v15, v42
	v_cmp_lt_i32_e64 s10, v14, v43
	s_delay_alu instid0(VALU_DEP_2)
	s_or_b32 s8, s9, s8
	s_delay_alu instid0(VALU_DEP_1) | instid1(SALU_CYCLE_1)
	s_and_b32 s8, s10, s8
	s_delay_alu instid0(SALU_CYCLE_1) | instskip(NEXT) | instid1(SALU_CYCLE_1)
	s_xor_b32 s9, s8, -1
	s_and_saveexec_b32 s10, s9
	s_delay_alu instid0(SALU_CYCLE_1)
	s_xor_b32 s9, exec_lo, s10
	s_cbranch_execz .LBB178_124
; %bb.123:
	v_lshl_add_u32 v10, v15, 3, v37
	ds_load_b64 v[10:11], v10 offset:8
.LBB178_124:
	s_or_saveexec_b32 s9, s9
	v_dual_mov_b32 v13, v9 :: v_dual_mov_b32 v12, v8
	s_xor_b32 exec_lo, exec_lo, s9
	s_cbranch_execz .LBB178_126
; %bb.125:
	s_waitcnt lgkmcnt(0)
	v_lshl_add_u32 v10, v14, 3, v37
	ds_load_b64 v[12:13], v10 offset:8
	v_dual_mov_b32 v11, v7 :: v_dual_mov_b32 v10, v6
.LBB178_126:
	s_or_b32 exec_lo, exec_lo, s9
	v_add_nc_u32_e32 v16, 1, v15
	v_add_nc_u32_e32 v17, 1, v14
	s_waitcnt lgkmcnt(0)
	v_cmp_lt_i64_e64 s9, v[12:13], v[10:11]
	s_delay_alu instid0(VALU_DEP_3) | instskip(NEXT) | instid1(VALU_DEP_3)
	v_cndmask_b32_e64 v19, v16, v15, s8
	v_cndmask_b32_e64 v18, v14, v17, s8
                                        ; implicit-def: $vgpr14_vgpr15
	s_delay_alu instid0(VALU_DEP_2) | instskip(NEXT) | instid1(VALU_DEP_2)
	v_cmp_ge_i32_e64 s10, v19, v42
	v_cmp_lt_i32_e64 s11, v18, v43
	s_delay_alu instid0(VALU_DEP_2)
	s_or_b32 s9, s10, s9
	s_delay_alu instid0(VALU_DEP_1) | instid1(SALU_CYCLE_1)
	s_and_b32 s9, s11, s9
	s_delay_alu instid0(SALU_CYCLE_1) | instskip(NEXT) | instid1(SALU_CYCLE_1)
	s_xor_b32 s10, s9, -1
	s_and_saveexec_b32 s11, s10
	s_delay_alu instid0(SALU_CYCLE_1)
	s_xor_b32 s10, exec_lo, s11
	s_cbranch_execz .LBB178_128
; %bb.127:
	v_lshl_add_u32 v14, v19, 3, v37
	ds_load_b64 v[14:15], v14 offset:8
.LBB178_128:
	s_or_saveexec_b32 s10, s10
	v_dual_mov_b32 v17, v13 :: v_dual_mov_b32 v16, v12
	s_xor_b32 exec_lo, exec_lo, s10
	s_cbranch_execz .LBB178_130
; %bb.129:
	s_waitcnt lgkmcnt(0)
	v_lshl_add_u32 v14, v18, 3, v37
	ds_load_b64 v[16:17], v14 offset:8
	v_dual_mov_b32 v15, v11 :: v_dual_mov_b32 v14, v10
.LBB178_130:
	s_or_b32 exec_lo, exec_lo, s10
	v_add_nc_u32_e32 v20, 1, v19
	v_add_nc_u32_e32 v21, 1, v18
	s_waitcnt lgkmcnt(0)
	v_cmp_lt_i64_e64 s10, v[16:17], v[14:15]
	s_delay_alu instid0(VALU_DEP_3) | instskip(NEXT) | instid1(VALU_DEP_3)
	v_cndmask_b32_e64 v23, v20, v19, s9
	v_cndmask_b32_e64 v22, v18, v21, s9
                                        ; implicit-def: $vgpr18_vgpr19
	s_delay_alu instid0(VALU_DEP_2) | instskip(NEXT) | instid1(VALU_DEP_2)
	v_cmp_ge_i32_e64 s11, v23, v42
	v_cmp_lt_i32_e64 s12, v22, v43
	s_delay_alu instid0(VALU_DEP_2)
	s_or_b32 s10, s11, s10
	s_delay_alu instid0(VALU_DEP_1) | instid1(SALU_CYCLE_1)
	s_and_b32 s10, s12, s10
	s_delay_alu instid0(SALU_CYCLE_1) | instskip(NEXT) | instid1(SALU_CYCLE_1)
	s_xor_b32 s11, s10, -1
	s_and_saveexec_b32 s12, s11
	s_delay_alu instid0(SALU_CYCLE_1)
	s_xor_b32 s11, exec_lo, s12
	s_cbranch_execz .LBB178_132
; %bb.131:
	v_lshl_add_u32 v18, v23, 3, v37
	ds_load_b64 v[18:19], v18 offset:8
.LBB178_132:
	s_or_saveexec_b32 s11, s11
	v_dual_mov_b32 v21, v17 :: v_dual_mov_b32 v20, v16
	s_xor_b32 exec_lo, exec_lo, s11
	s_cbranch_execz .LBB178_134
; %bb.133:
	s_waitcnt lgkmcnt(0)
	v_lshl_add_u32 v18, v22, 3, v37
	ds_load_b64 v[20:21], v18 offset:8
	v_dual_mov_b32 v19, v15 :: v_dual_mov_b32 v18, v14
.LBB178_134:
	s_or_b32 exec_lo, exec_lo, s11
	v_add_nc_u32_e32 v24, 1, v23
	v_add_nc_u32_e32 v25, 1, v22
	s_waitcnt lgkmcnt(0)
	v_cmp_lt_i64_e64 s11, v[20:21], v[18:19]
	s_delay_alu instid0(VALU_DEP_3) | instskip(NEXT) | instid1(VALU_DEP_3)
	v_cndmask_b32_e64 v27, v24, v23, s10
	v_cndmask_b32_e64 v26, v22, v25, s10
                                        ; implicit-def: $vgpr22_vgpr23
	s_delay_alu instid0(VALU_DEP_2) | instskip(NEXT) | instid1(VALU_DEP_2)
	v_cmp_ge_i32_e64 s12, v27, v42
	v_cmp_lt_i32_e64 s13, v26, v43
	s_delay_alu instid0(VALU_DEP_2)
	s_or_b32 s11, s12, s11
	s_delay_alu instid0(VALU_DEP_1) | instid1(SALU_CYCLE_1)
	s_and_b32 s11, s13, s11
	s_delay_alu instid0(SALU_CYCLE_1) | instskip(NEXT) | instid1(SALU_CYCLE_1)
	s_xor_b32 s12, s11, -1
	s_and_saveexec_b32 s13, s12
	s_delay_alu instid0(SALU_CYCLE_1)
	s_xor_b32 s12, exec_lo, s13
	s_cbranch_execz .LBB178_136
; %bb.135:
	v_lshl_add_u32 v22, v27, 3, v37
	ds_load_b64 v[22:23], v22 offset:8
.LBB178_136:
	s_or_saveexec_b32 s12, s12
	v_dual_mov_b32 v25, v21 :: v_dual_mov_b32 v24, v20
	s_xor_b32 exec_lo, exec_lo, s12
	s_cbranch_execz .LBB178_138
; %bb.137:
	s_waitcnt lgkmcnt(0)
	v_lshl_add_u32 v22, v26, 3, v37
	ds_load_b64 v[24:25], v22 offset:8
	v_dual_mov_b32 v23, v19 :: v_dual_mov_b32 v22, v18
.LBB178_138:
	s_or_b32 exec_lo, exec_lo, s12
	v_add_nc_u32_e32 v28, 1, v27
	v_add_nc_u32_e32 v29, 1, v26
	s_waitcnt lgkmcnt(0)
	v_cmp_lt_i64_e64 s12, v[24:25], v[22:23]
	s_delay_alu instid0(VALU_DEP_3) | instskip(NEXT) | instid1(VALU_DEP_3)
	v_cndmask_b32_e64 v31, v28, v27, s11
	v_cndmask_b32_e64 v30, v26, v29, s11
                                        ; implicit-def: $vgpr26_vgpr27
	s_delay_alu instid0(VALU_DEP_2) | instskip(NEXT) | instid1(VALU_DEP_2)
	v_cmp_ge_i32_e64 s13, v31, v42
	v_cmp_lt_i32_e64 s14, v30, v43
	s_delay_alu instid0(VALU_DEP_2)
	s_or_b32 s12, s13, s12
	s_delay_alu instid0(VALU_DEP_1) | instid1(SALU_CYCLE_1)
	s_and_b32 s12, s14, s12
	s_delay_alu instid0(SALU_CYCLE_1) | instskip(NEXT) | instid1(SALU_CYCLE_1)
	s_xor_b32 s13, s12, -1
	s_and_saveexec_b32 s14, s13
	s_delay_alu instid0(SALU_CYCLE_1)
	s_xor_b32 s13, exec_lo, s14
	s_cbranch_execz .LBB178_140
; %bb.139:
	v_lshl_add_u32 v26, v31, 3, v37
	ds_load_b64 v[26:27], v26 offset:8
.LBB178_140:
	s_or_saveexec_b32 s13, s13
	v_dual_mov_b32 v29, v25 :: v_dual_mov_b32 v28, v24
	s_xor_b32 exec_lo, exec_lo, s13
	s_cbranch_execz .LBB178_142
; %bb.141:
	s_waitcnt lgkmcnt(0)
	v_lshl_add_u32 v26, v30, 3, v37
	ds_load_b64 v[28:29], v26 offset:8
	v_dual_mov_b32 v27, v23 :: v_dual_mov_b32 v26, v22
.LBB178_142:
	s_or_b32 exec_lo, exec_lo, s13
	v_add_nc_u32_e32 v32, 1, v31
	v_add_nc_u32_e32 v33, 1, v30
	s_waitcnt lgkmcnt(0)
	v_cmp_lt_i64_e64 s13, v[28:29], v[26:27]
	s_delay_alu instid0(VALU_DEP_3) | instskip(NEXT) | instid1(VALU_DEP_3)
	v_cndmask_b32_e64 v39, v32, v31, s12
	v_cndmask_b32_e64 v41, v30, v33, s12
                                        ; implicit-def: $vgpr30_vgpr31
	s_delay_alu instid0(VALU_DEP_2) | instskip(NEXT) | instid1(VALU_DEP_2)
	v_cmp_ge_i32_e64 s14, v39, v42
	v_cmp_lt_i32_e64 s15, v41, v43
	s_delay_alu instid0(VALU_DEP_2)
	s_or_b32 s13, s14, s13
	s_delay_alu instid0(VALU_DEP_1) | instid1(SALU_CYCLE_1)
	s_and_b32 s13, s15, s13
	s_delay_alu instid0(SALU_CYCLE_1) | instskip(NEXT) | instid1(SALU_CYCLE_1)
	s_xor_b32 s14, s13, -1
	s_and_saveexec_b32 s15, s14
	s_delay_alu instid0(SALU_CYCLE_1)
	s_xor_b32 s14, exec_lo, s15
	s_cbranch_execz .LBB178_144
; %bb.143:
	v_lshl_add_u32 v30, v39, 3, v37
	ds_load_b64 v[30:31], v30 offset:8
.LBB178_144:
	s_or_saveexec_b32 s14, s14
	v_dual_mov_b32 v33, v29 :: v_dual_mov_b32 v32, v28
	s_xor_b32 exec_lo, exec_lo, s14
	s_cbranch_execz .LBB178_146
; %bb.145:
	s_waitcnt lgkmcnt(0)
	v_lshl_add_u32 v30, v41, 3, v37
	ds_load_b64 v[32:33], v30 offset:8
	v_dual_mov_b32 v31, v27 :: v_dual_mov_b32 v30, v26
.LBB178_146:
	s_or_b32 exec_lo, exec_lo, s14
	v_add_nc_u32_e32 v45, 1, v39
	v_min_i32_e32 v40, 0, v34
	v_cndmask_b32_e64 v27, v27, v29, s13
	v_add_nc_u32_e32 v44, 1, v41
	v_cndmask_b32_e64 v10, v10, v12, s9
	v_cndmask_b32_e64 v29, v45, v39, s13
	v_add_nc_u32_e32 v39, 0x80, v40
	v_cndmask_b32_e64 v26, v26, v28, s13
	v_cndmask_b32_e64 v28, v41, v44, s13
	;; [unrolled: 1-line block ×4, first 2 shown]
	v_min_i32_e32 v39, v34, v39
	s_waitcnt lgkmcnt(0)
	v_cmp_lt_i64_e64 s8, v[32:33], v[30:31]
	v_and_b32_e32 v6, 0xf8, v35
	v_cndmask_b32_e64 v11, v11, v13, s9
	v_cmp_ge_i32_e64 s9, v29, v42
	v_add_nc_u32_e32 v12, 0x80, v39
	v_cndmask_b32_e64 v15, v15, v17, s10
	v_cndmask_b32_e64 v14, v14, v16, s10
	v_cmp_lt_i32_e64 s10, v28, v43
	v_cndmask_b32_e64 v13, v3, v5, s7
	v_min_i32_e32 v35, v34, v12
	v_min_i32_e32 v3, v34, v6
	s_or_b32 s8, s9, s8
	v_cndmask_b32_e64 v12, v2, v4, s7
	s_and_b32 s7, s10, s8
	v_sub_nc_u32_e32 v5, v35, v39
	v_cndmask_b32_e64 v17, v31, v33, s7
	v_sub_nc_u32_e32 v4, v39, v40
	v_cndmask_b32_e64 v16, v30, v32, s7
	v_cndmask_b32_e64 v23, v23, v25, s12
	v_sub_nc_u32_e32 v2, v3, v5
	v_cmp_ge_i32_e64 s7, v3, v5
	v_cndmask_b32_e64 v22, v22, v24, s12
	v_cndmask_b32_e64 v19, v19, v21, s11
	v_cndmask_b32_e64 v18, v18, v20, s11
	v_min_i32_e32 v4, v3, v4
	v_cndmask_b32_e64 v6, 0, v2, s7
	v_lshl_add_u32 v2, v40, 3, v37
	s_mov_b32 s9, 0
	s_mov_b32 s8, exec_lo
	; wave barrier
	ds_store_2addr_b64 v38, v[12:13], v[8:9] offset1:1
	ds_store_2addr_b64 v38, v[10:11], v[14:15] offset0:2 offset1:3
	ds_store_2addr_b64 v38, v[18:19], v[22:23] offset0:4 offset1:5
	;; [unrolled: 1-line block ×3, first 2 shown]
	; wave barrier
	v_cmpx_lt_i32_e64 v6, v4
	s_cbranch_execz .LBB178_150
; %bb.147:
	v_lshlrev_b32_e32 v5, 3, v39
	v_lshlrev_b32_e32 v7, 3, v3
	s_delay_alu instid0(VALU_DEP_1)
	v_add3_u32 v5, v37, v5, v7
	.p2align	6
.LBB178_148:                            ; =>This Inner Loop Header: Depth=1
	v_sub_nc_u32_e32 v7, v4, v6
	s_delay_alu instid0(VALU_DEP_1) | instskip(NEXT) | instid1(VALU_DEP_1)
	v_lshrrev_b32_e32 v8, 31, v7
	v_add_nc_u32_e32 v7, v7, v8
	s_delay_alu instid0(VALU_DEP_1) | instskip(NEXT) | instid1(VALU_DEP_1)
	v_ashrrev_i32_e32 v7, 1, v7
	v_add_nc_u32_e32 v11, v7, v6
	s_delay_alu instid0(VALU_DEP_1) | instskip(SKIP_1) | instid1(VALU_DEP_2)
	v_not_b32_e32 v7, v11
	v_lshl_add_u32 v8, v11, 3, v2
	v_lshl_add_u32 v9, v7, 3, v5
	ds_load_b64 v[7:8], v8
	ds_load_b64 v[9:10], v9
	s_waitcnt lgkmcnt(0)
	v_cmp_lt_i64_e64 s7, v[9:10], v[7:8]
	v_add_nc_u32_e32 v7, 1, v11
	s_delay_alu instid0(VALU_DEP_2) | instskip(NEXT) | instid1(VALU_DEP_2)
	v_cndmask_b32_e64 v4, v4, v11, s7
	v_cndmask_b32_e64 v6, v7, v6, s7
	s_delay_alu instid0(VALU_DEP_1) | instskip(NEXT) | instid1(VALU_DEP_1)
	v_cmp_ge_i32_e64 s7, v6, v4
	s_or_b32 s9, s7, s9
	s_delay_alu instid0(SALU_CYCLE_1)
	s_and_not1_b32 exec_lo, exec_lo, s9
	s_cbranch_execnz .LBB178_148
; %bb.149:
	s_or_b32 exec_lo, exec_lo, s9
.LBB178_150:
	s_delay_alu instid0(SALU_CYCLE_1) | instskip(SKIP_3) | instid1(VALU_DEP_3)
	s_or_b32 exec_lo, exec_lo, s8
	v_add_nc_u32_e32 v3, v39, v3
	v_lshl_add_u32 v8, v6, 3, v2
	v_add_nc_u32_e32 v11, v6, v40
	v_sub_nc_u32_e32 v10, v3, v6
                                        ; implicit-def: $vgpr6_vgpr7
	s_delay_alu instid0(VALU_DEP_2) | instskip(NEXT) | instid1(VALU_DEP_2)
	v_cmp_le_i32_e64 s8, v39, v11
	v_lshl_add_u32 v12, v10, 3, v37
	v_cmp_gt_i32_e64 s9, v35, v10
	ds_load_b64 v[2:3], v8
	ds_load_b64 v[4:5], v12
	s_waitcnt lgkmcnt(0)
	v_cmp_lt_i64_e64 s7, v[4:5], v[2:3]
	s_delay_alu instid0(VALU_DEP_1) | instskip(NEXT) | instid1(SALU_CYCLE_1)
	s_or_b32 s7, s8, s7
	s_and_b32 s7, s9, s7
	s_delay_alu instid0(SALU_CYCLE_1) | instskip(NEXT) | instid1(SALU_CYCLE_1)
	s_xor_b32 s8, s7, -1
	s_and_saveexec_b32 s9, s8
	s_delay_alu instid0(SALU_CYCLE_1)
	s_xor_b32 s8, exec_lo, s9
	s_cbranch_execz .LBB178_152
; %bb.151:
	ds_load_b64 v[6:7], v8 offset:8
                                        ; implicit-def: $vgpr12
.LBB178_152:
	s_or_saveexec_b32 s8, s8
	v_dual_mov_b32 v9, v5 :: v_dual_mov_b32 v8, v4
	s_xor_b32 exec_lo, exec_lo, s8
	s_cbranch_execz .LBB178_154
; %bb.153:
	ds_load_b64 v[8:9], v12 offset:8
	s_waitcnt lgkmcnt(1)
	v_dual_mov_b32 v7, v3 :: v_dual_mov_b32 v6, v2
.LBB178_154:
	s_or_b32 exec_lo, exec_lo, s8
	v_add_nc_u32_e32 v12, 1, v11
	v_add_nc_u32_e32 v13, 1, v10
	s_waitcnt lgkmcnt(0)
	v_cmp_lt_i64_e64 s8, v[8:9], v[6:7]
	s_delay_alu instid0(VALU_DEP_3) | instskip(NEXT) | instid1(VALU_DEP_3)
	v_cndmask_b32_e64 v15, v12, v11, s7
	v_cndmask_b32_e64 v14, v10, v13, s7
                                        ; implicit-def: $vgpr10_vgpr11
	s_delay_alu instid0(VALU_DEP_2) | instskip(NEXT) | instid1(VALU_DEP_2)
	v_cmp_ge_i32_e64 s9, v15, v39
	v_cmp_lt_i32_e64 s10, v14, v35
	s_delay_alu instid0(VALU_DEP_2)
	s_or_b32 s8, s9, s8
	s_delay_alu instid0(VALU_DEP_1) | instid1(SALU_CYCLE_1)
	s_and_b32 s8, s10, s8
	s_delay_alu instid0(SALU_CYCLE_1) | instskip(NEXT) | instid1(SALU_CYCLE_1)
	s_xor_b32 s9, s8, -1
	s_and_saveexec_b32 s10, s9
	s_delay_alu instid0(SALU_CYCLE_1)
	s_xor_b32 s9, exec_lo, s10
	s_cbranch_execz .LBB178_156
; %bb.155:
	v_lshl_add_u32 v10, v15, 3, v37
	ds_load_b64 v[10:11], v10 offset:8
.LBB178_156:
	s_or_saveexec_b32 s9, s9
	v_dual_mov_b32 v13, v9 :: v_dual_mov_b32 v12, v8
	s_xor_b32 exec_lo, exec_lo, s9
	s_cbranch_execz .LBB178_158
; %bb.157:
	s_waitcnt lgkmcnt(0)
	v_lshl_add_u32 v10, v14, 3, v37
	ds_load_b64 v[12:13], v10 offset:8
	v_dual_mov_b32 v11, v7 :: v_dual_mov_b32 v10, v6
.LBB178_158:
	s_or_b32 exec_lo, exec_lo, s9
	v_add_nc_u32_e32 v16, 1, v15
	v_add_nc_u32_e32 v17, 1, v14
	s_waitcnt lgkmcnt(0)
	v_cmp_lt_i64_e64 s9, v[12:13], v[10:11]
	s_delay_alu instid0(VALU_DEP_3) | instskip(NEXT) | instid1(VALU_DEP_3)
	v_cndmask_b32_e64 v19, v16, v15, s8
	v_cndmask_b32_e64 v18, v14, v17, s8
                                        ; implicit-def: $vgpr14_vgpr15
	s_delay_alu instid0(VALU_DEP_2) | instskip(NEXT) | instid1(VALU_DEP_2)
	v_cmp_ge_i32_e64 s10, v19, v39
	v_cmp_lt_i32_e64 s11, v18, v35
	s_delay_alu instid0(VALU_DEP_2)
	s_or_b32 s9, s10, s9
	s_delay_alu instid0(VALU_DEP_1) | instid1(SALU_CYCLE_1)
	s_and_b32 s9, s11, s9
	s_delay_alu instid0(SALU_CYCLE_1) | instskip(NEXT) | instid1(SALU_CYCLE_1)
	s_xor_b32 s10, s9, -1
	s_and_saveexec_b32 s11, s10
	s_delay_alu instid0(SALU_CYCLE_1)
	s_xor_b32 s10, exec_lo, s11
	s_cbranch_execz .LBB178_160
; %bb.159:
	v_lshl_add_u32 v14, v19, 3, v37
	ds_load_b64 v[14:15], v14 offset:8
.LBB178_160:
	s_or_saveexec_b32 s10, s10
	v_dual_mov_b32 v17, v13 :: v_dual_mov_b32 v16, v12
	s_xor_b32 exec_lo, exec_lo, s10
	s_cbranch_execz .LBB178_162
; %bb.161:
	s_waitcnt lgkmcnt(0)
	v_lshl_add_u32 v14, v18, 3, v37
	ds_load_b64 v[16:17], v14 offset:8
	v_dual_mov_b32 v15, v11 :: v_dual_mov_b32 v14, v10
.LBB178_162:
	s_or_b32 exec_lo, exec_lo, s10
	v_add_nc_u32_e32 v20, 1, v19
	v_add_nc_u32_e32 v21, 1, v18
	s_waitcnt lgkmcnt(0)
	v_cmp_lt_i64_e64 s10, v[16:17], v[14:15]
	s_delay_alu instid0(VALU_DEP_3) | instskip(NEXT) | instid1(VALU_DEP_3)
	v_cndmask_b32_e64 v23, v20, v19, s9
	v_cndmask_b32_e64 v22, v18, v21, s9
                                        ; implicit-def: $vgpr18_vgpr19
	s_delay_alu instid0(VALU_DEP_2) | instskip(NEXT) | instid1(VALU_DEP_2)
	v_cmp_ge_i32_e64 s11, v23, v39
	v_cmp_lt_i32_e64 s12, v22, v35
	s_delay_alu instid0(VALU_DEP_2)
	s_or_b32 s10, s11, s10
	s_delay_alu instid0(VALU_DEP_1) | instid1(SALU_CYCLE_1)
	s_and_b32 s10, s12, s10
	s_delay_alu instid0(SALU_CYCLE_1) | instskip(NEXT) | instid1(SALU_CYCLE_1)
	s_xor_b32 s11, s10, -1
	s_and_saveexec_b32 s12, s11
	s_delay_alu instid0(SALU_CYCLE_1)
	s_xor_b32 s11, exec_lo, s12
	s_cbranch_execz .LBB178_164
; %bb.163:
	v_lshl_add_u32 v18, v23, 3, v37
	ds_load_b64 v[18:19], v18 offset:8
.LBB178_164:
	s_or_saveexec_b32 s11, s11
	v_dual_mov_b32 v21, v17 :: v_dual_mov_b32 v20, v16
	s_xor_b32 exec_lo, exec_lo, s11
	s_cbranch_execz .LBB178_166
; %bb.165:
	s_waitcnt lgkmcnt(0)
	v_lshl_add_u32 v18, v22, 3, v37
	ds_load_b64 v[20:21], v18 offset:8
	v_dual_mov_b32 v19, v15 :: v_dual_mov_b32 v18, v14
.LBB178_166:
	s_or_b32 exec_lo, exec_lo, s11
	v_add_nc_u32_e32 v24, 1, v23
	v_add_nc_u32_e32 v25, 1, v22
	s_waitcnt lgkmcnt(0)
	v_cmp_lt_i64_e64 s11, v[20:21], v[18:19]
	s_delay_alu instid0(VALU_DEP_3) | instskip(NEXT) | instid1(VALU_DEP_3)
	v_cndmask_b32_e64 v27, v24, v23, s10
	v_cndmask_b32_e64 v26, v22, v25, s10
                                        ; implicit-def: $vgpr22_vgpr23
	s_delay_alu instid0(VALU_DEP_2) | instskip(NEXT) | instid1(VALU_DEP_2)
	v_cmp_ge_i32_e64 s12, v27, v39
	v_cmp_lt_i32_e64 s13, v26, v35
	s_delay_alu instid0(VALU_DEP_2)
	s_or_b32 s11, s12, s11
	s_delay_alu instid0(VALU_DEP_1) | instid1(SALU_CYCLE_1)
	s_and_b32 s11, s13, s11
	s_delay_alu instid0(SALU_CYCLE_1) | instskip(NEXT) | instid1(SALU_CYCLE_1)
	s_xor_b32 s12, s11, -1
	s_and_saveexec_b32 s13, s12
	s_delay_alu instid0(SALU_CYCLE_1)
	s_xor_b32 s12, exec_lo, s13
	s_cbranch_execz .LBB178_168
; %bb.167:
	v_lshl_add_u32 v22, v27, 3, v37
	ds_load_b64 v[22:23], v22 offset:8
.LBB178_168:
	s_or_saveexec_b32 s12, s12
	v_dual_mov_b32 v25, v21 :: v_dual_mov_b32 v24, v20
	s_xor_b32 exec_lo, exec_lo, s12
	s_cbranch_execz .LBB178_170
; %bb.169:
	s_waitcnt lgkmcnt(0)
	v_lshl_add_u32 v22, v26, 3, v37
	ds_load_b64 v[24:25], v22 offset:8
	v_dual_mov_b32 v23, v19 :: v_dual_mov_b32 v22, v18
.LBB178_170:
	s_or_b32 exec_lo, exec_lo, s12
	v_add_nc_u32_e32 v28, 1, v27
	v_add_nc_u32_e32 v29, 1, v26
	s_waitcnt lgkmcnt(0)
	v_cmp_lt_i64_e64 s12, v[24:25], v[22:23]
	s_delay_alu instid0(VALU_DEP_3) | instskip(NEXT) | instid1(VALU_DEP_3)
	v_cndmask_b32_e64 v31, v28, v27, s11
	v_cndmask_b32_e64 v30, v26, v29, s11
                                        ; implicit-def: $vgpr26_vgpr27
	s_delay_alu instid0(VALU_DEP_2) | instskip(NEXT) | instid1(VALU_DEP_2)
	v_cmp_ge_i32_e64 s13, v31, v39
	v_cmp_lt_i32_e64 s14, v30, v35
	s_delay_alu instid0(VALU_DEP_2)
	s_or_b32 s12, s13, s12
	s_delay_alu instid0(VALU_DEP_1) | instid1(SALU_CYCLE_1)
	s_and_b32 s12, s14, s12
	s_delay_alu instid0(SALU_CYCLE_1) | instskip(NEXT) | instid1(SALU_CYCLE_1)
	s_xor_b32 s13, s12, -1
	s_and_saveexec_b32 s14, s13
	s_delay_alu instid0(SALU_CYCLE_1)
	s_xor_b32 s13, exec_lo, s14
	s_cbranch_execz .LBB178_172
; %bb.171:
	v_lshl_add_u32 v26, v31, 3, v37
	ds_load_b64 v[26:27], v26 offset:8
.LBB178_172:
	s_or_saveexec_b32 s13, s13
	v_dual_mov_b32 v29, v25 :: v_dual_mov_b32 v28, v24
	s_xor_b32 exec_lo, exec_lo, s13
	s_cbranch_execz .LBB178_174
; %bb.173:
	s_waitcnt lgkmcnt(0)
	v_lshl_add_u32 v26, v30, 3, v37
	ds_load_b64 v[28:29], v26 offset:8
	v_dual_mov_b32 v27, v23 :: v_dual_mov_b32 v26, v22
.LBB178_174:
	s_or_b32 exec_lo, exec_lo, s13
	v_add_nc_u32_e32 v32, 1, v31
	v_add_nc_u32_e32 v33, 1, v30
	s_waitcnt lgkmcnt(0)
	v_cmp_lt_i64_e64 s13, v[28:29], v[26:27]
                                        ; implicit-def: $vgpr38
	s_delay_alu instid0(VALU_DEP_3) | instskip(NEXT) | instid1(VALU_DEP_3)
	v_cndmask_b32_e64 v40, v32, v31, s12
	v_cndmask_b32_e64 v34, v30, v33, s12
                                        ; implicit-def: $vgpr30_vgpr31
	s_delay_alu instid0(VALU_DEP_2) | instskip(NEXT) | instid1(VALU_DEP_2)
	v_cmp_ge_i32_e64 s14, v40, v39
	v_cmp_lt_i32_e64 s15, v34, v35
	s_delay_alu instid0(VALU_DEP_2)
	s_or_b32 s13, s14, s13
	s_delay_alu instid0(VALU_DEP_1) | instid1(SALU_CYCLE_1)
	s_and_b32 s13, s15, s13
	s_delay_alu instid0(SALU_CYCLE_1) | instskip(NEXT) | instid1(SALU_CYCLE_1)
	s_xor_b32 s14, s13, -1
	s_and_saveexec_b32 s15, s14
	s_delay_alu instid0(SALU_CYCLE_1)
	s_xor_b32 s14, exec_lo, s15
	s_cbranch_execz .LBB178_176
; %bb.175:
	v_lshl_add_u32 v30, v40, 3, v37
	v_add_nc_u32_e32 v38, 1, v40
                                        ; implicit-def: $vgpr40
                                        ; implicit-def: $vgpr37
	ds_load_b64 v[30:31], v30 offset:8
.LBB178_176:
	s_or_saveexec_b32 s14, s14
	v_dual_mov_b32 v33, v29 :: v_dual_mov_b32 v32, v28
	s_xor_b32 exec_lo, exec_lo, s14
	s_cbranch_execz .LBB178_178
; %bb.177:
	s_waitcnt lgkmcnt(0)
	v_lshl_add_u32 v30, v34, 3, v37
	v_add_nc_u32_e32 v34, 1, v34
	v_mov_b32_e32 v38, v40
	ds_load_b64 v[32:33], v30 offset:8
	v_dual_mov_b32 v31, v27 :: v_dual_mov_b32 v30, v26
.LBB178_178:
	s_or_b32 exec_lo, exec_lo, s14
	v_add_co_u32 v0, s14, s18, v0
	s_delay_alu instid0(VALU_DEP_1) | instskip(NEXT) | instid1(VALU_DEP_2)
	v_add_co_ci_u32_e64 v1, s14, s19, v1, s14
	v_add_co_u32 v0, s14, v0, v36
	s_delay_alu instid0(VALU_DEP_1)
	v_add_co_ci_u32_e64 v1, s14, 0, v1, s14
	s_and_saveexec_b32 s14, vcc_lo
	s_cbranch_execnz .LBB178_187
; %bb.179:
	s_or_b32 exec_lo, exec_lo, s14
	s_and_saveexec_b32 s7, s0
	s_cbranch_execnz .LBB178_188
.LBB178_180:
	s_or_b32 exec_lo, exec_lo, s7
	s_and_saveexec_b32 s0, s1
	s_cbranch_execnz .LBB178_189
.LBB178_181:
	s_or_b32 exec_lo, exec_lo, s0
	s_and_saveexec_b32 s0, s2
	s_cbranch_execnz .LBB178_190
.LBB178_182:
	s_or_b32 exec_lo, exec_lo, s0
	s_and_saveexec_b32 s0, s3
	s_cbranch_execnz .LBB178_191
.LBB178_183:
	s_or_b32 exec_lo, exec_lo, s0
	s_and_saveexec_b32 s0, s4
	s_cbranch_execnz .LBB178_192
.LBB178_184:
	s_or_b32 exec_lo, exec_lo, s0
	s_and_saveexec_b32 s0, s5
	s_cbranch_execnz .LBB178_193
.LBB178_185:
	s_or_b32 exec_lo, exec_lo, s0
	s_and_saveexec_b32 s0, s6
	s_cbranch_execnz .LBB178_194
.LBB178_186:
	s_nop 0
	s_sendmsg sendmsg(MSG_DEALLOC_VGPRS)
	s_endpgm
.LBB178_187:
	v_cndmask_b32_e64 v3, v3, v5, s7
	v_cndmask_b32_e64 v2, v2, v4, s7
	global_store_b64 v[0:1], v[2:3], off
	s_or_b32 exec_lo, exec_lo, s14
	s_and_saveexec_b32 s7, s0
	s_cbranch_execz .LBB178_180
.LBB178_188:
	v_cndmask_b32_e64 v3, v7, v9, s8
	v_cndmask_b32_e64 v2, v6, v8, s8
	global_store_b64 v[0:1], v[2:3], off offset:8
	s_or_b32 exec_lo, exec_lo, s7
	s_and_saveexec_b32 s0, s1
	s_cbranch_execz .LBB178_181
.LBB178_189:
	v_cndmask_b32_e64 v3, v11, v13, s9
	v_cndmask_b32_e64 v2, v10, v12, s9
	global_store_b64 v[0:1], v[2:3], off offset:16
	s_or_b32 exec_lo, exec_lo, s0
	s_and_saveexec_b32 s0, s2
	s_cbranch_execz .LBB178_182
.LBB178_190:
	v_cndmask_b32_e64 v3, v15, v17, s10
	v_cndmask_b32_e64 v2, v14, v16, s10
	global_store_b64 v[0:1], v[2:3], off offset:24
	s_or_b32 exec_lo, exec_lo, s0
	s_and_saveexec_b32 s0, s3
	s_cbranch_execz .LBB178_183
.LBB178_191:
	v_cndmask_b32_e64 v3, v19, v21, s11
	v_cndmask_b32_e64 v2, v18, v20, s11
	global_store_b64 v[0:1], v[2:3], off offset:32
	s_or_b32 exec_lo, exec_lo, s0
	s_and_saveexec_b32 s0, s4
	s_cbranch_execz .LBB178_184
.LBB178_192:
	v_cndmask_b32_e64 v3, v23, v25, s12
	v_cndmask_b32_e64 v2, v22, v24, s12
	global_store_b64 v[0:1], v[2:3], off offset:40
	s_or_b32 exec_lo, exec_lo, s0
	s_and_saveexec_b32 s0, s5
	s_cbranch_execz .LBB178_185
.LBB178_193:
	v_cndmask_b32_e64 v3, v27, v29, s13
	v_cndmask_b32_e64 v2, v26, v28, s13
	global_store_b64 v[0:1], v[2:3], off offset:48
	s_or_b32 exec_lo, exec_lo, s0
	s_and_saveexec_b32 s0, s6
	s_cbranch_execz .LBB178_186
.LBB178_194:
	s_waitcnt lgkmcnt(0)
	v_cmp_lt_i64_e32 vcc_lo, v[32:33], v[30:31]
	v_cmp_ge_i32_e64 s0, v38, v39
	v_cmp_lt_i32_e64 s1, v34, v35
	s_delay_alu instid0(VALU_DEP_2)
	s_or_b32 s0, s0, vcc_lo
	s_delay_alu instid0(VALU_DEP_1) | instid1(SALU_CYCLE_1)
	s_and_b32 vcc_lo, s1, s0
	v_dual_cndmask_b32 v3, v31, v33 :: v_dual_cndmask_b32 v2, v30, v32
	global_store_b64 v[0:1], v[2:3], off offset:56
	s_nop 0
	s_sendmsg sendmsg(MSG_DEALLOC_VGPRS)
	s_endpgm
	.section	.rodata,"a",@progbits
	.p2align	6, 0x0
	.amdhsa_kernel _Z19sort_keys_segmentedILj256ELj32ELj8ExN10test_utils4lessEEvPKT2_PS2_PKjT3_
		.amdhsa_group_segment_fixed_size 16448
		.amdhsa_private_segment_fixed_size 0
		.amdhsa_kernarg_size 28
		.amdhsa_user_sgpr_count 15
		.amdhsa_user_sgpr_dispatch_ptr 0
		.amdhsa_user_sgpr_queue_ptr 0
		.amdhsa_user_sgpr_kernarg_segment_ptr 1
		.amdhsa_user_sgpr_dispatch_id 0
		.amdhsa_user_sgpr_private_segment_size 0
		.amdhsa_wavefront_size32 1
		.amdhsa_uses_dynamic_stack 0
		.amdhsa_enable_private_segment 0
		.amdhsa_system_sgpr_workgroup_id_x 1
		.amdhsa_system_sgpr_workgroup_id_y 0
		.amdhsa_system_sgpr_workgroup_id_z 0
		.amdhsa_system_sgpr_workgroup_info 0
		.amdhsa_system_vgpr_workitem_id 0
		.amdhsa_next_free_vgpr 46
		.amdhsa_next_free_sgpr 20
		.amdhsa_reserve_vcc 1
		.amdhsa_float_round_mode_32 0
		.amdhsa_float_round_mode_16_64 0
		.amdhsa_float_denorm_mode_32 3
		.amdhsa_float_denorm_mode_16_64 3
		.amdhsa_dx10_clamp 1
		.amdhsa_ieee_mode 1
		.amdhsa_fp16_overflow 0
		.amdhsa_workgroup_processor_mode 1
		.amdhsa_memory_ordered 1
		.amdhsa_forward_progress 0
		.amdhsa_shared_vgpr_count 0
		.amdhsa_exception_fp_ieee_invalid_op 0
		.amdhsa_exception_fp_denorm_src 0
		.amdhsa_exception_fp_ieee_div_zero 0
		.amdhsa_exception_fp_ieee_overflow 0
		.amdhsa_exception_fp_ieee_underflow 0
		.amdhsa_exception_fp_ieee_inexact 0
		.amdhsa_exception_int_div_zero 0
	.end_amdhsa_kernel
	.section	.text._Z19sort_keys_segmentedILj256ELj32ELj8ExN10test_utils4lessEEvPKT2_PS2_PKjT3_,"axG",@progbits,_Z19sort_keys_segmentedILj256ELj32ELj8ExN10test_utils4lessEEvPKT2_PS2_PKjT3_,comdat
.Lfunc_end178:
	.size	_Z19sort_keys_segmentedILj256ELj32ELj8ExN10test_utils4lessEEvPKT2_PS2_PKjT3_, .Lfunc_end178-_Z19sort_keys_segmentedILj256ELj32ELj8ExN10test_utils4lessEEvPKT2_PS2_PKjT3_
                                        ; -- End function
	.section	.AMDGPU.csdata,"",@progbits
; Kernel info:
; codeLenInByte = 10624
; NumSgprs: 22
; NumVgprs: 46
; ScratchSize: 0
; MemoryBound: 0
; FloatMode: 240
; IeeeMode: 1
; LDSByteSize: 16448 bytes/workgroup (compile time only)
; SGPRBlocks: 2
; VGPRBlocks: 5
; NumSGPRsForWavesPerEU: 22
; NumVGPRsForWavesPerEU: 46
; Occupancy: 14
; WaveLimiterHint : 0
; COMPUTE_PGM_RSRC2:SCRATCH_EN: 0
; COMPUTE_PGM_RSRC2:USER_SGPR: 15
; COMPUTE_PGM_RSRC2:TRAP_HANDLER: 0
; COMPUTE_PGM_RSRC2:TGID_X_EN: 1
; COMPUTE_PGM_RSRC2:TGID_Y_EN: 0
; COMPUTE_PGM_RSRC2:TGID_Z_EN: 0
; COMPUTE_PGM_RSRC2:TIDIG_COMP_CNT: 0
	.section	.text._Z20sort_pairs_segmentedILj256ELj32ELj8ExN10test_utils4lessEEvPKT2_PS2_PKjT3_,"axG",@progbits,_Z20sort_pairs_segmentedILj256ELj32ELj8ExN10test_utils4lessEEvPKT2_PS2_PKjT3_,comdat
	.protected	_Z20sort_pairs_segmentedILj256ELj32ELj8ExN10test_utils4lessEEvPKT2_PS2_PKjT3_ ; -- Begin function _Z20sort_pairs_segmentedILj256ELj32ELj8ExN10test_utils4lessEEvPKT2_PS2_PKjT3_
	.globl	_Z20sort_pairs_segmentedILj256ELj32ELj8ExN10test_utils4lessEEvPKT2_PS2_PKjT3_
	.p2align	8
	.type	_Z20sort_pairs_segmentedILj256ELj32ELj8ExN10test_utils4lessEEvPKT2_PS2_PKjT3_,@function
_Z20sort_pairs_segmentedILj256ELj32ELj8ExN10test_utils4lessEEvPKT2_PS2_PKjT3_: ; @_Z20sort_pairs_segmentedILj256ELj32ELj8ExN10test_utils4lessEEvPKT2_PS2_PKjT3_
; %bb.0:
	s_clause 0x1
	s_load_b64 s[2:3], s[0:1], 0x10
	s_load_b128 s[16:19], s[0:1], 0x0
	v_lshrrev_b32_e32 v46, 5, v0
                                        ; implicit-def: $vgpr6_vgpr7
	s_delay_alu instid0(VALU_DEP_1) | instskip(SKIP_1) | instid1(VALU_DEP_1)
	v_lshl_or_b32 v0, s15, 3, v46
	v_mov_b32_e32 v1, 0
	v_lshlrev_b64 v[2:3], 2, v[0:1]
	v_lshlrev_b32_e32 v0, 8, v0
	s_delay_alu instid0(VALU_DEP_1) | instskip(SKIP_1) | instid1(VALU_DEP_3)
	v_lshlrev_b64 v[0:1], 3, v[0:1]
	s_waitcnt lgkmcnt(0)
	v_add_co_u32 v2, vcc_lo, s2, v2
	s_delay_alu instid0(VALU_DEP_4) | instskip(NEXT) | instid1(VALU_DEP_3)
	v_add_co_ci_u32_e32 v3, vcc_lo, s3, v3, vcc_lo
	v_add_co_u32 v4, vcc_lo, s16, v0
	global_load_b32 v50, v[2:3], off
	v_mbcnt_lo_u32_b32 v2, -1, 0
	v_add_co_ci_u32_e32 v5, vcc_lo, s17, v1, vcc_lo
	s_delay_alu instid0(VALU_DEP_2) | instskip(SKIP_1) | instid1(VALU_DEP_2)
	v_lshlrev_b32_e32 v3, 6, v2
	v_lshlrev_b32_e32 v51, 3, v2
	v_add_co_u32 v2, vcc_lo, v4, v3
	s_delay_alu instid0(VALU_DEP_4) | instskip(SKIP_1) | instid1(VALU_DEP_3)
	v_add_co_ci_u32_e32 v3, vcc_lo, 0, v5, vcc_lo
	s_waitcnt vmcnt(0)
	v_cmp_lt_u32_e64 s6, v51, v50
	s_delay_alu instid0(VALU_DEP_1)
	s_and_saveexec_b32 s0, s6
	s_cbranch_execz .LBB179_2
; %bb.1:
	global_load_b64 v[6:7], v[2:3], off
.LBB179_2:
	s_or_b32 exec_lo, exec_lo, s0
	v_or_b32_e32 v16, 1, v51
                                        ; implicit-def: $vgpr34_vgpr35
	s_delay_alu instid0(VALU_DEP_1) | instskip(NEXT) | instid1(VALU_DEP_1)
	v_cmp_lt_u32_e64 s5, v16, v50
	s_and_saveexec_b32 s0, s5
	s_cbranch_execz .LBB179_4
; %bb.3:
	global_load_b64 v[34:35], v[2:3], off offset:8
.LBB179_4:
	s_or_b32 exec_lo, exec_lo, s0
	v_or_b32_e32 v20, 2, v51
                                        ; implicit-def: $vgpr22_vgpr23
	s_delay_alu instid0(VALU_DEP_1) | instskip(NEXT) | instid1(VALU_DEP_1)
	v_cmp_lt_u32_e64 s4, v20, v50
	s_and_saveexec_b32 s0, s4
	s_cbranch_execz .LBB179_6
; %bb.5:
	global_load_b64 v[22:23], v[2:3], off offset:16
.LBB179_6:
	s_or_b32 exec_lo, exec_lo, s0
	v_or_b32_e32 v28, 3, v51
                                        ; implicit-def: $vgpr36_vgpr37
	s_delay_alu instid0(VALU_DEP_1) | instskip(NEXT) | instid1(VALU_DEP_1)
	v_cmp_lt_u32_e64 s3, v28, v50
	s_and_saveexec_b32 s0, s3
	s_cbranch_execz .LBB179_8
; %bb.7:
	global_load_b64 v[36:37], v[2:3], off offset:24
.LBB179_8:
	s_or_b32 exec_lo, exec_lo, s0
	v_or_b32_e32 v29, 4, v51
                                        ; implicit-def: $vgpr24_vgpr25
	s_delay_alu instid0(VALU_DEP_1) | instskip(NEXT) | instid1(VALU_DEP_1)
	v_cmp_lt_u32_e64 s2, v29, v50
	s_and_saveexec_b32 s0, s2
	s_cbranch_execz .LBB179_10
; %bb.9:
	global_load_b64 v[24:25], v[2:3], off offset:32
.LBB179_10:
	s_or_b32 exec_lo, exec_lo, s0
	v_or_b32_e32 v32, 5, v51
                                        ; implicit-def: $vgpr38_vgpr39
	s_delay_alu instid0(VALU_DEP_1) | instskip(NEXT) | instid1(VALU_DEP_1)
	v_cmp_lt_u32_e64 s1, v32, v50
	s_and_saveexec_b32 s0, s1
	s_cbranch_execz .LBB179_12
; %bb.11:
	global_load_b64 v[38:39], v[2:3], off offset:40
.LBB179_12:
	s_or_b32 exec_lo, exec_lo, s0
	v_or_b32_e32 v42, 6, v51
                                        ; implicit-def: $vgpr26_vgpr27
	s_delay_alu instid0(VALU_DEP_1) | instskip(NEXT) | instid1(VALU_DEP_1)
	v_cmp_lt_u32_e64 s0, v42, v50
	s_and_saveexec_b32 s7, s0
	s_cbranch_execz .LBB179_14
; %bb.13:
	global_load_b64 v[26:27], v[2:3], off offset:48
.LBB179_14:
	s_or_b32 exec_lo, exec_lo, s7
	v_or_b32_e32 v43, 7, v51
                                        ; implicit-def: $vgpr40_vgpr41
	s_delay_alu instid0(VALU_DEP_1)
	v_cmp_lt_u32_e32 vcc_lo, v43, v50
	s_and_saveexec_b32 s7, vcc_lo
	s_cbranch_execz .LBB179_16
; %bb.15:
	global_load_b64 v[40:41], v[2:3], off offset:56
.LBB179_16:
	s_or_b32 exec_lo, exec_lo, s7
	s_waitcnt vmcnt(0)
	v_add_co_u32 v2, s7, v6, 1
	s_delay_alu instid0(VALU_DEP_1) | instskip(SKIP_1) | instid1(VALU_DEP_1)
	v_add_co_ci_u32_e64 v3, s7, 0, v7, s7
	v_add_co_u32 v8, s7, v34, 1
	v_add_co_ci_u32_e64 v9, s7, 0, v35, s7
	v_add_co_u32 v10, s7, v22, 1
	s_delay_alu instid0(VALU_DEP_1) | instskip(SKIP_1) | instid1(VALU_DEP_1)
	v_add_co_ci_u32_e64 v11, s7, 0, v23, s7
	v_add_co_u32 v12, s7, v36, 1
	v_add_co_ci_u32_e64 v13, s7, 0, v37, s7
	;; [unrolled: 5-line block ×3, first 2 shown]
	v_add_co_u32 v4, s7, v26, 1
	s_delay_alu instid0(VALU_DEP_1) | instskip(SKIP_2) | instid1(VALU_DEP_1)
	v_add_co_ci_u32_e64 v5, s7, 0, v27, s7
	v_cmp_lt_i32_e64 s7, v16, v50
	v_add_co_u32 v16, s8, v40, 1
	v_add_co_ci_u32_e64 v17, s8, 0, v41, s8
	v_cmp_lt_i32_e64 s8, v20, v50
	s_delay_alu instid0(VALU_DEP_4)
	v_cndmask_b32_e64 v21, 0x7fffffff, v35, s7
	v_cndmask_b32_e64 v20, -1, v34, s7
	v_cmp_lt_i32_e64 s7, v28, v50
	v_cmp_lt_i32_e64 s9, v43, v50
	v_cndmask_b32_e64 v31, 0x7fffffff, v23, s8
	v_cndmask_b32_e64 v30, -1, v22, s8
	v_cmp_lt_i32_e64 s8, v29, v50
	v_cndmask_b32_e64 v23, 0x7fffffff, v37, s7
	v_cndmask_b32_e64 v22, -1, v36, s7
	v_cmp_lt_i32_e64 s7, v32, v50
	s_delay_alu instid0(VALU_DEP_4) | instskip(SKIP_2) | instid1(VALU_DEP_4)
	v_cndmask_b32_e64 v33, 0x7fffffff, v25, s8
	v_cndmask_b32_e64 v32, -1, v24, s8
	v_cmp_lt_i32_e64 s8, v42, v50
	v_cndmask_b32_e64 v29, 0x7fffffff, v39, s7
	v_cndmask_b32_e64 v28, -1, v38, s7
	s_delay_alu instid0(VALU_DEP_3)
	v_cndmask_b32_e64 v25, 0x7fffffff, v27, s8
	v_cndmask_b32_e64 v24, -1, v26, s8
	v_cndmask_b32_e64 v27, 0x7fffffff, v41, s9
	v_cndmask_b32_e64 v26, -1, v40, s9
	s_mov_b32 s8, exec_lo
	v_cmpx_lt_i32_e64 v51, v50
	s_cbranch_execz .LBB179_74
; %bb.17:
	v_dual_mov_b32 v43, v9 :: v_dual_mov_b32 v42, v8
	s_mov_b32 s9, exec_lo
	v_cmpx_lt_i64_e64 v[20:21], v[6:7]
; %bb.18:
	v_dual_mov_b32 v21, v7 :: v_dual_mov_b32 v20, v6
	v_dual_mov_b32 v6, v34 :: v_dual_mov_b32 v7, v35
	v_dual_mov_b32 v43, v3 :: v_dual_mov_b32 v42, v2
	v_dual_mov_b32 v2, v8 :: v_dual_mov_b32 v3, v9
; %bb.19:
	s_or_b32 exec_lo, exec_lo, s9
	v_dual_mov_b32 v45, v13 :: v_dual_mov_b32 v44, v12
	s_mov_b32 s9, exec_lo
	v_cmpx_lt_i64_e64 v[22:23], v[30:31]
; %bb.20:
	v_dual_mov_b32 v22, v30 :: v_dual_mov_b32 v23, v31
	v_dual_mov_b32 v30, v36 :: v_dual_mov_b32 v31, v37
	v_dual_mov_b32 v45, v11 :: v_dual_mov_b32 v44, v10
	v_dual_mov_b32 v10, v12 :: v_dual_mov_b32 v11, v13
; %bb.21:
	s_or_b32 exec_lo, exec_lo, s9
	v_dual_mov_b32 v37, v19 :: v_dual_mov_b32 v36, v18
	s_mov_b32 s9, exec_lo
	v_cmpx_lt_i64_e64 v[28:29], v[32:33]
; %bb.22:
	v_dual_mov_b32 v28, v32 :: v_dual_mov_b32 v29, v33
	v_dual_mov_b32 v32, v38 :: v_dual_mov_b32 v33, v39
	v_dual_mov_b32 v37, v15 :: v_dual_mov_b32 v36, v14
	v_dual_mov_b32 v14, v18 :: v_dual_mov_b32 v15, v19
; %bb.23:
	s_or_b32 exec_lo, exec_lo, s9
	v_dual_mov_b32 v35, v17 :: v_dual_mov_b32 v34, v16
	s_mov_b32 s9, exec_lo
	v_cmpx_lt_i64_e64 v[26:27], v[24:25]
; %bb.24:
	v_dual_mov_b32 v27, v25 :: v_dual_mov_b32 v26, v24
	v_dual_mov_b32 v24, v40 :: v_dual_mov_b32 v25, v41
	v_dual_mov_b32 v35, v5 :: v_dual_mov_b32 v34, v4
	v_dual_mov_b32 v4, v16 :: v_dual_mov_b32 v5, v17
; %bb.25:
	s_or_b32 exec_lo, exec_lo, s9
	v_cmp_lt_i64_e64 s7, v[30:31], v[20:21]
	v_dual_mov_b32 v8, v30 :: v_dual_mov_b32 v9, v31
	v_dual_mov_b32 v39, v11 :: v_dual_mov_b32 v38, v10
	s_delay_alu instid0(VALU_DEP_3) | instskip(NEXT) | instid1(SALU_CYCLE_1)
	s_and_saveexec_b32 s9, s7
	s_xor_b32 s7, exec_lo, s9
; %bb.26:
	v_dual_mov_b32 v8, v20 :: v_dual_mov_b32 v9, v21
	v_dual_mov_b32 v20, v30 :: v_dual_mov_b32 v21, v31
	v_dual_mov_b32 v38, v42 :: v_dual_mov_b32 v39, v43
	v_dual_mov_b32 v43, v11 :: v_dual_mov_b32 v42, v10
; %bb.27:
	s_or_b32 exec_lo, exec_lo, s7
	v_dual_mov_b32 v10, v32 :: v_dual_mov_b32 v11, v33
	v_dual_mov_b32 v31, v15 :: v_dual_mov_b32 v30, v14
	s_mov_b32 s9, exec_lo
	v_cmpx_lt_i64_e64 v[32:33], v[22:23]
; %bb.28:
	v_dual_mov_b32 v10, v22 :: v_dual_mov_b32 v11, v23
	v_dual_mov_b32 v22, v32 :: v_dual_mov_b32 v23, v33
	v_dual_mov_b32 v30, v44 :: v_dual_mov_b32 v31, v45
	v_dual_mov_b32 v45, v15 :: v_dual_mov_b32 v44, v14
; %bb.29:
	s_or_b32 exec_lo, exec_lo, s9
	v_dual_mov_b32 v12, v24 :: v_dual_mov_b32 v13, v25
	v_dual_mov_b32 v33, v5 :: v_dual_mov_b32 v32, v4
	s_mov_b32 s9, exec_lo
	v_cmpx_lt_i64_e64 v[24:25], v[28:29]
	;; [unrolled: 11-line block ×23, first 2 shown]
; %bb.72:
	v_dual_mov_b32 v19, v5 :: v_dual_mov_b32 v18, v4
	v_dual_mov_b32 v4, v36 :: v_dual_mov_b32 v5, v37
	;; [unrolled: 1-line block ×4, first 2 shown]
; %bb.73:
	s_or_b32 exec_lo, exec_lo, s9
.LBB179_74:
	s_delay_alu instid0(SALU_CYCLE_1) | instskip(SKIP_4) | instid1(VALU_DEP_4)
	s_or_b32 exec_lo, exec_lo, s8
	v_and_b32_e32 v34, 0xf0, v51
	v_and_b32_e32 v36, 8, v51
	v_lshlrev_b32_e32 v52, 3, v51
	v_mul_u32_u24_e32 v53, 0x808, v46
	v_min_i32_e32 v34, v50, v34
	; wave barrier
	s_delay_alu instid0(VALU_DEP_3) | instskip(SKIP_2) | instid1(VALU_DEP_2)
	v_mad_u32_u24 v54, 0x808, v46, v52
	s_mov_b32 s9, 0
	s_mov_b32 s8, exec_lo
	v_add_nc_u32_e32 v35, 8, v34
	v_lshlrev_b32_e32 v39, 3, v34
	ds_store_2addr_b64 v54, v[6:7], v[20:21] offset1:1
	ds_store_2addr_b64 v54, v[30:31], v[22:23] offset0:2 offset1:3
	ds_store_2addr_b64 v54, v[32:33], v[28:29] offset0:4 offset1:5
	;; [unrolled: 1-line block ×3, first 2 shown]
	v_min_i32_e32 v57, v50, v35
	v_mad_u32_u24 v6, 0x808, v46, v39
	; wave barrier
	s_delay_alu instid0(VALU_DEP_2) | instskip(SKIP_1) | instid1(VALU_DEP_2)
	v_add_nc_u32_e32 v35, 8, v57
	v_sub_nc_u32_e32 v37, v57, v34
	v_min_i32_e32 v58, v50, v35
	v_min_i32_e32 v35, v50, v36
	s_delay_alu instid0(VALU_DEP_2) | instskip(NEXT) | instid1(VALU_DEP_2)
	v_sub_nc_u32_e32 v36, v58, v57
	v_min_i32_e32 v37, v35, v37
	s_delay_alu instid0(VALU_DEP_2) | instskip(SKIP_1) | instid1(VALU_DEP_1)
	v_sub_nc_u32_e32 v38, v35, v36
	v_cmp_ge_i32_e64 s7, v35, v36
	v_cndmask_b32_e64 v36, 0, v38, s7
	s_delay_alu instid0(VALU_DEP_1)
	v_cmpx_lt_i32_e64 v36, v37
	s_cbranch_execz .LBB179_78
; %bb.75:
	v_lshlrev_b32_e32 v7, 3, v57
	v_lshlrev_b32_e32 v20, 3, v35
	s_delay_alu instid0(VALU_DEP_1)
	v_add3_u32 v7, v53, v7, v20
	.p2align	6
.LBB179_76:                             ; =>This Inner Loop Header: Depth=1
	v_sub_nc_u32_e32 v20, v37, v36
	s_delay_alu instid0(VALU_DEP_1) | instskip(NEXT) | instid1(VALU_DEP_1)
	v_lshrrev_b32_e32 v21, 31, v20
	v_add_nc_u32_e32 v20, v20, v21
	s_delay_alu instid0(VALU_DEP_1) | instskip(NEXT) | instid1(VALU_DEP_1)
	v_ashrrev_i32_e32 v20, 1, v20
	v_add_nc_u32_e32 v24, v20, v36
	s_delay_alu instid0(VALU_DEP_1) | instskip(SKIP_1) | instid1(VALU_DEP_2)
	v_not_b32_e32 v20, v24
	v_lshl_add_u32 v21, v24, 3, v6
	v_lshl_add_u32 v22, v20, 3, v7
	ds_load_b64 v[20:21], v21
	ds_load_b64 v[22:23], v22
	s_waitcnt lgkmcnt(0)
	v_cmp_lt_i64_e64 s7, v[22:23], v[20:21]
	v_add_nc_u32_e32 v20, 1, v24
	s_delay_alu instid0(VALU_DEP_2) | instskip(NEXT) | instid1(VALU_DEP_2)
	v_cndmask_b32_e64 v37, v37, v24, s7
	v_cndmask_b32_e64 v36, v20, v36, s7
	s_delay_alu instid0(VALU_DEP_1) | instskip(NEXT) | instid1(VALU_DEP_1)
	v_cmp_ge_i32_e64 s7, v36, v37
	s_or_b32 s9, s7, s9
	s_delay_alu instid0(SALU_CYCLE_1)
	s_and_not1_b32 exec_lo, exec_lo, s9
	s_cbranch_execnz .LBB179_76
; %bb.77:
	s_or_b32 exec_lo, exec_lo, s9
.LBB179_78:
	s_delay_alu instid0(SALU_CYCLE_1) | instskip(SKIP_3) | instid1(VALU_DEP_3)
	s_or_b32 exec_lo, exec_lo, s8
	v_add_nc_u32_e32 v7, v57, v35
	v_lshl_add_u32 v24, v36, 3, v6
	v_add_nc_u32_e32 v56, v36, v34
	v_sub_nc_u32_e32 v55, v7, v36
                                        ; implicit-def: $vgpr6_vgpr7
	s_delay_alu instid0(VALU_DEP_2) | instskip(NEXT) | instid1(VALU_DEP_2)
	v_cmp_le_i32_e64 s8, v57, v56
	v_lshl_add_u32 v26, v55, 3, v53
	v_cmp_gt_i32_e64 s9, v58, v55
	ds_load_b64 v[20:21], v24
	ds_load_b64 v[22:23], v26
	s_waitcnt lgkmcnt(0)
	v_cmp_lt_i64_e64 s7, v[22:23], v[20:21]
	s_delay_alu instid0(VALU_DEP_1) | instskip(NEXT) | instid1(SALU_CYCLE_1)
	s_or_b32 s7, s8, s7
	s_and_b32 s7, s9, s7
	s_delay_alu instid0(SALU_CYCLE_1) | instskip(NEXT) | instid1(SALU_CYCLE_1)
	s_xor_b32 s8, s7, -1
	s_and_saveexec_b32 s9, s8
	s_delay_alu instid0(SALU_CYCLE_1)
	s_xor_b32 s8, exec_lo, s9
	s_cbranch_execz .LBB179_80
; %bb.79:
	ds_load_b64 v[6:7], v24 offset:8
                                        ; implicit-def: $vgpr26
.LBB179_80:
	s_or_saveexec_b32 s8, s8
	v_dual_mov_b32 v25, v23 :: v_dual_mov_b32 v24, v22
	s_xor_b32 exec_lo, exec_lo, s8
	s_cbranch_execz .LBB179_82
; %bb.81:
	ds_load_b64 v[24:25], v26 offset:8
	s_waitcnt lgkmcnt(1)
	v_dual_mov_b32 v6, v20 :: v_dual_mov_b32 v7, v21
.LBB179_82:
	s_or_b32 exec_lo, exec_lo, s8
	v_add_nc_u32_e32 v26, 1, v56
	v_add_nc_u32_e32 v27, 1, v55
	s_waitcnt lgkmcnt(0)
	v_cmp_lt_i64_e64 s8, v[24:25], v[6:7]
	s_delay_alu instid0(VALU_DEP_3) | instskip(NEXT) | instid1(VALU_DEP_3)
	v_cndmask_b32_e64 v59, v26, v56, s7
	v_cndmask_b32_e64 v60, v55, v27, s7
                                        ; implicit-def: $vgpr26_vgpr27
	s_delay_alu instid0(VALU_DEP_2) | instskip(NEXT) | instid1(VALU_DEP_2)
	v_cmp_ge_i32_e64 s9, v59, v57
	v_cmp_lt_i32_e64 s10, v60, v58
	s_delay_alu instid0(VALU_DEP_2)
	s_or_b32 s8, s9, s8
	s_delay_alu instid0(VALU_DEP_1) | instid1(SALU_CYCLE_1)
	s_and_b32 s8, s10, s8
	s_delay_alu instid0(SALU_CYCLE_1) | instskip(NEXT) | instid1(SALU_CYCLE_1)
	s_xor_b32 s9, s8, -1
	s_and_saveexec_b32 s10, s9
	s_delay_alu instid0(SALU_CYCLE_1)
	s_xor_b32 s9, exec_lo, s10
	s_cbranch_execz .LBB179_84
; %bb.83:
	v_lshl_add_u32 v26, v59, 3, v53
	ds_load_b64 v[26:27], v26 offset:8
.LBB179_84:
	s_or_saveexec_b32 s9, s9
	v_dual_mov_b32 v29, v25 :: v_dual_mov_b32 v28, v24
	s_xor_b32 exec_lo, exec_lo, s9
	s_cbranch_execz .LBB179_86
; %bb.85:
	s_waitcnt lgkmcnt(0)
	v_lshl_add_u32 v26, v60, 3, v53
	ds_load_b64 v[28:29], v26 offset:8
	v_dual_mov_b32 v27, v7 :: v_dual_mov_b32 v26, v6
.LBB179_86:
	s_or_b32 exec_lo, exec_lo, s9
	v_add_nc_u32_e32 v30, 1, v59
	v_add_nc_u32_e32 v31, 1, v60
	s_waitcnt lgkmcnt(0)
	v_cmp_lt_i64_e64 s9, v[28:29], v[26:27]
	s_delay_alu instid0(VALU_DEP_3) | instskip(NEXT) | instid1(VALU_DEP_3)
	v_cndmask_b32_e64 v61, v30, v59, s8
	v_cndmask_b32_e64 v62, v60, v31, s8
                                        ; implicit-def: $vgpr30_vgpr31
	s_delay_alu instid0(VALU_DEP_2) | instskip(NEXT) | instid1(VALU_DEP_2)
	v_cmp_ge_i32_e64 s10, v61, v57
	v_cmp_lt_i32_e64 s11, v62, v58
	s_delay_alu instid0(VALU_DEP_2)
	s_or_b32 s9, s10, s9
	s_delay_alu instid0(VALU_DEP_1) | instid1(SALU_CYCLE_1)
	s_and_b32 s9, s11, s9
	s_delay_alu instid0(SALU_CYCLE_1) | instskip(NEXT) | instid1(SALU_CYCLE_1)
	s_xor_b32 s10, s9, -1
	s_and_saveexec_b32 s11, s10
	s_delay_alu instid0(SALU_CYCLE_1)
	s_xor_b32 s10, exec_lo, s11
	s_cbranch_execz .LBB179_88
; %bb.87:
	v_lshl_add_u32 v30, v61, 3, v53
	ds_load_b64 v[30:31], v30 offset:8
.LBB179_88:
	s_or_saveexec_b32 s10, s10
	v_dual_mov_b32 v33, v29 :: v_dual_mov_b32 v32, v28
	s_xor_b32 exec_lo, exec_lo, s10
	s_cbranch_execz .LBB179_90
; %bb.89:
	s_waitcnt lgkmcnt(0)
	v_lshl_add_u32 v30, v62, 3, v53
	ds_load_b64 v[32:33], v30 offset:8
	v_dual_mov_b32 v31, v27 :: v_dual_mov_b32 v30, v26
.LBB179_90:
	s_or_b32 exec_lo, exec_lo, s10
	v_add_nc_u32_e32 v34, 1, v61
	v_add_nc_u32_e32 v35, 1, v62
	s_waitcnt lgkmcnt(0)
	v_cmp_lt_i64_e64 s10, v[32:33], v[30:31]
                                        ; implicit-def: $vgpr38_vgpr39
	s_delay_alu instid0(VALU_DEP_3) | instskip(NEXT) | instid1(VALU_DEP_3)
	v_cndmask_b32_e64 v63, v34, v61, s9
	v_cndmask_b32_e64 v64, v62, v35, s9
	s_delay_alu instid0(VALU_DEP_2) | instskip(NEXT) | instid1(VALU_DEP_2)
	v_cmp_ge_i32_e64 s11, v63, v57
	v_cmp_lt_i32_e64 s12, v64, v58
	s_delay_alu instid0(VALU_DEP_2)
	s_or_b32 s10, s11, s10
	s_delay_alu instid0(VALU_DEP_1) | instid1(SALU_CYCLE_1)
	s_and_b32 s10, s12, s10
	s_delay_alu instid0(SALU_CYCLE_1) | instskip(NEXT) | instid1(SALU_CYCLE_1)
	s_xor_b32 s11, s10, -1
	s_and_saveexec_b32 s12, s11
	s_delay_alu instid0(SALU_CYCLE_1)
	s_xor_b32 s11, exec_lo, s12
	s_cbranch_execz .LBB179_92
; %bb.91:
	v_lshl_add_u32 v34, v63, 3, v53
	ds_load_b64 v[38:39], v34 offset:8
.LBB179_92:
	s_or_saveexec_b32 s11, s11
	v_dual_mov_b32 v41, v33 :: v_dual_mov_b32 v40, v32
	s_xor_b32 exec_lo, exec_lo, s11
	s_cbranch_execz .LBB179_94
; %bb.93:
	v_lshl_add_u32 v34, v64, 3, v53
	s_waitcnt lgkmcnt(0)
	v_dual_mov_b32 v39, v31 :: v_dual_mov_b32 v38, v30
	ds_load_b64 v[40:41], v34 offset:8
.LBB179_94:
	s_or_b32 exec_lo, exec_lo, s11
	v_add_nc_u32_e32 v34, 1, v63
	v_add_nc_u32_e32 v35, 1, v64
	s_waitcnt lgkmcnt(0)
	v_cmp_lt_i64_e64 s11, v[40:41], v[38:39]
                                        ; implicit-def: $vgpr42_vgpr43
	s_delay_alu instid0(VALU_DEP_3) | instskip(NEXT) | instid1(VALU_DEP_3)
	v_cndmask_b32_e64 v65, v34, v63, s10
	v_cndmask_b32_e64 v66, v64, v35, s10
	s_delay_alu instid0(VALU_DEP_2) | instskip(NEXT) | instid1(VALU_DEP_2)
	v_cmp_ge_i32_e64 s12, v65, v57
	v_cmp_lt_i32_e64 s13, v66, v58
	s_delay_alu instid0(VALU_DEP_2)
	s_or_b32 s11, s12, s11
	s_delay_alu instid0(VALU_DEP_1) | instid1(SALU_CYCLE_1)
	s_and_b32 s11, s13, s11
	s_delay_alu instid0(SALU_CYCLE_1) | instskip(NEXT) | instid1(SALU_CYCLE_1)
	s_xor_b32 s12, s11, -1
	s_and_saveexec_b32 s13, s12
	s_delay_alu instid0(SALU_CYCLE_1)
	s_xor_b32 s12, exec_lo, s13
	s_cbranch_execz .LBB179_96
; %bb.95:
	v_lshl_add_u32 v34, v65, 3, v53
	ds_load_b64 v[42:43], v34 offset:8
.LBB179_96:
	s_or_saveexec_b32 s12, s12
	v_dual_mov_b32 v45, v41 :: v_dual_mov_b32 v44, v40
	s_xor_b32 exec_lo, exec_lo, s12
	s_cbranch_execz .LBB179_98
; %bb.97:
	v_lshl_add_u32 v34, v66, 3, v53
	s_waitcnt lgkmcnt(0)
	v_dual_mov_b32 v43, v39 :: v_dual_mov_b32 v42, v38
	ds_load_b64 v[44:45], v34 offset:8
.LBB179_98:
	s_or_b32 exec_lo, exec_lo, s12
	v_add_nc_u32_e32 v34, 1, v65
	v_add_nc_u32_e32 v35, 1, v66
	s_waitcnt lgkmcnt(0)
	v_cmp_lt_i64_e64 s12, v[44:45], v[42:43]
                                        ; implicit-def: $vgpr46_vgpr47
	s_delay_alu instid0(VALU_DEP_3) | instskip(NEXT) | instid1(VALU_DEP_3)
	v_cndmask_b32_e64 v67, v34, v65, s11
	v_cndmask_b32_e64 v68, v66, v35, s11
	s_delay_alu instid0(VALU_DEP_2) | instskip(NEXT) | instid1(VALU_DEP_2)
	v_cmp_ge_i32_e64 s13, v67, v57
	v_cmp_lt_i32_e64 s14, v68, v58
	s_delay_alu instid0(VALU_DEP_2)
	s_or_b32 s12, s13, s12
	s_delay_alu instid0(VALU_DEP_1) | instid1(SALU_CYCLE_1)
	s_and_b32 s12, s14, s12
	s_delay_alu instid0(SALU_CYCLE_1) | instskip(NEXT) | instid1(SALU_CYCLE_1)
	s_xor_b32 s13, s12, -1
	s_and_saveexec_b32 s14, s13
	s_delay_alu instid0(SALU_CYCLE_1)
	s_xor_b32 s13, exec_lo, s14
	s_cbranch_execz .LBB179_100
; %bb.99:
	v_lshl_add_u32 v34, v67, 3, v53
	ds_load_b64 v[46:47], v34 offset:8
.LBB179_100:
	s_or_saveexec_b32 s13, s13
	v_dual_mov_b32 v49, v45 :: v_dual_mov_b32 v48, v44
	s_xor_b32 exec_lo, exec_lo, s13
	s_cbranch_execz .LBB179_102
; %bb.101:
	v_lshl_add_u32 v34, v68, 3, v53
	s_waitcnt lgkmcnt(0)
	v_dual_mov_b32 v47, v43 :: v_dual_mov_b32 v46, v42
	ds_load_b64 v[48:49], v34 offset:8
.LBB179_102:
	s_or_b32 exec_lo, exec_lo, s13
	v_add_nc_u32_e32 v34, 1, v67
	v_add_nc_u32_e32 v35, 1, v68
	s_waitcnt lgkmcnt(0)
	v_cmp_lt_i64_e64 s13, v[48:49], v[46:47]
	s_delay_alu instid0(VALU_DEP_3) | instskip(NEXT) | instid1(VALU_DEP_3)
	v_cndmask_b32_e64 v69, v34, v67, s12
	v_cndmask_b32_e64 v70, v68, v35, s12
                                        ; implicit-def: $vgpr34_vgpr35
	s_delay_alu instid0(VALU_DEP_2) | instskip(NEXT) | instid1(VALU_DEP_2)
	v_cmp_ge_i32_e64 s14, v69, v57
	v_cmp_lt_i32_e64 s15, v70, v58
	s_delay_alu instid0(VALU_DEP_2)
	s_or_b32 s13, s14, s13
	s_delay_alu instid0(VALU_DEP_1) | instid1(SALU_CYCLE_1)
	s_and_b32 s13, s15, s13
	s_delay_alu instid0(SALU_CYCLE_1) | instskip(NEXT) | instid1(SALU_CYCLE_1)
	s_xor_b32 s14, s13, -1
	s_and_saveexec_b32 s15, s14
	s_delay_alu instid0(SALU_CYCLE_1)
	s_xor_b32 s14, exec_lo, s15
	s_cbranch_execz .LBB179_104
; %bb.103:
	v_lshl_add_u32 v34, v69, 3, v53
	ds_load_b64 v[34:35], v34 offset:8
.LBB179_104:
	s_or_saveexec_b32 s14, s14
	v_dual_mov_b32 v36, v48 :: v_dual_mov_b32 v37, v49
	s_xor_b32 exec_lo, exec_lo, s14
	s_cbranch_execz .LBB179_106
; %bb.105:
	s_waitcnt lgkmcnt(0)
	v_lshl_add_u32 v34, v70, 3, v53
	ds_load_b64 v[36:37], v34 offset:8
	v_dual_mov_b32 v34, v46 :: v_dual_mov_b32 v35, v47
.LBB179_106:
	s_or_b32 exec_lo, exec_lo, s14
	v_add_nc_u32_e32 v72, 1, v69
	v_cndmask_b32_e64 v27, v27, v29, s9
	v_cndmask_b32_e64 v29, v7, v25, s8
	v_and_b32_e32 v7, 0xe0, v51
	v_add_nc_u32_e32 v71, 1, v70
	v_cndmask_b32_e64 v47, v47, v49, s13
	v_cndmask_b32_e64 v49, v72, v69, s13
	;; [unrolled: 1-line block ×4, first 2 shown]
	v_min_i32_e32 v24, v50, v7
	v_cndmask_b32_e64 v46, v46, v48, s13
	v_cndmask_b32_e64 v48, v70, v71, s13
	;; [unrolled: 1-line block ×4, first 2 shown]
	s_waitcnt lgkmcnt(0)
	v_cmp_lt_i64_e64 s9, v[36:37], v[34:35]
	v_cndmask_b32_e64 v31, v31, v33, s10
	v_cndmask_b32_e64 v30, v30, v32, s10
	v_cndmask_b32_e64 v32, v63, v64, s10
	v_cmp_ge_i32_e64 s10, v49, v57
	; wave barrier
	ds_store_2addr_b64 v54, v[2:3], v[8:9] offset1:1
	ds_store_2addr_b64 v54, v[10:11], v[12:13] offset0:2 offset1:3
	v_add_nc_u32_e32 v2, 16, v24
	v_cndmask_b32_e64 v38, v38, v40, s11
	v_cndmask_b32_e64 v40, v65, v66, s11
	v_cmp_lt_i32_e64 s11, v48, v58
	v_cndmask_b32_e64 v6, v59, v60, s8
	s_or_b32 s8, s10, s9
	v_cndmask_b32_e64 v25, v56, v55, s7
	v_min_i32_e32 v55, v50, v2
	v_cndmask_b32_e64 v42, v42, v44, s12
	v_cndmask_b32_e64 v44, v67, v68, s12
	s_and_b32 s8, s11, s8
	v_cndmask_b32_e64 v69, v69, v70, s13
	v_cndmask_b32_e64 v33, v35, v37, s8
	;; [unrolled: 1-line block ×3, first 2 shown]
	v_lshl_add_u32 v2, v25, 3, v53
	v_add_nc_u32_e32 v10, 16, v55
	v_lshl_add_u32 v11, v40, 3, v53
	v_and_b32_e32 v12, 24, v51
	ds_store_2addr_b64 v54, v[14:15], v[18:19] offset0:4 offset1:5
	ds_store_2addr_b64 v54, v[4:5], v[16:17] offset0:6 offset1:7
	v_lshl_add_u32 v4, v6, 3, v53
	v_lshl_add_u32 v13, v44, 3, v53
	;; [unrolled: 1-line block ×6, first 2 shown]
	; wave barrier
	ds_load_b64 v[2:3], v2
	ds_load_b64 v[6:7], v4
	;; [unrolled: 1-line block ×4, first 2 shown]
	v_min_i32_e32 v57, v50, v10
	v_min_i32_e32 v18, v50, v12
	ds_load_b64 v[10:11], v11
	ds_load_b64 v[14:15], v13
	;; [unrolled: 1-line block ×4, first 2 shown]
	v_cndmask_b32_e64 v41, v21, v23, s7
	v_cndmask_b32_e64 v40, v20, v22, s7
	v_sub_nc_u32_e32 v19, v57, v55
	v_sub_nc_u32_e32 v21, v55, v24
	v_cndmask_b32_e64 v43, v43, v45, s12
	v_cndmask_b32_e64 v32, v34, v36, s8
	s_mov_b32 s9, 0
	v_sub_nc_u32_e32 v20, v18, v19
	v_cmp_ge_i32_e64 s7, v18, v19
	v_lshl_add_u32 v19, v24, 3, v53
	s_mov_b32 s8, exec_lo
	; wave barrier
	s_delay_alu instid0(VALU_DEP_2)
	v_cndmask_b32_e64 v22, 0, v20, s7
	v_min_i32_e32 v20, v18, v21
	ds_store_2addr_b64 v54, v[40:41], v[28:29] offset1:1
	ds_store_2addr_b64 v54, v[26:27], v[30:31] offset0:2 offset1:3
	ds_store_2addr_b64 v54, v[38:39], v[42:43] offset0:4 offset1:5
	;; [unrolled: 1-line block ×3, first 2 shown]
	; wave barrier
	v_cmpx_lt_i32_e64 v22, v20
	s_cbranch_execz .LBB179_110
; %bb.107:
	v_lshlrev_b32_e32 v21, 3, v55
	v_lshlrev_b32_e32 v23, 3, v18
	s_delay_alu instid0(VALU_DEP_1)
	v_add3_u32 v21, v53, v21, v23
	.p2align	6
.LBB179_108:                            ; =>This Inner Loop Header: Depth=1
	v_sub_nc_u32_e32 v23, v20, v22
	s_delay_alu instid0(VALU_DEP_1) | instskip(NEXT) | instid1(VALU_DEP_1)
	v_lshrrev_b32_e32 v25, 31, v23
	v_add_nc_u32_e32 v23, v23, v25
	s_delay_alu instid0(VALU_DEP_1) | instskip(NEXT) | instid1(VALU_DEP_1)
	v_ashrrev_i32_e32 v23, 1, v23
	v_add_nc_u32_e32 v23, v23, v22
	s_delay_alu instid0(VALU_DEP_1) | instskip(SKIP_1) | instid1(VALU_DEP_2)
	v_not_b32_e32 v25, v23
	v_lshl_add_u32 v26, v23, 3, v19
	v_lshl_add_u32 v27, v25, 3, v21
	ds_load_b64 v[25:26], v26
	ds_load_b64 v[27:28], v27
	s_waitcnt lgkmcnt(0)
	v_cmp_lt_i64_e64 s7, v[27:28], v[25:26]
	v_add_nc_u32_e32 v25, 1, v23
	s_delay_alu instid0(VALU_DEP_2) | instskip(NEXT) | instid1(VALU_DEP_2)
	v_cndmask_b32_e64 v20, v20, v23, s7
	v_cndmask_b32_e64 v22, v25, v22, s7
	s_delay_alu instid0(VALU_DEP_1) | instskip(NEXT) | instid1(VALU_DEP_1)
	v_cmp_ge_i32_e64 s7, v22, v20
	s_or_b32 s9, s7, s9
	s_delay_alu instid0(SALU_CYCLE_1)
	s_and_not1_b32 exec_lo, exec_lo, s9
	s_cbranch_execnz .LBB179_108
; %bb.109:
	s_or_b32 exec_lo, exec_lo, s9
.LBB179_110:
	s_delay_alu instid0(SALU_CYCLE_1) | instskip(SKIP_3) | instid1(VALU_DEP_3)
	s_or_b32 exec_lo, exec_lo, s8
	v_add_nc_u32_e32 v18, v55, v18
	v_lshl_add_u32 v25, v22, 3, v19
	v_add_nc_u32_e32 v58, v22, v24
	v_sub_nc_u32_e32 v56, v18, v22
                                        ; implicit-def: $vgpr22_vgpr23
	s_delay_alu instid0(VALU_DEP_2) | instskip(NEXT) | instid1(VALU_DEP_2)
	v_cmp_le_i32_e64 s8, v55, v58
	v_lshl_add_u32 v26, v56, 3, v53
	v_cmp_gt_i32_e64 s9, v57, v56
	ds_load_b64 v[18:19], v25
	ds_load_b64 v[20:21], v26
	s_waitcnt lgkmcnt(0)
	v_cmp_lt_i64_e64 s7, v[20:21], v[18:19]
	s_delay_alu instid0(VALU_DEP_1) | instskip(NEXT) | instid1(SALU_CYCLE_1)
	s_or_b32 s7, s8, s7
	s_and_b32 s7, s9, s7
	s_delay_alu instid0(SALU_CYCLE_1) | instskip(NEXT) | instid1(SALU_CYCLE_1)
	s_xor_b32 s8, s7, -1
	s_and_saveexec_b32 s9, s8
	s_delay_alu instid0(SALU_CYCLE_1)
	s_xor_b32 s8, exec_lo, s9
	s_cbranch_execz .LBB179_112
; %bb.111:
	ds_load_b64 v[22:23], v25 offset:8
                                        ; implicit-def: $vgpr26
.LBB179_112:
	s_or_saveexec_b32 s8, s8
	v_dual_mov_b32 v25, v21 :: v_dual_mov_b32 v24, v20
	s_xor_b32 exec_lo, exec_lo, s8
	s_cbranch_execz .LBB179_114
; %bb.113:
	ds_load_b64 v[24:25], v26 offset:8
	s_waitcnt lgkmcnt(1)
	v_dual_mov_b32 v23, v19 :: v_dual_mov_b32 v22, v18
.LBB179_114:
	s_or_b32 exec_lo, exec_lo, s8
	v_add_nc_u32_e32 v26, 1, v58
	v_add_nc_u32_e32 v27, 1, v56
	s_waitcnt lgkmcnt(0)
	v_cmp_lt_i64_e64 s8, v[24:25], v[22:23]
	s_delay_alu instid0(VALU_DEP_3) | instskip(NEXT) | instid1(VALU_DEP_3)
	v_cndmask_b32_e64 v59, v26, v58, s7
	v_cndmask_b32_e64 v60, v56, v27, s7
                                        ; implicit-def: $vgpr26_vgpr27
	s_delay_alu instid0(VALU_DEP_2) | instskip(NEXT) | instid1(VALU_DEP_2)
	v_cmp_ge_i32_e64 s9, v59, v55
	v_cmp_lt_i32_e64 s10, v60, v57
	s_delay_alu instid0(VALU_DEP_2)
	s_or_b32 s8, s9, s8
	s_delay_alu instid0(VALU_DEP_1) | instid1(SALU_CYCLE_1)
	s_and_b32 s8, s10, s8
	s_delay_alu instid0(SALU_CYCLE_1) | instskip(NEXT) | instid1(SALU_CYCLE_1)
	s_xor_b32 s9, s8, -1
	s_and_saveexec_b32 s10, s9
	s_delay_alu instid0(SALU_CYCLE_1)
	s_xor_b32 s9, exec_lo, s10
	s_cbranch_execz .LBB179_116
; %bb.115:
	v_lshl_add_u32 v26, v59, 3, v53
	ds_load_b64 v[26:27], v26 offset:8
.LBB179_116:
	s_or_saveexec_b32 s9, s9
	v_dual_mov_b32 v29, v25 :: v_dual_mov_b32 v28, v24
	s_xor_b32 exec_lo, exec_lo, s9
	s_cbranch_execz .LBB179_118
; %bb.117:
	s_waitcnt lgkmcnt(0)
	v_lshl_add_u32 v26, v60, 3, v53
	ds_load_b64 v[28:29], v26 offset:8
	v_dual_mov_b32 v27, v23 :: v_dual_mov_b32 v26, v22
.LBB179_118:
	s_or_b32 exec_lo, exec_lo, s9
	v_add_nc_u32_e32 v30, 1, v59
	v_add_nc_u32_e32 v31, 1, v60
	s_waitcnt lgkmcnt(0)
	v_cmp_lt_i64_e64 s9, v[28:29], v[26:27]
	s_delay_alu instid0(VALU_DEP_3) | instskip(NEXT) | instid1(VALU_DEP_3)
	v_cndmask_b32_e64 v61, v30, v59, s8
	v_cndmask_b32_e64 v62, v60, v31, s8
                                        ; implicit-def: $vgpr30_vgpr31
	s_delay_alu instid0(VALU_DEP_2) | instskip(NEXT) | instid1(VALU_DEP_2)
	v_cmp_ge_i32_e64 s10, v61, v55
	v_cmp_lt_i32_e64 s11, v62, v57
	s_delay_alu instid0(VALU_DEP_2)
	s_or_b32 s9, s10, s9
	s_delay_alu instid0(VALU_DEP_1) | instid1(SALU_CYCLE_1)
	s_and_b32 s9, s11, s9
	s_delay_alu instid0(SALU_CYCLE_1) | instskip(NEXT) | instid1(SALU_CYCLE_1)
	s_xor_b32 s10, s9, -1
	s_and_saveexec_b32 s11, s10
	s_delay_alu instid0(SALU_CYCLE_1)
	s_xor_b32 s10, exec_lo, s11
	s_cbranch_execz .LBB179_120
; %bb.119:
	v_lshl_add_u32 v30, v61, 3, v53
	ds_load_b64 v[30:31], v30 offset:8
.LBB179_120:
	s_or_saveexec_b32 s10, s10
	v_dual_mov_b32 v33, v29 :: v_dual_mov_b32 v32, v28
	s_xor_b32 exec_lo, exec_lo, s10
	s_cbranch_execz .LBB179_122
; %bb.121:
	s_waitcnt lgkmcnt(0)
	v_lshl_add_u32 v30, v62, 3, v53
	ds_load_b64 v[32:33], v30 offset:8
	v_dual_mov_b32 v31, v27 :: v_dual_mov_b32 v30, v26
.LBB179_122:
	s_or_b32 exec_lo, exec_lo, s10
	v_add_nc_u32_e32 v34, 1, v61
	v_add_nc_u32_e32 v35, 1, v62
	s_waitcnt lgkmcnt(0)
	v_cmp_lt_i64_e64 s10, v[32:33], v[30:31]
                                        ; implicit-def: $vgpr38_vgpr39
	s_delay_alu instid0(VALU_DEP_3) | instskip(NEXT) | instid1(VALU_DEP_3)
	v_cndmask_b32_e64 v63, v34, v61, s9
	v_cndmask_b32_e64 v64, v62, v35, s9
	s_delay_alu instid0(VALU_DEP_2) | instskip(NEXT) | instid1(VALU_DEP_2)
	v_cmp_ge_i32_e64 s11, v63, v55
	v_cmp_lt_i32_e64 s12, v64, v57
	s_delay_alu instid0(VALU_DEP_2)
	s_or_b32 s10, s11, s10
	s_delay_alu instid0(VALU_DEP_1) | instid1(SALU_CYCLE_1)
	s_and_b32 s10, s12, s10
	s_delay_alu instid0(SALU_CYCLE_1) | instskip(NEXT) | instid1(SALU_CYCLE_1)
	s_xor_b32 s11, s10, -1
	s_and_saveexec_b32 s12, s11
	s_delay_alu instid0(SALU_CYCLE_1)
	s_xor_b32 s11, exec_lo, s12
	s_cbranch_execz .LBB179_124
; %bb.123:
	v_lshl_add_u32 v34, v63, 3, v53
	ds_load_b64 v[38:39], v34 offset:8
.LBB179_124:
	s_or_saveexec_b32 s11, s11
	v_dual_mov_b32 v41, v33 :: v_dual_mov_b32 v40, v32
	s_xor_b32 exec_lo, exec_lo, s11
	s_cbranch_execz .LBB179_126
; %bb.125:
	v_lshl_add_u32 v34, v64, 3, v53
	s_waitcnt lgkmcnt(0)
	v_dual_mov_b32 v39, v31 :: v_dual_mov_b32 v38, v30
	ds_load_b64 v[40:41], v34 offset:8
.LBB179_126:
	s_or_b32 exec_lo, exec_lo, s11
	v_add_nc_u32_e32 v34, 1, v63
	v_add_nc_u32_e32 v35, 1, v64
	s_waitcnt lgkmcnt(0)
	v_cmp_lt_i64_e64 s11, v[40:41], v[38:39]
                                        ; implicit-def: $vgpr42_vgpr43
	s_delay_alu instid0(VALU_DEP_3) | instskip(NEXT) | instid1(VALU_DEP_3)
	v_cndmask_b32_e64 v65, v34, v63, s10
	v_cndmask_b32_e64 v66, v64, v35, s10
	s_delay_alu instid0(VALU_DEP_2) | instskip(NEXT) | instid1(VALU_DEP_2)
	v_cmp_ge_i32_e64 s12, v65, v55
	v_cmp_lt_i32_e64 s13, v66, v57
	s_delay_alu instid0(VALU_DEP_2)
	s_or_b32 s11, s12, s11
	s_delay_alu instid0(VALU_DEP_1) | instid1(SALU_CYCLE_1)
	s_and_b32 s11, s13, s11
	s_delay_alu instid0(SALU_CYCLE_1) | instskip(NEXT) | instid1(SALU_CYCLE_1)
	s_xor_b32 s12, s11, -1
	s_and_saveexec_b32 s13, s12
	s_delay_alu instid0(SALU_CYCLE_1)
	s_xor_b32 s12, exec_lo, s13
	s_cbranch_execz .LBB179_128
; %bb.127:
	v_lshl_add_u32 v34, v65, 3, v53
	ds_load_b64 v[42:43], v34 offset:8
.LBB179_128:
	s_or_saveexec_b32 s12, s12
	v_dual_mov_b32 v45, v41 :: v_dual_mov_b32 v44, v40
	s_xor_b32 exec_lo, exec_lo, s12
	s_cbranch_execz .LBB179_130
; %bb.129:
	v_lshl_add_u32 v34, v66, 3, v53
	s_waitcnt lgkmcnt(0)
	v_dual_mov_b32 v43, v39 :: v_dual_mov_b32 v42, v38
	ds_load_b64 v[44:45], v34 offset:8
.LBB179_130:
	s_or_b32 exec_lo, exec_lo, s12
	v_add_nc_u32_e32 v34, 1, v65
	v_add_nc_u32_e32 v35, 1, v66
	s_waitcnt lgkmcnt(0)
	v_cmp_lt_i64_e64 s12, v[44:45], v[42:43]
                                        ; implicit-def: $vgpr46_vgpr47
	s_delay_alu instid0(VALU_DEP_3) | instskip(NEXT) | instid1(VALU_DEP_3)
	v_cndmask_b32_e64 v67, v34, v65, s11
	v_cndmask_b32_e64 v68, v66, v35, s11
	s_delay_alu instid0(VALU_DEP_2) | instskip(NEXT) | instid1(VALU_DEP_2)
	v_cmp_ge_i32_e64 s13, v67, v55
	v_cmp_lt_i32_e64 s14, v68, v57
	s_delay_alu instid0(VALU_DEP_2)
	s_or_b32 s12, s13, s12
	s_delay_alu instid0(VALU_DEP_1) | instid1(SALU_CYCLE_1)
	s_and_b32 s12, s14, s12
	s_delay_alu instid0(SALU_CYCLE_1) | instskip(NEXT) | instid1(SALU_CYCLE_1)
	s_xor_b32 s13, s12, -1
	s_and_saveexec_b32 s14, s13
	s_delay_alu instid0(SALU_CYCLE_1)
	s_xor_b32 s13, exec_lo, s14
	s_cbranch_execz .LBB179_132
; %bb.131:
	v_lshl_add_u32 v34, v67, 3, v53
	ds_load_b64 v[46:47], v34 offset:8
.LBB179_132:
	s_or_saveexec_b32 s13, s13
	v_dual_mov_b32 v49, v45 :: v_dual_mov_b32 v48, v44
	s_xor_b32 exec_lo, exec_lo, s13
	s_cbranch_execz .LBB179_134
; %bb.133:
	v_lshl_add_u32 v34, v68, 3, v53
	s_waitcnt lgkmcnt(0)
	v_dual_mov_b32 v47, v43 :: v_dual_mov_b32 v46, v42
	ds_load_b64 v[48:49], v34 offset:8
.LBB179_134:
	s_or_b32 exec_lo, exec_lo, s13
	v_add_nc_u32_e32 v34, 1, v67
	v_add_nc_u32_e32 v35, 1, v68
	s_waitcnt lgkmcnt(0)
	v_cmp_lt_i64_e64 s13, v[48:49], v[46:47]
	s_delay_alu instid0(VALU_DEP_3) | instskip(NEXT) | instid1(VALU_DEP_3)
	v_cndmask_b32_e64 v69, v34, v67, s12
	v_cndmask_b32_e64 v70, v68, v35, s12
                                        ; implicit-def: $vgpr34_vgpr35
	s_delay_alu instid0(VALU_DEP_2) | instskip(NEXT) | instid1(VALU_DEP_2)
	v_cmp_ge_i32_e64 s14, v69, v55
	v_cmp_lt_i32_e64 s15, v70, v57
	s_delay_alu instid0(VALU_DEP_2)
	s_or_b32 s13, s14, s13
	s_delay_alu instid0(VALU_DEP_1) | instid1(SALU_CYCLE_1)
	s_and_b32 s13, s15, s13
	s_delay_alu instid0(SALU_CYCLE_1) | instskip(NEXT) | instid1(SALU_CYCLE_1)
	s_xor_b32 s14, s13, -1
	s_and_saveexec_b32 s15, s14
	s_delay_alu instid0(SALU_CYCLE_1)
	s_xor_b32 s14, exec_lo, s15
	s_cbranch_execz .LBB179_136
; %bb.135:
	v_lshl_add_u32 v34, v69, 3, v53
	ds_load_b64 v[34:35], v34 offset:8
.LBB179_136:
	s_or_saveexec_b32 s14, s14
	v_dual_mov_b32 v36, v48 :: v_dual_mov_b32 v37, v49
	s_xor_b32 exec_lo, exec_lo, s14
	s_cbranch_execz .LBB179_138
; %bb.137:
	s_waitcnt lgkmcnt(0)
	v_lshl_add_u32 v34, v70, 3, v53
	ds_load_b64 v[36:37], v34 offset:8
	v_dual_mov_b32 v34, v46 :: v_dual_mov_b32 v35, v47
.LBB179_138:
	s_or_b32 exec_lo, exec_lo, s14
	v_add_nc_u32_e32 v72, 1, v69
	v_cndmask_b32_e64 v26, v26, v28, s9
	v_cndmask_b32_e64 v28, v22, v24, s8
	v_and_b32_e32 v22, 0xc0, v51
	v_add_nc_u32_e32 v71, 1, v70
	v_cndmask_b32_e64 v47, v47, v49, s13
	v_cndmask_b32_e64 v49, v72, v69, s13
	;; [unrolled: 1-line block ×3, first 2 shown]
	v_min_i32_e32 v22, v50, v22
	v_cndmask_b32_e64 v48, v70, v71, s13
	v_cndmask_b32_e64 v39, v39, v41, s11
	;; [unrolled: 1-line block ×4, first 2 shown]
	s_waitcnt lgkmcnt(0)
	v_cmp_lt_i64_e64 s9, v[36:37], v[34:35]
	v_cndmask_b32_e64 v31, v31, v33, s10
	v_cndmask_b32_e64 v30, v30, v32, s10
	;; [unrolled: 1-line block ×3, first 2 shown]
	v_cmp_ge_i32_e64 s10, v49, v55
	; wave barrier
	ds_store_2addr_b64 v54, v[2:3], v[6:7] offset1:1
	ds_store_2addr_b64 v54, v[4:5], v[8:9] offset0:2 offset1:3
	v_add_nc_u32_e32 v2, 32, v22
	v_cndmask_b32_e64 v38, v38, v40, s11
	v_cndmask_b32_e64 v40, v65, v66, s11
	v_cmp_lt_i32_e64 s11, v48, v57
	v_cndmask_b32_e64 v29, v23, v25, s8
	v_cndmask_b32_e64 v23, v59, v60, s8
	s_or_b32 s8, s10, s9
	v_cndmask_b32_e64 v24, v58, v56, s7
	v_min_i32_e32 v55, v50, v2
	v_cndmask_b32_e64 v42, v42, v44, s12
	v_cndmask_b32_e64 v44, v67, v68, s12
	s_and_b32 s8, s11, s8
	v_cndmask_b32_e64 v69, v69, v70, s13
	v_cndmask_b32_e64 v25, v49, v48, s8
	ds_store_2addr_b64 v54, v[10:11], v[14:15] offset0:4 offset1:5
	ds_store_2addr_b64 v54, v[12:13], v[16:17] offset0:6 offset1:7
	v_lshl_add_u32 v2, v24, 3, v53
	v_add_nc_u32_e32 v10, 32, v55
	v_lshl_add_u32 v11, v40, 3, v53
	v_and_b32_e32 v12, 56, v51
	v_lshl_add_u32 v4, v23, 3, v53
	v_lshl_add_u32 v13, v44, 3, v53
	;; [unrolled: 1-line block ×6, first 2 shown]
	; wave barrier
	ds_load_b64 v[2:3], v2
	ds_load_b64 v[6:7], v4
	;; [unrolled: 1-line block ×4, first 2 shown]
	v_min_i32_e32 v57, v50, v10
	v_min_i32_e32 v23, v50, v12
	ds_load_b64 v[10:11], v11
	ds_load_b64 v[14:15], v13
	;; [unrolled: 1-line block ×4, first 2 shown]
	v_cndmask_b32_e64 v21, v19, v21, s7
	v_cndmask_b32_e64 v20, v18, v20, s7
	v_sub_nc_u32_e32 v24, v57, v55
	v_sub_nc_u32_e32 v19, v55, v22
	v_cndmask_b32_e64 v43, v43, v45, s12
	v_cndmask_b32_e64 v33, v35, v37, s8
	;; [unrolled: 1-line block ×3, first 2 shown]
	v_sub_nc_u32_e32 v18, v23, v24
	v_cmp_ge_i32_e64 s7, v23, v24
	v_min_i32_e32 v19, v23, v19
	s_mov_b32 s9, 0
	s_mov_b32 s8, exec_lo
	s_delay_alu instid0(VALU_DEP_2)
	v_cndmask_b32_e64 v24, 0, v18, s7
	v_lshl_add_u32 v18, v22, 3, v53
	; wave barrier
	ds_store_2addr_b64 v54, v[20:21], v[28:29] offset1:1
	ds_store_2addr_b64 v54, v[26:27], v[30:31] offset0:2 offset1:3
	ds_store_2addr_b64 v54, v[38:39], v[42:43] offset0:4 offset1:5
	;; [unrolled: 1-line block ×3, first 2 shown]
	; wave barrier
	v_cmpx_lt_i32_e64 v24, v19
	s_cbranch_execz .LBB179_142
; %bb.139:
	v_lshlrev_b32_e32 v20, 3, v55
	v_lshlrev_b32_e32 v21, 3, v23
	s_delay_alu instid0(VALU_DEP_1)
	v_add3_u32 v20, v53, v20, v21
	.p2align	6
.LBB179_140:                            ; =>This Inner Loop Header: Depth=1
	v_sub_nc_u32_e32 v21, v19, v24
	s_delay_alu instid0(VALU_DEP_1) | instskip(NEXT) | instid1(VALU_DEP_1)
	v_lshrrev_b32_e32 v25, 31, v21
	v_add_nc_u32_e32 v21, v21, v25
	s_delay_alu instid0(VALU_DEP_1) | instskip(NEXT) | instid1(VALU_DEP_1)
	v_ashrrev_i32_e32 v21, 1, v21
	v_add_nc_u32_e32 v21, v21, v24
	s_delay_alu instid0(VALU_DEP_1) | instskip(SKIP_1) | instid1(VALU_DEP_2)
	v_not_b32_e32 v25, v21
	v_lshl_add_u32 v26, v21, 3, v18
	v_lshl_add_u32 v27, v25, 3, v20
	ds_load_b64 v[25:26], v26
	ds_load_b64 v[27:28], v27
	s_waitcnt lgkmcnt(0)
	v_cmp_lt_i64_e64 s7, v[27:28], v[25:26]
	v_add_nc_u32_e32 v25, 1, v21
	s_delay_alu instid0(VALU_DEP_2) | instskip(NEXT) | instid1(VALU_DEP_2)
	v_cndmask_b32_e64 v19, v19, v21, s7
	v_cndmask_b32_e64 v24, v25, v24, s7
	s_delay_alu instid0(VALU_DEP_1) | instskip(NEXT) | instid1(VALU_DEP_1)
	v_cmp_ge_i32_e64 s7, v24, v19
	s_or_b32 s9, s7, s9
	s_delay_alu instid0(SALU_CYCLE_1)
	s_and_not1_b32 exec_lo, exec_lo, s9
	s_cbranch_execnz .LBB179_140
; %bb.141:
	s_or_b32 exec_lo, exec_lo, s9
.LBB179_142:
	s_delay_alu instid0(SALU_CYCLE_1) | instskip(SKIP_3) | instid1(VALU_DEP_3)
	s_or_b32 exec_lo, exec_lo, s8
	v_add_nc_u32_e32 v19, v55, v23
	v_lshl_add_u32 v25, v24, 3, v18
	v_add_nc_u32_e32 v58, v24, v22
                                        ; implicit-def: $vgpr22_vgpr23
	v_sub_nc_u32_e32 v56, v19, v24
	s_delay_alu instid0(VALU_DEP_2) | instskip(NEXT) | instid1(VALU_DEP_2)
	v_cmp_le_i32_e64 s8, v55, v58
	v_lshl_add_u32 v26, v56, 3, v53
	v_cmp_gt_i32_e64 s9, v57, v56
	ds_load_b64 v[18:19], v25
	ds_load_b64 v[20:21], v26
	s_waitcnt lgkmcnt(0)
	v_cmp_lt_i64_e64 s7, v[20:21], v[18:19]
	s_delay_alu instid0(VALU_DEP_1) | instskip(NEXT) | instid1(SALU_CYCLE_1)
	s_or_b32 s7, s8, s7
	s_and_b32 s7, s9, s7
	s_delay_alu instid0(SALU_CYCLE_1) | instskip(NEXT) | instid1(SALU_CYCLE_1)
	s_xor_b32 s8, s7, -1
	s_and_saveexec_b32 s9, s8
	s_delay_alu instid0(SALU_CYCLE_1)
	s_xor_b32 s8, exec_lo, s9
	s_cbranch_execz .LBB179_144
; %bb.143:
	ds_load_b64 v[22:23], v25 offset:8
                                        ; implicit-def: $vgpr26
.LBB179_144:
	s_or_saveexec_b32 s8, s8
	v_dual_mov_b32 v25, v21 :: v_dual_mov_b32 v24, v20
	s_xor_b32 exec_lo, exec_lo, s8
	s_cbranch_execz .LBB179_146
; %bb.145:
	ds_load_b64 v[24:25], v26 offset:8
	s_waitcnt lgkmcnt(1)
	v_dual_mov_b32 v23, v19 :: v_dual_mov_b32 v22, v18
.LBB179_146:
	s_or_b32 exec_lo, exec_lo, s8
	v_add_nc_u32_e32 v26, 1, v58
	v_add_nc_u32_e32 v27, 1, v56
	s_waitcnt lgkmcnt(0)
	v_cmp_lt_i64_e64 s8, v[24:25], v[22:23]
	s_delay_alu instid0(VALU_DEP_3) | instskip(NEXT) | instid1(VALU_DEP_3)
	v_cndmask_b32_e64 v59, v26, v58, s7
	v_cndmask_b32_e64 v60, v56, v27, s7
                                        ; implicit-def: $vgpr26_vgpr27
	s_delay_alu instid0(VALU_DEP_2) | instskip(NEXT) | instid1(VALU_DEP_2)
	v_cmp_ge_i32_e64 s9, v59, v55
	v_cmp_lt_i32_e64 s10, v60, v57
	s_delay_alu instid0(VALU_DEP_2)
	s_or_b32 s8, s9, s8
	s_delay_alu instid0(VALU_DEP_1) | instid1(SALU_CYCLE_1)
	s_and_b32 s8, s10, s8
	s_delay_alu instid0(SALU_CYCLE_1) | instskip(NEXT) | instid1(SALU_CYCLE_1)
	s_xor_b32 s9, s8, -1
	s_and_saveexec_b32 s10, s9
	s_delay_alu instid0(SALU_CYCLE_1)
	s_xor_b32 s9, exec_lo, s10
	s_cbranch_execz .LBB179_148
; %bb.147:
	v_lshl_add_u32 v26, v59, 3, v53
	ds_load_b64 v[26:27], v26 offset:8
.LBB179_148:
	s_or_saveexec_b32 s9, s9
	v_dual_mov_b32 v29, v25 :: v_dual_mov_b32 v28, v24
	s_xor_b32 exec_lo, exec_lo, s9
	s_cbranch_execz .LBB179_150
; %bb.149:
	s_waitcnt lgkmcnt(0)
	v_lshl_add_u32 v26, v60, 3, v53
	ds_load_b64 v[28:29], v26 offset:8
	v_dual_mov_b32 v27, v23 :: v_dual_mov_b32 v26, v22
.LBB179_150:
	s_or_b32 exec_lo, exec_lo, s9
	v_add_nc_u32_e32 v30, 1, v59
	v_add_nc_u32_e32 v31, 1, v60
	s_waitcnt lgkmcnt(0)
	v_cmp_lt_i64_e64 s9, v[28:29], v[26:27]
	s_delay_alu instid0(VALU_DEP_3) | instskip(NEXT) | instid1(VALU_DEP_3)
	v_cndmask_b32_e64 v61, v30, v59, s8
	v_cndmask_b32_e64 v62, v60, v31, s8
                                        ; implicit-def: $vgpr30_vgpr31
	s_delay_alu instid0(VALU_DEP_2) | instskip(NEXT) | instid1(VALU_DEP_2)
	v_cmp_ge_i32_e64 s10, v61, v55
	v_cmp_lt_i32_e64 s11, v62, v57
	s_delay_alu instid0(VALU_DEP_2)
	s_or_b32 s9, s10, s9
	s_delay_alu instid0(VALU_DEP_1) | instid1(SALU_CYCLE_1)
	s_and_b32 s9, s11, s9
	s_delay_alu instid0(SALU_CYCLE_1) | instskip(NEXT) | instid1(SALU_CYCLE_1)
	s_xor_b32 s10, s9, -1
	s_and_saveexec_b32 s11, s10
	s_delay_alu instid0(SALU_CYCLE_1)
	s_xor_b32 s10, exec_lo, s11
	s_cbranch_execz .LBB179_152
; %bb.151:
	v_lshl_add_u32 v30, v61, 3, v53
	ds_load_b64 v[30:31], v30 offset:8
.LBB179_152:
	s_or_saveexec_b32 s10, s10
	v_dual_mov_b32 v33, v29 :: v_dual_mov_b32 v32, v28
	s_xor_b32 exec_lo, exec_lo, s10
	s_cbranch_execz .LBB179_154
; %bb.153:
	s_waitcnt lgkmcnt(0)
	v_lshl_add_u32 v30, v62, 3, v53
	ds_load_b64 v[32:33], v30 offset:8
	v_dual_mov_b32 v31, v27 :: v_dual_mov_b32 v30, v26
.LBB179_154:
	s_or_b32 exec_lo, exec_lo, s10
	v_add_nc_u32_e32 v34, 1, v61
	v_add_nc_u32_e32 v35, 1, v62
	s_waitcnt lgkmcnt(0)
	v_cmp_lt_i64_e64 s10, v[32:33], v[30:31]
                                        ; implicit-def: $vgpr38_vgpr39
	s_delay_alu instid0(VALU_DEP_3) | instskip(NEXT) | instid1(VALU_DEP_3)
	v_cndmask_b32_e64 v63, v34, v61, s9
	v_cndmask_b32_e64 v64, v62, v35, s9
	s_delay_alu instid0(VALU_DEP_2) | instskip(NEXT) | instid1(VALU_DEP_2)
	v_cmp_ge_i32_e64 s11, v63, v55
	v_cmp_lt_i32_e64 s12, v64, v57
	s_delay_alu instid0(VALU_DEP_2)
	s_or_b32 s10, s11, s10
	s_delay_alu instid0(VALU_DEP_1) | instid1(SALU_CYCLE_1)
	s_and_b32 s10, s12, s10
	s_delay_alu instid0(SALU_CYCLE_1) | instskip(NEXT) | instid1(SALU_CYCLE_1)
	s_xor_b32 s11, s10, -1
	s_and_saveexec_b32 s12, s11
	s_delay_alu instid0(SALU_CYCLE_1)
	s_xor_b32 s11, exec_lo, s12
	s_cbranch_execz .LBB179_156
; %bb.155:
	v_lshl_add_u32 v34, v63, 3, v53
	ds_load_b64 v[38:39], v34 offset:8
.LBB179_156:
	s_or_saveexec_b32 s11, s11
	v_dual_mov_b32 v41, v33 :: v_dual_mov_b32 v40, v32
	s_xor_b32 exec_lo, exec_lo, s11
	s_cbranch_execz .LBB179_158
; %bb.157:
	v_lshl_add_u32 v34, v64, 3, v53
	s_waitcnt lgkmcnt(0)
	v_dual_mov_b32 v39, v31 :: v_dual_mov_b32 v38, v30
	ds_load_b64 v[40:41], v34 offset:8
.LBB179_158:
	s_or_b32 exec_lo, exec_lo, s11
	v_add_nc_u32_e32 v34, 1, v63
	v_add_nc_u32_e32 v35, 1, v64
	s_waitcnt lgkmcnt(0)
	v_cmp_lt_i64_e64 s11, v[40:41], v[38:39]
                                        ; implicit-def: $vgpr42_vgpr43
	s_delay_alu instid0(VALU_DEP_3) | instskip(NEXT) | instid1(VALU_DEP_3)
	v_cndmask_b32_e64 v65, v34, v63, s10
	v_cndmask_b32_e64 v66, v64, v35, s10
	s_delay_alu instid0(VALU_DEP_2) | instskip(NEXT) | instid1(VALU_DEP_2)
	v_cmp_ge_i32_e64 s12, v65, v55
	v_cmp_lt_i32_e64 s13, v66, v57
	s_delay_alu instid0(VALU_DEP_2)
	s_or_b32 s11, s12, s11
	s_delay_alu instid0(VALU_DEP_1) | instid1(SALU_CYCLE_1)
	s_and_b32 s11, s13, s11
	s_delay_alu instid0(SALU_CYCLE_1) | instskip(NEXT) | instid1(SALU_CYCLE_1)
	s_xor_b32 s12, s11, -1
	s_and_saveexec_b32 s13, s12
	s_delay_alu instid0(SALU_CYCLE_1)
	s_xor_b32 s12, exec_lo, s13
	s_cbranch_execz .LBB179_160
; %bb.159:
	v_lshl_add_u32 v34, v65, 3, v53
	ds_load_b64 v[42:43], v34 offset:8
.LBB179_160:
	s_or_saveexec_b32 s12, s12
	v_dual_mov_b32 v45, v41 :: v_dual_mov_b32 v44, v40
	s_xor_b32 exec_lo, exec_lo, s12
	s_cbranch_execz .LBB179_162
; %bb.161:
	v_lshl_add_u32 v34, v66, 3, v53
	s_waitcnt lgkmcnt(0)
	v_dual_mov_b32 v43, v39 :: v_dual_mov_b32 v42, v38
	ds_load_b64 v[44:45], v34 offset:8
.LBB179_162:
	s_or_b32 exec_lo, exec_lo, s12
	v_add_nc_u32_e32 v34, 1, v65
	v_add_nc_u32_e32 v35, 1, v66
	s_waitcnt lgkmcnt(0)
	v_cmp_lt_i64_e64 s12, v[44:45], v[42:43]
                                        ; implicit-def: $vgpr46_vgpr47
	s_delay_alu instid0(VALU_DEP_3) | instskip(NEXT) | instid1(VALU_DEP_3)
	v_cndmask_b32_e64 v67, v34, v65, s11
	v_cndmask_b32_e64 v68, v66, v35, s11
	s_delay_alu instid0(VALU_DEP_2) | instskip(NEXT) | instid1(VALU_DEP_2)
	v_cmp_ge_i32_e64 s13, v67, v55
	v_cmp_lt_i32_e64 s14, v68, v57
	s_delay_alu instid0(VALU_DEP_2)
	s_or_b32 s12, s13, s12
	s_delay_alu instid0(VALU_DEP_1) | instid1(SALU_CYCLE_1)
	s_and_b32 s12, s14, s12
	s_delay_alu instid0(SALU_CYCLE_1) | instskip(NEXT) | instid1(SALU_CYCLE_1)
	s_xor_b32 s13, s12, -1
	s_and_saveexec_b32 s14, s13
	s_delay_alu instid0(SALU_CYCLE_1)
	s_xor_b32 s13, exec_lo, s14
	s_cbranch_execz .LBB179_164
; %bb.163:
	v_lshl_add_u32 v34, v67, 3, v53
	ds_load_b64 v[46:47], v34 offset:8
.LBB179_164:
	s_or_saveexec_b32 s13, s13
	v_dual_mov_b32 v49, v45 :: v_dual_mov_b32 v48, v44
	s_xor_b32 exec_lo, exec_lo, s13
	s_cbranch_execz .LBB179_166
; %bb.165:
	v_lshl_add_u32 v34, v68, 3, v53
	s_waitcnt lgkmcnt(0)
	v_dual_mov_b32 v47, v43 :: v_dual_mov_b32 v46, v42
	ds_load_b64 v[48:49], v34 offset:8
.LBB179_166:
	s_or_b32 exec_lo, exec_lo, s13
	v_add_nc_u32_e32 v34, 1, v67
	v_add_nc_u32_e32 v35, 1, v68
	s_waitcnt lgkmcnt(0)
	v_cmp_lt_i64_e64 s13, v[48:49], v[46:47]
	s_delay_alu instid0(VALU_DEP_3) | instskip(NEXT) | instid1(VALU_DEP_3)
	v_cndmask_b32_e64 v69, v34, v67, s12
	v_cndmask_b32_e64 v70, v68, v35, s12
                                        ; implicit-def: $vgpr34_vgpr35
	s_delay_alu instid0(VALU_DEP_2) | instskip(NEXT) | instid1(VALU_DEP_2)
	v_cmp_ge_i32_e64 s14, v69, v55
	v_cmp_lt_i32_e64 s15, v70, v57
	s_delay_alu instid0(VALU_DEP_2)
	s_or_b32 s13, s14, s13
	s_delay_alu instid0(VALU_DEP_1) | instid1(SALU_CYCLE_1)
	s_and_b32 s13, s15, s13
	s_delay_alu instid0(SALU_CYCLE_1) | instskip(NEXT) | instid1(SALU_CYCLE_1)
	s_xor_b32 s14, s13, -1
	s_and_saveexec_b32 s15, s14
	s_delay_alu instid0(SALU_CYCLE_1)
	s_xor_b32 s14, exec_lo, s15
	s_cbranch_execz .LBB179_168
; %bb.167:
	v_lshl_add_u32 v34, v69, 3, v53
	ds_load_b64 v[34:35], v34 offset:8
.LBB179_168:
	s_or_saveexec_b32 s14, s14
	v_dual_mov_b32 v36, v48 :: v_dual_mov_b32 v37, v49
	s_xor_b32 exec_lo, exec_lo, s14
	s_cbranch_execz .LBB179_170
; %bb.169:
	s_waitcnt lgkmcnt(0)
	v_lshl_add_u32 v34, v70, 3, v53
	ds_load_b64 v[36:37], v34 offset:8
	v_dual_mov_b32 v34, v46 :: v_dual_mov_b32 v35, v47
.LBB179_170:
	s_or_b32 exec_lo, exec_lo, s14
	v_add_nc_u32_e32 v72, 1, v69
	v_cndmask_b32_e64 v26, v26, v28, s9
	v_cndmask_b32_e64 v28, v22, v24, s8
	v_and_b32_e32 v22, 0x80, v51
	v_add_nc_u32_e32 v71, 1, v70
	v_cndmask_b32_e64 v47, v47, v49, s13
	v_cndmask_b32_e64 v49, v72, v69, s13
	;; [unrolled: 1-line block ×3, first 2 shown]
	v_min_i32_e32 v22, v50, v22
	v_cndmask_b32_e64 v48, v70, v71, s13
	v_cndmask_b32_e64 v39, v39, v41, s11
	;; [unrolled: 1-line block ×4, first 2 shown]
	s_waitcnt lgkmcnt(0)
	v_cmp_lt_i64_e64 s9, v[36:37], v[34:35]
	v_cndmask_b32_e64 v31, v31, v33, s10
	v_cndmask_b32_e64 v30, v30, v32, s10
	;; [unrolled: 1-line block ×3, first 2 shown]
	v_cmp_ge_i32_e64 s10, v49, v55
	; wave barrier
	ds_store_2addr_b64 v54, v[2:3], v[6:7] offset1:1
	ds_store_2addr_b64 v54, v[4:5], v[8:9] offset0:2 offset1:3
	v_add_nc_u32_e32 v2, 64, v22
	v_cndmask_b32_e64 v38, v38, v40, s11
	v_cndmask_b32_e64 v40, v65, v66, s11
	v_cmp_lt_i32_e64 s11, v48, v57
	v_cndmask_b32_e64 v29, v23, v25, s8
	v_cndmask_b32_e64 v23, v59, v60, s8
	s_or_b32 s8, s10, s9
	v_cndmask_b32_e64 v24, v58, v56, s7
	v_min_i32_e32 v55, v50, v2
	v_cndmask_b32_e64 v42, v42, v44, s12
	v_cndmask_b32_e64 v44, v67, v68, s12
	s_and_b32 s8, s11, s8
	v_cndmask_b32_e64 v69, v69, v70, s13
	v_cndmask_b32_e64 v25, v49, v48, s8
	ds_store_2addr_b64 v54, v[10:11], v[14:15] offset0:4 offset1:5
	ds_store_2addr_b64 v54, v[12:13], v[16:17] offset0:6 offset1:7
	v_lshl_add_u32 v2, v24, 3, v53
	v_add_nc_u32_e32 v10, 64, v55
	v_lshl_add_u32 v11, v40, 3, v53
	v_and_b32_e32 v12, 0x78, v51
	v_lshl_add_u32 v4, v23, 3, v53
	v_lshl_add_u32 v13, v44, 3, v53
	;; [unrolled: 1-line block ×6, first 2 shown]
	; wave barrier
	ds_load_b64 v[2:3], v2
	ds_load_b64 v[6:7], v4
	;; [unrolled: 1-line block ×4, first 2 shown]
	v_min_i32_e32 v56, v50, v10
	v_min_i32_e32 v23, v50, v12
	ds_load_b64 v[10:11], v11
	ds_load_b64 v[14:15], v13
	;; [unrolled: 1-line block ×4, first 2 shown]
	v_cndmask_b32_e64 v21, v19, v21, s7
	v_cndmask_b32_e64 v20, v18, v20, s7
	v_sub_nc_u32_e32 v24, v56, v55
	v_sub_nc_u32_e32 v19, v55, v22
	v_cndmask_b32_e64 v43, v43, v45, s12
	v_cndmask_b32_e64 v33, v35, v37, s8
	;; [unrolled: 1-line block ×3, first 2 shown]
	v_sub_nc_u32_e32 v18, v23, v24
	v_cmp_ge_i32_e64 s7, v23, v24
	v_min_i32_e32 v19, v23, v19
	s_mov_b32 s9, 0
	s_mov_b32 s8, exec_lo
	s_delay_alu instid0(VALU_DEP_2)
	v_cndmask_b32_e64 v24, 0, v18, s7
	v_lshl_add_u32 v18, v22, 3, v53
	; wave barrier
	ds_store_2addr_b64 v54, v[20:21], v[28:29] offset1:1
	ds_store_2addr_b64 v54, v[26:27], v[30:31] offset0:2 offset1:3
	ds_store_2addr_b64 v54, v[38:39], v[42:43] offset0:4 offset1:5
	;; [unrolled: 1-line block ×3, first 2 shown]
	; wave barrier
	v_cmpx_lt_i32_e64 v24, v19
	s_cbranch_execz .LBB179_174
; %bb.171:
	v_lshlrev_b32_e32 v20, 3, v55
	v_lshlrev_b32_e32 v21, 3, v23
	s_delay_alu instid0(VALU_DEP_1)
	v_add3_u32 v20, v53, v20, v21
	.p2align	6
.LBB179_172:                            ; =>This Inner Loop Header: Depth=1
	v_sub_nc_u32_e32 v21, v19, v24
	s_delay_alu instid0(VALU_DEP_1) | instskip(NEXT) | instid1(VALU_DEP_1)
	v_lshrrev_b32_e32 v25, 31, v21
	v_add_nc_u32_e32 v21, v21, v25
	s_delay_alu instid0(VALU_DEP_1) | instskip(NEXT) | instid1(VALU_DEP_1)
	v_ashrrev_i32_e32 v21, 1, v21
	v_add_nc_u32_e32 v21, v21, v24
	s_delay_alu instid0(VALU_DEP_1) | instskip(SKIP_1) | instid1(VALU_DEP_2)
	v_not_b32_e32 v25, v21
	v_lshl_add_u32 v26, v21, 3, v18
	v_lshl_add_u32 v27, v25, 3, v20
	ds_load_b64 v[25:26], v26
	ds_load_b64 v[27:28], v27
	s_waitcnt lgkmcnt(0)
	v_cmp_lt_i64_e64 s7, v[27:28], v[25:26]
	v_add_nc_u32_e32 v25, 1, v21
	s_delay_alu instid0(VALU_DEP_2) | instskip(NEXT) | instid1(VALU_DEP_2)
	v_cndmask_b32_e64 v19, v19, v21, s7
	v_cndmask_b32_e64 v24, v25, v24, s7
	s_delay_alu instid0(VALU_DEP_1) | instskip(NEXT) | instid1(VALU_DEP_1)
	v_cmp_ge_i32_e64 s7, v24, v19
	s_or_b32 s9, s7, s9
	s_delay_alu instid0(SALU_CYCLE_1)
	s_and_not1_b32 exec_lo, exec_lo, s9
	s_cbranch_execnz .LBB179_172
; %bb.173:
	s_or_b32 exec_lo, exec_lo, s9
.LBB179_174:
	s_delay_alu instid0(SALU_CYCLE_1) | instskip(SKIP_3) | instid1(VALU_DEP_3)
	s_or_b32 exec_lo, exec_lo, s8
	v_add_nc_u32_e32 v19, v55, v23
	v_lshl_add_u32 v25, v24, 3, v18
	v_add_nc_u32_e32 v58, v24, v22
                                        ; implicit-def: $vgpr22_vgpr23
	v_sub_nc_u32_e32 v57, v19, v24
	s_delay_alu instid0(VALU_DEP_2) | instskip(NEXT) | instid1(VALU_DEP_2)
	v_cmp_le_i32_e64 s8, v55, v58
	v_lshl_add_u32 v26, v57, 3, v53
	v_cmp_gt_i32_e64 s9, v56, v57
	ds_load_b64 v[18:19], v25
	ds_load_b64 v[20:21], v26
	s_waitcnt lgkmcnt(0)
	v_cmp_lt_i64_e64 s7, v[20:21], v[18:19]
	s_delay_alu instid0(VALU_DEP_1) | instskip(NEXT) | instid1(SALU_CYCLE_1)
	s_or_b32 s7, s8, s7
	s_and_b32 s7, s9, s7
	s_delay_alu instid0(SALU_CYCLE_1) | instskip(NEXT) | instid1(SALU_CYCLE_1)
	s_xor_b32 s8, s7, -1
	s_and_saveexec_b32 s9, s8
	s_delay_alu instid0(SALU_CYCLE_1)
	s_xor_b32 s8, exec_lo, s9
	s_cbranch_execz .LBB179_176
; %bb.175:
	ds_load_b64 v[22:23], v25 offset:8
                                        ; implicit-def: $vgpr26
.LBB179_176:
	s_or_saveexec_b32 s8, s8
	v_dual_mov_b32 v25, v21 :: v_dual_mov_b32 v24, v20
	s_xor_b32 exec_lo, exec_lo, s8
	s_cbranch_execz .LBB179_178
; %bb.177:
	ds_load_b64 v[24:25], v26 offset:8
	s_waitcnt lgkmcnt(1)
	v_dual_mov_b32 v23, v19 :: v_dual_mov_b32 v22, v18
.LBB179_178:
	s_or_b32 exec_lo, exec_lo, s8
	v_add_nc_u32_e32 v26, 1, v58
	v_add_nc_u32_e32 v27, 1, v57
	s_waitcnt lgkmcnt(0)
	v_cmp_lt_i64_e64 s8, v[24:25], v[22:23]
	s_delay_alu instid0(VALU_DEP_3) | instskip(NEXT) | instid1(VALU_DEP_3)
	v_cndmask_b32_e64 v59, v26, v58, s7
	v_cndmask_b32_e64 v60, v57, v27, s7
                                        ; implicit-def: $vgpr26_vgpr27
	s_delay_alu instid0(VALU_DEP_2) | instskip(NEXT) | instid1(VALU_DEP_2)
	v_cmp_ge_i32_e64 s9, v59, v55
	v_cmp_lt_i32_e64 s10, v60, v56
	s_delay_alu instid0(VALU_DEP_2)
	s_or_b32 s8, s9, s8
	s_delay_alu instid0(VALU_DEP_1) | instid1(SALU_CYCLE_1)
	s_and_b32 s8, s10, s8
	s_delay_alu instid0(SALU_CYCLE_1) | instskip(NEXT) | instid1(SALU_CYCLE_1)
	s_xor_b32 s9, s8, -1
	s_and_saveexec_b32 s10, s9
	s_delay_alu instid0(SALU_CYCLE_1)
	s_xor_b32 s9, exec_lo, s10
	s_cbranch_execz .LBB179_180
; %bb.179:
	v_lshl_add_u32 v26, v59, 3, v53
	ds_load_b64 v[26:27], v26 offset:8
.LBB179_180:
	s_or_saveexec_b32 s9, s9
	v_dual_mov_b32 v29, v25 :: v_dual_mov_b32 v28, v24
	s_xor_b32 exec_lo, exec_lo, s9
	s_cbranch_execz .LBB179_182
; %bb.181:
	s_waitcnt lgkmcnt(0)
	v_lshl_add_u32 v26, v60, 3, v53
	ds_load_b64 v[28:29], v26 offset:8
	v_dual_mov_b32 v27, v23 :: v_dual_mov_b32 v26, v22
.LBB179_182:
	s_or_b32 exec_lo, exec_lo, s9
	v_add_nc_u32_e32 v30, 1, v59
	v_add_nc_u32_e32 v31, 1, v60
	s_waitcnt lgkmcnt(0)
	v_cmp_lt_i64_e64 s9, v[28:29], v[26:27]
	s_delay_alu instid0(VALU_DEP_3) | instskip(NEXT) | instid1(VALU_DEP_3)
	v_cndmask_b32_e64 v61, v30, v59, s8
	v_cndmask_b32_e64 v62, v60, v31, s8
                                        ; implicit-def: $vgpr30_vgpr31
	s_delay_alu instid0(VALU_DEP_2) | instskip(NEXT) | instid1(VALU_DEP_2)
	v_cmp_ge_i32_e64 s10, v61, v55
	v_cmp_lt_i32_e64 s11, v62, v56
	s_delay_alu instid0(VALU_DEP_2)
	s_or_b32 s9, s10, s9
	s_delay_alu instid0(VALU_DEP_1) | instid1(SALU_CYCLE_1)
	s_and_b32 s9, s11, s9
	s_delay_alu instid0(SALU_CYCLE_1) | instskip(NEXT) | instid1(SALU_CYCLE_1)
	s_xor_b32 s10, s9, -1
	s_and_saveexec_b32 s11, s10
	s_delay_alu instid0(SALU_CYCLE_1)
	s_xor_b32 s10, exec_lo, s11
	s_cbranch_execz .LBB179_184
; %bb.183:
	v_lshl_add_u32 v30, v61, 3, v53
	ds_load_b64 v[30:31], v30 offset:8
.LBB179_184:
	s_or_saveexec_b32 s10, s10
	v_dual_mov_b32 v33, v29 :: v_dual_mov_b32 v32, v28
	s_xor_b32 exec_lo, exec_lo, s10
	s_cbranch_execz .LBB179_186
; %bb.185:
	s_waitcnt lgkmcnt(0)
	v_lshl_add_u32 v30, v62, 3, v53
	ds_load_b64 v[32:33], v30 offset:8
	v_dual_mov_b32 v31, v27 :: v_dual_mov_b32 v30, v26
.LBB179_186:
	s_or_b32 exec_lo, exec_lo, s10
	v_add_nc_u32_e32 v34, 1, v61
	v_add_nc_u32_e32 v35, 1, v62
	s_waitcnt lgkmcnt(0)
	v_cmp_lt_i64_e64 s10, v[32:33], v[30:31]
                                        ; implicit-def: $vgpr38_vgpr39
	s_delay_alu instid0(VALU_DEP_3) | instskip(NEXT) | instid1(VALU_DEP_3)
	v_cndmask_b32_e64 v63, v34, v61, s9
	v_cndmask_b32_e64 v64, v62, v35, s9
	s_delay_alu instid0(VALU_DEP_2) | instskip(NEXT) | instid1(VALU_DEP_2)
	v_cmp_ge_i32_e64 s11, v63, v55
	v_cmp_lt_i32_e64 s12, v64, v56
	s_delay_alu instid0(VALU_DEP_2)
	s_or_b32 s10, s11, s10
	s_delay_alu instid0(VALU_DEP_1) | instid1(SALU_CYCLE_1)
	s_and_b32 s10, s12, s10
	s_delay_alu instid0(SALU_CYCLE_1) | instskip(NEXT) | instid1(SALU_CYCLE_1)
	s_xor_b32 s11, s10, -1
	s_and_saveexec_b32 s12, s11
	s_delay_alu instid0(SALU_CYCLE_1)
	s_xor_b32 s11, exec_lo, s12
	s_cbranch_execz .LBB179_188
; %bb.187:
	v_lshl_add_u32 v34, v63, 3, v53
	ds_load_b64 v[38:39], v34 offset:8
.LBB179_188:
	s_or_saveexec_b32 s11, s11
	v_dual_mov_b32 v41, v33 :: v_dual_mov_b32 v40, v32
	s_xor_b32 exec_lo, exec_lo, s11
	s_cbranch_execz .LBB179_190
; %bb.189:
	v_lshl_add_u32 v34, v64, 3, v53
	s_waitcnt lgkmcnt(0)
	v_dual_mov_b32 v39, v31 :: v_dual_mov_b32 v38, v30
	ds_load_b64 v[40:41], v34 offset:8
.LBB179_190:
	s_or_b32 exec_lo, exec_lo, s11
	v_add_nc_u32_e32 v34, 1, v63
	v_add_nc_u32_e32 v35, 1, v64
	s_waitcnt lgkmcnt(0)
	v_cmp_lt_i64_e64 s11, v[40:41], v[38:39]
                                        ; implicit-def: $vgpr42_vgpr43
	s_delay_alu instid0(VALU_DEP_3) | instskip(NEXT) | instid1(VALU_DEP_3)
	v_cndmask_b32_e64 v65, v34, v63, s10
	v_cndmask_b32_e64 v66, v64, v35, s10
	s_delay_alu instid0(VALU_DEP_2) | instskip(NEXT) | instid1(VALU_DEP_2)
	v_cmp_ge_i32_e64 s12, v65, v55
	v_cmp_lt_i32_e64 s13, v66, v56
	s_delay_alu instid0(VALU_DEP_2)
	s_or_b32 s11, s12, s11
	s_delay_alu instid0(VALU_DEP_1) | instid1(SALU_CYCLE_1)
	s_and_b32 s11, s13, s11
	s_delay_alu instid0(SALU_CYCLE_1) | instskip(NEXT) | instid1(SALU_CYCLE_1)
	s_xor_b32 s12, s11, -1
	s_and_saveexec_b32 s13, s12
	s_delay_alu instid0(SALU_CYCLE_1)
	s_xor_b32 s12, exec_lo, s13
	s_cbranch_execz .LBB179_192
; %bb.191:
	v_lshl_add_u32 v34, v65, 3, v53
	ds_load_b64 v[42:43], v34 offset:8
.LBB179_192:
	s_or_saveexec_b32 s12, s12
	v_dual_mov_b32 v45, v41 :: v_dual_mov_b32 v44, v40
	s_xor_b32 exec_lo, exec_lo, s12
	s_cbranch_execz .LBB179_194
; %bb.193:
	v_lshl_add_u32 v34, v66, 3, v53
	s_waitcnt lgkmcnt(0)
	v_dual_mov_b32 v43, v39 :: v_dual_mov_b32 v42, v38
	ds_load_b64 v[44:45], v34 offset:8
.LBB179_194:
	s_or_b32 exec_lo, exec_lo, s12
	v_add_nc_u32_e32 v34, 1, v65
	v_add_nc_u32_e32 v35, 1, v66
	s_waitcnt lgkmcnt(0)
	v_cmp_lt_i64_e64 s12, v[44:45], v[42:43]
                                        ; implicit-def: $vgpr46_vgpr47
	s_delay_alu instid0(VALU_DEP_3) | instskip(NEXT) | instid1(VALU_DEP_3)
	v_cndmask_b32_e64 v67, v34, v65, s11
	v_cndmask_b32_e64 v68, v66, v35, s11
	s_delay_alu instid0(VALU_DEP_2) | instskip(NEXT) | instid1(VALU_DEP_2)
	v_cmp_ge_i32_e64 s13, v67, v55
	v_cmp_lt_i32_e64 s14, v68, v56
	s_delay_alu instid0(VALU_DEP_2)
	s_or_b32 s12, s13, s12
	s_delay_alu instid0(VALU_DEP_1) | instid1(SALU_CYCLE_1)
	s_and_b32 s12, s14, s12
	s_delay_alu instid0(SALU_CYCLE_1) | instskip(NEXT) | instid1(SALU_CYCLE_1)
	s_xor_b32 s13, s12, -1
	s_and_saveexec_b32 s14, s13
	s_delay_alu instid0(SALU_CYCLE_1)
	s_xor_b32 s13, exec_lo, s14
	s_cbranch_execz .LBB179_196
; %bb.195:
	v_lshl_add_u32 v34, v67, 3, v53
	ds_load_b64 v[46:47], v34 offset:8
.LBB179_196:
	s_or_saveexec_b32 s13, s13
	v_dual_mov_b32 v49, v45 :: v_dual_mov_b32 v48, v44
	s_xor_b32 exec_lo, exec_lo, s13
	s_cbranch_execz .LBB179_198
; %bb.197:
	v_lshl_add_u32 v34, v68, 3, v53
	s_waitcnt lgkmcnt(0)
	v_dual_mov_b32 v47, v43 :: v_dual_mov_b32 v46, v42
	ds_load_b64 v[48:49], v34 offset:8
.LBB179_198:
	s_or_b32 exec_lo, exec_lo, s13
	v_add_nc_u32_e32 v34, 1, v67
	v_add_nc_u32_e32 v35, 1, v68
	s_waitcnt lgkmcnt(0)
	v_cmp_lt_i64_e64 s13, v[48:49], v[46:47]
	s_delay_alu instid0(VALU_DEP_3) | instskip(NEXT) | instid1(VALU_DEP_3)
	v_cndmask_b32_e64 v69, v34, v67, s12
	v_cndmask_b32_e64 v70, v68, v35, s12
                                        ; implicit-def: $vgpr34_vgpr35
	s_delay_alu instid0(VALU_DEP_2) | instskip(NEXT) | instid1(VALU_DEP_2)
	v_cmp_ge_i32_e64 s14, v69, v55
	v_cmp_lt_i32_e64 s15, v70, v56
	s_delay_alu instid0(VALU_DEP_2)
	s_or_b32 s13, s14, s13
	s_delay_alu instid0(VALU_DEP_1) | instid1(SALU_CYCLE_1)
	s_and_b32 s13, s15, s13
	s_delay_alu instid0(SALU_CYCLE_1) | instskip(NEXT) | instid1(SALU_CYCLE_1)
	s_xor_b32 s14, s13, -1
	s_and_saveexec_b32 s15, s14
	s_delay_alu instid0(SALU_CYCLE_1)
	s_xor_b32 s14, exec_lo, s15
	s_cbranch_execz .LBB179_200
; %bb.199:
	v_lshl_add_u32 v34, v69, 3, v53
	ds_load_b64 v[34:35], v34 offset:8
.LBB179_200:
	s_or_saveexec_b32 s14, s14
	v_dual_mov_b32 v36, v48 :: v_dual_mov_b32 v37, v49
	s_xor_b32 exec_lo, exec_lo, s14
	s_cbranch_execz .LBB179_202
; %bb.201:
	s_waitcnt lgkmcnt(0)
	v_lshl_add_u32 v34, v70, 3, v53
	ds_load_b64 v[36:37], v34 offset:8
	v_dual_mov_b32 v34, v46 :: v_dual_mov_b32 v35, v47
.LBB179_202:
	s_or_b32 exec_lo, exec_lo, s14
	v_add_nc_u32_e32 v72, 1, v69
	v_add_nc_u32_e32 v71, 1, v70
	v_cndmask_b32_e64 v47, v47, v49, s13
	v_cndmask_b32_e64 v28, v26, v28, s9
	v_min_i32_e32 v26, 0, v50
	v_cndmask_b32_e64 v49, v72, v69, s13
	v_cndmask_b32_e64 v46, v46, v48, s13
	;; [unrolled: 1-line block ×5, first 2 shown]
	s_waitcnt lgkmcnt(0)
	v_cmp_lt_i64_e64 s9, v[36:37], v[34:35]
	v_cndmask_b32_e64 v31, v31, v33, s10
	v_cndmask_b32_e64 v30, v30, v32, s10
	;; [unrolled: 1-line block ×3, first 2 shown]
	v_cmp_ge_i32_e64 s10, v49, v55
	v_cndmask_b32_e64 v25, v23, v25, s8
	v_cndmask_b32_e64 v23, v58, v57, s7
	; wave barrier
	ds_store_2addr_b64 v54, v[2:3], v[6:7] offset1:1
	ds_store_2addr_b64 v54, v[4:5], v[8:9] offset0:2 offset1:3
	v_add_nc_u32_e32 v2, 0x80, v26
	v_cndmask_b32_e64 v39, v39, v41, s11
	v_cndmask_b32_e64 v38, v38, v40, s11
	;; [unrolled: 1-line block ×3, first 2 shown]
	v_cmp_lt_i32_e64 s11, v48, v56
	v_cndmask_b32_e64 v24, v22, v24, s8
	v_cndmask_b32_e64 v22, v59, v60, s8
	s_or_b32 s8, s10, s9
	v_min_i32_e32 v55, v50, v2
	v_lshl_add_u32 v2, v23, 3, v53
	v_cndmask_b32_e64 v42, v42, v44, s12
	v_cndmask_b32_e64 v44, v67, v68, s12
	s_and_b32 s8, s11, s8
	v_lshl_add_u32 v3, v22, 3, v53
	v_cndmask_b32_e64 v69, v69, v70, s13
	v_lshl_add_u32 v4, v27, 3, v53
	v_cndmask_b32_e64 v33, v35, v37, s8
	v_cndmask_b32_e64 v35, v49, v48, s8
	v_lshl_add_u32 v5, v32, 3, v53
	ds_store_2addr_b64 v54, v[10:11], v[14:15] offset0:4 offset1:5
	ds_store_2addr_b64 v54, v[12:13], v[16:17] offset0:6 offset1:7
	; wave barrier
	v_add_nc_u32_e32 v10, 0x80, v55
	ds_load_b64 v[14:15], v2
	ds_load_b64 v[16:17], v3
	;; [unrolled: 1-line block ×4, first 2 shown]
	v_lshl_add_u32 v2, v40, 3, v53
	v_and_b32_e32 v3, 0xf8, v51
	v_lshl_add_u32 v4, v44, 3, v53
	v_lshl_add_u32 v5, v69, 3, v53
	;; [unrolled: 1-line block ×3, first 2 shown]
	v_min_i32_e32 v51, v50, v10
	v_min_i32_e32 v22, v50, v3
	ds_load_b64 v[10:11], v2
	ds_load_b64 v[12:13], v4
	;; [unrolled: 1-line block ×4, first 2 shown]
	v_cndmask_b32_e64 v41, v19, v21, s7
	v_cndmask_b32_e64 v40, v18, v20, s7
	v_sub_nc_u32_e32 v27, v51, v55
	v_sub_nc_u32_e32 v19, v55, v26
	v_cndmask_b32_e64 v43, v43, v45, s12
	v_cndmask_b32_e64 v32, v34, v36, s8
	s_mov_b32 s9, 0
	v_sub_nc_u32_e32 v18, v22, v27
	v_cmp_ge_i32_e64 s7, v22, v27
	v_min_i32_e32 v20, v22, v19
	v_lshl_add_u32 v19, v26, 3, v53
	s_mov_b32 s8, exec_lo
	s_delay_alu instid0(VALU_DEP_3)
	v_cndmask_b32_e64 v18, 0, v18, s7
	; wave barrier
	ds_store_2addr_b64 v54, v[40:41], v[24:25] offset1:1
	ds_store_2addr_b64 v54, v[28:29], v[30:31] offset0:2 offset1:3
	ds_store_2addr_b64 v54, v[38:39], v[42:43] offset0:4 offset1:5
	;; [unrolled: 1-line block ×3, first 2 shown]
	; wave barrier
	v_cmpx_lt_i32_e64 v18, v20
	s_cbranch_execz .LBB179_206
; %bb.203:
	v_lshlrev_b32_e32 v21, 3, v55
	v_lshlrev_b32_e32 v23, 3, v22
	s_delay_alu instid0(VALU_DEP_1)
	v_add3_u32 v21, v53, v21, v23
	.p2align	6
.LBB179_204:                            ; =>This Inner Loop Header: Depth=1
	v_sub_nc_u32_e32 v23, v20, v18
	s_delay_alu instid0(VALU_DEP_1) | instskip(NEXT) | instid1(VALU_DEP_1)
	v_lshrrev_b32_e32 v24, 31, v23
	v_add_nc_u32_e32 v23, v23, v24
	s_delay_alu instid0(VALU_DEP_1) | instskip(NEXT) | instid1(VALU_DEP_1)
	v_ashrrev_i32_e32 v23, 1, v23
	v_add_nc_u32_e32 v25, v23, v18
	s_delay_alu instid0(VALU_DEP_1) | instskip(SKIP_1) | instid1(VALU_DEP_2)
	v_not_b32_e32 v23, v25
	v_lshl_add_u32 v24, v25, 3, v19
	v_lshl_add_u32 v27, v23, 3, v21
	ds_load_b64 v[23:24], v24
	ds_load_b64 v[27:28], v27
	s_waitcnt lgkmcnt(0)
	v_cmp_lt_i64_e64 s7, v[27:28], v[23:24]
	v_add_nc_u32_e32 v23, 1, v25
	s_delay_alu instid0(VALU_DEP_2) | instskip(NEXT) | instid1(VALU_DEP_2)
	v_cndmask_b32_e64 v20, v20, v25, s7
	v_cndmask_b32_e64 v18, v23, v18, s7
	s_delay_alu instid0(VALU_DEP_1) | instskip(NEXT) | instid1(VALU_DEP_1)
	v_cmp_ge_i32_e64 s7, v18, v20
	s_or_b32 s9, s7, s9
	s_delay_alu instid0(SALU_CYCLE_1)
	s_and_not1_b32 exec_lo, exec_lo, s9
	s_cbranch_execnz .LBB179_204
; %bb.205:
	s_or_b32 exec_lo, exec_lo, s9
.LBB179_206:
	s_delay_alu instid0(SALU_CYCLE_1) | instskip(SKIP_2) | instid1(VALU_DEP_2)
	s_or_b32 exec_lo, exec_lo, s8
	v_add_nc_u32_e32 v20, v55, v22
	v_add_nc_u32_e32 v56, v18, v26
	v_sub_nc_u32_e32 v50, v20, v18
	v_lshl_add_u32 v20, v18, 3, v19
	s_delay_alu instid0(VALU_DEP_3) | instskip(NEXT) | instid1(VALU_DEP_3)
	v_cmp_le_i32_e64 s8, v55, v56
                                        ; implicit-def: $vgpr18_vgpr19
	v_lshl_add_u32 v27, v50, 3, v53
	v_cmp_gt_i32_e64 s9, v51, v50
	ds_load_b64 v[22:23], v20
	ds_load_b64 v[24:25], v27
	s_waitcnt lgkmcnt(0)
	v_cmp_lt_i64_e64 s7, v[24:25], v[22:23]
	s_delay_alu instid0(VALU_DEP_1) | instskip(NEXT) | instid1(SALU_CYCLE_1)
	s_or_b32 s7, s8, s7
	s_and_b32 s7, s9, s7
	s_delay_alu instid0(SALU_CYCLE_1) | instskip(NEXT) | instid1(SALU_CYCLE_1)
	s_xor_b32 s8, s7, -1
	s_and_saveexec_b32 s9, s8
	s_delay_alu instid0(SALU_CYCLE_1)
	s_xor_b32 s8, exec_lo, s9
	s_cbranch_execz .LBB179_208
; %bb.207:
	ds_load_b64 v[18:19], v20 offset:8
                                        ; implicit-def: $vgpr27
.LBB179_208:
	s_or_saveexec_b32 s8, s8
	v_dual_mov_b32 v20, v24 :: v_dual_mov_b32 v21, v25
	s_xor_b32 exec_lo, exec_lo, s8
	s_cbranch_execz .LBB179_210
; %bb.209:
	ds_load_b64 v[20:21], v27 offset:8
	s_waitcnt lgkmcnt(1)
	v_dual_mov_b32 v18, v22 :: v_dual_mov_b32 v19, v23
.LBB179_210:
	s_or_b32 exec_lo, exec_lo, s8
	v_add_nc_u32_e32 v26, 1, v56
	v_add_nc_u32_e32 v27, 1, v50
	s_waitcnt lgkmcnt(0)
	v_cmp_lt_i64_e64 s8, v[20:21], v[18:19]
	s_delay_alu instid0(VALU_DEP_3) | instskip(NEXT) | instid1(VALU_DEP_3)
	v_cndmask_b32_e64 v57, v26, v56, s7
	v_cndmask_b32_e64 v58, v50, v27, s7
                                        ; implicit-def: $vgpr26_vgpr27
	s_delay_alu instid0(VALU_DEP_2) | instskip(NEXT) | instid1(VALU_DEP_2)
	v_cmp_ge_i32_e64 s9, v57, v55
	v_cmp_lt_i32_e64 s10, v58, v51
	s_delay_alu instid0(VALU_DEP_2)
	s_or_b32 s8, s9, s8
	s_delay_alu instid0(VALU_DEP_1) | instid1(SALU_CYCLE_1)
	s_and_b32 s8, s10, s8
	s_delay_alu instid0(SALU_CYCLE_1) | instskip(NEXT) | instid1(SALU_CYCLE_1)
	s_xor_b32 s9, s8, -1
	s_and_saveexec_b32 s10, s9
	s_delay_alu instid0(SALU_CYCLE_1)
	s_xor_b32 s9, exec_lo, s10
	s_cbranch_execz .LBB179_212
; %bb.211:
	v_lshl_add_u32 v26, v57, 3, v53
	ds_load_b64 v[26:27], v26 offset:8
.LBB179_212:
	s_or_saveexec_b32 s9, s9
	v_dual_mov_b32 v29, v21 :: v_dual_mov_b32 v28, v20
	s_xor_b32 exec_lo, exec_lo, s9
	s_cbranch_execz .LBB179_214
; %bb.213:
	s_waitcnt lgkmcnt(0)
	v_lshl_add_u32 v26, v58, 3, v53
	ds_load_b64 v[28:29], v26 offset:8
	v_dual_mov_b32 v27, v19 :: v_dual_mov_b32 v26, v18
.LBB179_214:
	s_or_b32 exec_lo, exec_lo, s9
	v_add_nc_u32_e32 v30, 1, v57
	v_add_nc_u32_e32 v31, 1, v58
	s_waitcnt lgkmcnt(0)
	v_cmp_lt_i64_e64 s9, v[28:29], v[26:27]
	s_delay_alu instid0(VALU_DEP_3) | instskip(NEXT) | instid1(VALU_DEP_3)
	v_cndmask_b32_e64 v59, v30, v57, s8
	v_cndmask_b32_e64 v60, v58, v31, s8
                                        ; implicit-def: $vgpr30_vgpr31
	s_delay_alu instid0(VALU_DEP_2) | instskip(NEXT) | instid1(VALU_DEP_2)
	v_cmp_ge_i32_e64 s10, v59, v55
	v_cmp_lt_i32_e64 s11, v60, v51
	s_delay_alu instid0(VALU_DEP_2)
	s_or_b32 s9, s10, s9
	s_delay_alu instid0(VALU_DEP_1) | instid1(SALU_CYCLE_1)
	s_and_b32 s9, s11, s9
	s_delay_alu instid0(SALU_CYCLE_1) | instskip(NEXT) | instid1(SALU_CYCLE_1)
	s_xor_b32 s10, s9, -1
	s_and_saveexec_b32 s11, s10
	s_delay_alu instid0(SALU_CYCLE_1)
	s_xor_b32 s10, exec_lo, s11
	s_cbranch_execz .LBB179_216
; %bb.215:
	v_lshl_add_u32 v30, v59, 3, v53
	ds_load_b64 v[30:31], v30 offset:8
.LBB179_216:
	s_or_saveexec_b32 s10, s10
	v_dual_mov_b32 v33, v29 :: v_dual_mov_b32 v32, v28
	s_xor_b32 exec_lo, exec_lo, s10
	s_cbranch_execz .LBB179_218
; %bb.217:
	s_waitcnt lgkmcnt(0)
	v_lshl_add_u32 v30, v60, 3, v53
	ds_load_b64 v[32:33], v30 offset:8
	v_dual_mov_b32 v31, v27 :: v_dual_mov_b32 v30, v26
.LBB179_218:
	s_or_b32 exec_lo, exec_lo, s10
	v_add_nc_u32_e32 v34, 1, v59
	v_add_nc_u32_e32 v35, 1, v60
	s_waitcnt lgkmcnt(0)
	v_cmp_lt_i64_e64 s10, v[32:33], v[30:31]
	s_delay_alu instid0(VALU_DEP_3) | instskip(NEXT) | instid1(VALU_DEP_3)
	v_cndmask_b32_e64 v61, v34, v59, s9
	v_cndmask_b32_e64 v62, v60, v35, s9
                                        ; implicit-def: $vgpr34_vgpr35
	s_delay_alu instid0(VALU_DEP_2) | instskip(NEXT) | instid1(VALU_DEP_2)
	v_cmp_ge_i32_e64 s11, v61, v55
	v_cmp_lt_i32_e64 s12, v62, v51
	s_delay_alu instid0(VALU_DEP_2)
	s_or_b32 s10, s11, s10
	s_delay_alu instid0(VALU_DEP_1) | instid1(SALU_CYCLE_1)
	s_and_b32 s10, s12, s10
	s_delay_alu instid0(SALU_CYCLE_1) | instskip(NEXT) | instid1(SALU_CYCLE_1)
	s_xor_b32 s11, s10, -1
	s_and_saveexec_b32 s12, s11
	s_delay_alu instid0(SALU_CYCLE_1)
	s_xor_b32 s11, exec_lo, s12
	s_cbranch_execz .LBB179_220
; %bb.219:
	v_lshl_add_u32 v34, v61, 3, v53
	ds_load_b64 v[34:35], v34 offset:8
.LBB179_220:
	s_or_saveexec_b32 s11, s11
	v_dual_mov_b32 v37, v33 :: v_dual_mov_b32 v36, v32
	s_xor_b32 exec_lo, exec_lo, s11
	s_cbranch_execz .LBB179_222
; %bb.221:
	s_waitcnt lgkmcnt(0)
	v_lshl_add_u32 v34, v62, 3, v53
	ds_load_b64 v[36:37], v34 offset:8
	v_dual_mov_b32 v35, v31 :: v_dual_mov_b32 v34, v30
.LBB179_222:
	s_or_b32 exec_lo, exec_lo, s11
	v_add_nc_u32_e32 v38, 1, v61
	v_add_nc_u32_e32 v39, 1, v62
	s_waitcnt lgkmcnt(0)
	v_cmp_lt_i64_e64 s11, v[36:37], v[34:35]
	s_delay_alu instid0(VALU_DEP_3) | instskip(NEXT) | instid1(VALU_DEP_3)
	v_cndmask_b32_e64 v63, v38, v61, s10
	v_cndmask_b32_e64 v64, v62, v39, s10
                                        ; implicit-def: $vgpr38_vgpr39
	s_delay_alu instid0(VALU_DEP_2) | instskip(NEXT) | instid1(VALU_DEP_2)
	v_cmp_ge_i32_e64 s12, v63, v55
	v_cmp_lt_i32_e64 s13, v64, v51
	s_delay_alu instid0(VALU_DEP_2)
	s_or_b32 s11, s12, s11
	s_delay_alu instid0(VALU_DEP_1) | instid1(SALU_CYCLE_1)
	s_and_b32 s11, s13, s11
	s_delay_alu instid0(SALU_CYCLE_1) | instskip(NEXT) | instid1(SALU_CYCLE_1)
	s_xor_b32 s12, s11, -1
	s_and_saveexec_b32 s13, s12
	s_delay_alu instid0(SALU_CYCLE_1)
	s_xor_b32 s12, exec_lo, s13
	s_cbranch_execz .LBB179_224
; %bb.223:
	v_lshl_add_u32 v38, v63, 3, v53
	ds_load_b64 v[38:39], v38 offset:8
.LBB179_224:
	s_or_saveexec_b32 s12, s12
	v_dual_mov_b32 v41, v37 :: v_dual_mov_b32 v40, v36
	s_xor_b32 exec_lo, exec_lo, s12
	s_cbranch_execz .LBB179_226
; %bb.225:
	s_waitcnt lgkmcnt(0)
	v_lshl_add_u32 v38, v64, 3, v53
	ds_load_b64 v[40:41], v38 offset:8
	v_dual_mov_b32 v39, v35 :: v_dual_mov_b32 v38, v34
.LBB179_226:
	s_or_b32 exec_lo, exec_lo, s12
	v_add_nc_u32_e32 v42, 1, v63
	v_add_nc_u32_e32 v43, 1, v64
	s_waitcnt lgkmcnt(0)
	v_cmp_lt_i64_e64 s12, v[40:41], v[38:39]
	s_delay_alu instid0(VALU_DEP_3) | instskip(NEXT) | instid1(VALU_DEP_3)
	v_cndmask_b32_e64 v65, v42, v63, s11
	v_cndmask_b32_e64 v66, v64, v43, s11
                                        ; implicit-def: $vgpr42_vgpr43
	s_delay_alu instid0(VALU_DEP_2) | instskip(NEXT) | instid1(VALU_DEP_2)
	v_cmp_ge_i32_e64 s13, v65, v55
	v_cmp_lt_i32_e64 s14, v66, v51
	s_delay_alu instid0(VALU_DEP_2)
	s_or_b32 s12, s13, s12
	s_delay_alu instid0(VALU_DEP_1) | instid1(SALU_CYCLE_1)
	s_and_b32 s12, s14, s12
	s_delay_alu instid0(SALU_CYCLE_1) | instskip(NEXT) | instid1(SALU_CYCLE_1)
	s_xor_b32 s13, s12, -1
	s_and_saveexec_b32 s14, s13
	s_delay_alu instid0(SALU_CYCLE_1)
	s_xor_b32 s13, exec_lo, s14
	s_cbranch_execz .LBB179_228
; %bb.227:
	v_lshl_add_u32 v42, v65, 3, v53
	ds_load_b64 v[42:43], v42 offset:8
.LBB179_228:
	s_or_saveexec_b32 s13, s13
	v_dual_mov_b32 v45, v41 :: v_dual_mov_b32 v44, v40
	s_xor_b32 exec_lo, exec_lo, s13
	s_cbranch_execz .LBB179_230
; %bb.229:
	s_waitcnt lgkmcnt(0)
	v_lshl_add_u32 v42, v66, 3, v53
	ds_load_b64 v[44:45], v42 offset:8
	v_dual_mov_b32 v43, v39 :: v_dual_mov_b32 v42, v38
.LBB179_230:
	s_or_b32 exec_lo, exec_lo, s13
	v_add_nc_u32_e32 v46, 1, v65
	v_add_nc_u32_e32 v47, 1, v66
	s_waitcnt lgkmcnt(0)
	v_cmp_lt_i64_e64 s13, v[44:45], v[42:43]
                                        ; implicit-def: $vgpr69
	s_delay_alu instid0(VALU_DEP_3) | instskip(NEXT) | instid1(VALU_DEP_3)
	v_cndmask_b32_e64 v70, v46, v65, s12
	v_cndmask_b32_e64 v68, v66, v47, s12
                                        ; implicit-def: $vgpr46_vgpr47
	s_delay_alu instid0(VALU_DEP_2) | instskip(NEXT) | instid1(VALU_DEP_2)
	v_cmp_ge_i32_e64 s14, v70, v55
	v_cmp_lt_i32_e64 s15, v68, v51
	s_delay_alu instid0(VALU_DEP_2)
	s_or_b32 s13, s14, s13
	s_delay_alu instid0(VALU_DEP_1) | instid1(SALU_CYCLE_1)
	s_and_b32 s13, s15, s13
	s_delay_alu instid0(SALU_CYCLE_1) | instskip(NEXT) | instid1(SALU_CYCLE_1)
	s_xor_b32 s14, s13, -1
	s_and_saveexec_b32 s15, s14
	s_delay_alu instid0(SALU_CYCLE_1)
	s_xor_b32 s14, exec_lo, s15
	s_cbranch_execz .LBB179_232
; %bb.231:
	v_lshl_add_u32 v46, v70, 3, v53
	v_add_nc_u32_e32 v69, 1, v70
	ds_load_b64 v[46:47], v46 offset:8
.LBB179_232:
	s_or_saveexec_b32 s14, s14
	v_mov_b32_e32 v49, v45
	v_dual_mov_b32 v67, v70 :: v_dual_mov_b32 v48, v44
	s_xor_b32 exec_lo, exec_lo, s14
	s_cbranch_execz .LBB179_234
; %bb.233:
	s_waitcnt lgkmcnt(0)
	v_lshl_add_u32 v46, v68, 3, v53
	v_mov_b32_e32 v69, v70
	v_mov_b32_e32 v67, v68
	ds_load_b64 v[48:49], v46 offset:8
	v_add_nc_u32_e32 v46, 1, v68
	s_delay_alu instid0(VALU_DEP_1)
	v_dual_mov_b32 v68, v46 :: v_dual_mov_b32 v47, v43
	v_mov_b32_e32 v46, v42
.LBB179_234:
	s_or_b32 exec_lo, exec_lo, s14
	s_waitcnt lgkmcnt(0)
	s_delay_alu instid0(VALU_DEP_1)
	v_cmp_lt_i64_e64 s14, v[48:49], v[46:47]
	v_cmp_ge_i32_e64 s15, v69, v55
	v_cmp_lt_i32_e64 s16, v68, v51
	v_cndmask_b32_e64 v57, v57, v58, s8
	v_cndmask_b32_e64 v59, v59, v60, s9
	;; [unrolled: 1-line block ×3, first 2 shown]
	s_or_b32 s14, s15, s14
	v_cndmask_b32_e64 v55, v63, v64, s11
	s_and_b32 s14, s16, s14
	v_cndmask_b32_e64 v65, v65, v66, s12
	v_cndmask_b32_e64 v58, v69, v68, s14
	; wave barrier
	ds_store_2addr_b64 v54, v[14:15], v[16:17] offset1:1
	ds_store_2addr_b64 v54, v[6:7], v[8:9] offset0:2 offset1:3
	ds_store_2addr_b64 v54, v[10:11], v[12:13] offset0:4 offset1:5
	;; [unrolled: 1-line block ×3, first 2 shown]
	v_lshl_add_u32 v2, v57, 3, v53
	v_lshl_add_u32 v3, v59, 3, v53
	;; [unrolled: 1-line block ×5, first 2 shown]
	; wave barrier
	v_lshl_add_u32 v16, v67, 3, v53
	v_lshl_add_u32 v17, v58, 3, v53
	ds_load_b64 v[14:15], v2
	ds_load_b64 v[12:13], v3
	;; [unrolled: 1-line block ×7, first 2 shown]
	v_cndmask_b32_e64 v17, v23, v25, s7
	v_cndmask_b32_e64 v16, v22, v24, s7
	s_and_saveexec_b32 s15, s6
	s_cbranch_execz .LBB179_236
; %bb.235:
	v_cndmask_b32_e64 v22, v56, v50, s7
	s_delay_alu instid0(VALU_DEP_1) | instskip(SKIP_3) | instid1(VALU_DEP_1)
	v_lshl_add_u32 v22, v22, 3, v53
	ds_load_b64 v[22:23], v22
	s_waitcnt lgkmcnt(0)
	v_add_co_u32 v16, s7, v22, v16
	v_add_co_ci_u32_e64 v17, s7, v23, v17, s7
.LBB179_236:
	s_or_b32 exec_lo, exec_lo, s15
	v_add_co_u32 v0, s7, s18, v0
	s_delay_alu instid0(VALU_DEP_1) | instskip(NEXT) | instid1(VALU_DEP_2)
	v_add_co_ci_u32_e64 v1, s7, s19, v1, s7
	v_add_co_u32 v0, s7, v0, v52
	s_delay_alu instid0(VALU_DEP_1) | instskip(SKIP_1) | instid1(SALU_CYCLE_1)
	v_add_co_ci_u32_e64 v1, s7, 0, v1, s7
	s_and_saveexec_b32 s7, s6
	s_xor_b32 s6, exec_lo, s7
	s_cbranch_execnz .LBB179_245
; %bb.237:
	s_or_b32 exec_lo, exec_lo, s6
	s_and_saveexec_b32 s6, s5
	s_cbranch_execnz .LBB179_246
.LBB179_238:
	s_or_b32 exec_lo, exec_lo, s6
	s_and_saveexec_b32 s5, s4
	s_cbranch_execnz .LBB179_247
.LBB179_239:
	s_or_b32 exec_lo, exec_lo, s5
	s_and_saveexec_b32 s4, s3
	s_cbranch_execnz .LBB179_248
.LBB179_240:
	s_or_b32 exec_lo, exec_lo, s4
	s_and_saveexec_b32 s3, s2
	s_cbranch_execnz .LBB179_249
.LBB179_241:
	s_or_b32 exec_lo, exec_lo, s3
	s_and_saveexec_b32 s2, s1
	s_cbranch_execnz .LBB179_250
.LBB179_242:
	s_or_b32 exec_lo, exec_lo, s2
	s_and_saveexec_b32 s1, s0
	s_cbranch_execnz .LBB179_251
.LBB179_243:
	s_or_b32 exec_lo, exec_lo, s1
	s_and_saveexec_b32 s0, vcc_lo
	s_cbranch_execnz .LBB179_252
.LBB179_244:
	s_nop 0
	s_sendmsg sendmsg(MSG_DEALLOC_VGPRS)
	s_endpgm
.LBB179_245:
	global_store_b64 v[0:1], v[16:17], off
	s_or_b32 exec_lo, exec_lo, s6
	s_and_saveexec_b32 s6, s5
	s_cbranch_execz .LBB179_238
.LBB179_246:
	v_cndmask_b32_e64 v16, v18, v20, s8
	s_waitcnt lgkmcnt(6)
	v_cndmask_b32_e64 v14, 0, v14, s5
	v_cndmask_b32_e64 v17, v19, v21, s8
	;; [unrolled: 1-line block ×3, first 2 shown]
	s_delay_alu instid0(VALU_DEP_3) | instskip(NEXT) | instid1(VALU_DEP_1)
	v_add_co_u32 v14, s5, v14, v16
	v_add_co_ci_u32_e64 v15, s5, v15, v17, s5
	global_store_b64 v[0:1], v[14:15], off offset:8
	s_or_b32 exec_lo, exec_lo, s6
	s_and_saveexec_b32 s5, s4
	s_cbranch_execz .LBB179_239
.LBB179_247:
	s_waitcnt lgkmcnt(6)
	v_cndmask_b32_e64 v14, v26, v28, s9
	s_waitcnt lgkmcnt(5)
	v_cndmask_b32_e64 v12, 0, v12, s4
	v_cndmask_b32_e64 v15, v27, v29, s9
	;; [unrolled: 1-line block ×3, first 2 shown]
	s_delay_alu instid0(VALU_DEP_3) | instskip(NEXT) | instid1(VALU_DEP_1)
	v_add_co_u32 v12, s4, v12, v14
	v_add_co_ci_u32_e64 v13, s4, v13, v15, s4
	global_store_b64 v[0:1], v[12:13], off offset:16
	s_or_b32 exec_lo, exec_lo, s5
	s_and_saveexec_b32 s4, s3
	s_cbranch_execz .LBB179_240
.LBB179_248:
	s_waitcnt lgkmcnt(5)
	v_cndmask_b32_e64 v12, v30, v32, s10
	s_waitcnt lgkmcnt(4)
	v_cndmask_b32_e64 v10, 0, v10, s3
	v_cndmask_b32_e64 v13, v31, v33, s10
	;; [unrolled: 1-line block ×3, first 2 shown]
	s_delay_alu instid0(VALU_DEP_3) | instskip(NEXT) | instid1(VALU_DEP_1)
	v_add_co_u32 v10, s3, v10, v12
	v_add_co_ci_u32_e64 v11, s3, v11, v13, s3
	global_store_b64 v[0:1], v[10:11], off offset:24
	s_or_b32 exec_lo, exec_lo, s4
	s_and_saveexec_b32 s3, s2
	s_cbranch_execz .LBB179_241
.LBB179_249:
	s_waitcnt lgkmcnt(4)
	v_cndmask_b32_e64 v10, v34, v36, s11
	s_waitcnt lgkmcnt(3)
	v_cndmask_b32_e64 v8, 0, v8, s2
	v_cndmask_b32_e64 v11, v35, v37, s11
	;; [unrolled: 1-line block ×3, first 2 shown]
	s_delay_alu instid0(VALU_DEP_3) | instskip(NEXT) | instid1(VALU_DEP_1)
	v_add_co_u32 v8, s2, v8, v10
	v_add_co_ci_u32_e64 v9, s2, v9, v11, s2
	global_store_b64 v[0:1], v[8:9], off offset:32
	s_or_b32 exec_lo, exec_lo, s3
	s_and_saveexec_b32 s2, s1
	s_cbranch_execz .LBB179_242
.LBB179_250:
	s_waitcnt lgkmcnt(3)
	v_cndmask_b32_e64 v8, v38, v40, s12
	s_waitcnt lgkmcnt(2)
	v_cndmask_b32_e64 v6, 0, v6, s1
	v_cndmask_b32_e64 v9, v39, v41, s12
	;; [unrolled: 1-line block ×3, first 2 shown]
	s_delay_alu instid0(VALU_DEP_3) | instskip(NEXT) | instid1(VALU_DEP_1)
	v_add_co_u32 v6, s1, v6, v8
	v_add_co_ci_u32_e64 v7, s1, v7, v9, s1
	global_store_b64 v[0:1], v[6:7], off offset:40
	s_or_b32 exec_lo, exec_lo, s2
	s_and_saveexec_b32 s1, s0
	s_cbranch_execz .LBB179_243
.LBB179_251:
	s_waitcnt lgkmcnt(2)
	v_cndmask_b32_e64 v6, v42, v44, s13
	s_waitcnt lgkmcnt(1)
	v_cndmask_b32_e64 v4, 0, v4, s0
	v_cndmask_b32_e64 v7, v43, v45, s13
	;; [unrolled: 1-line block ×3, first 2 shown]
	s_delay_alu instid0(VALU_DEP_3) | instskip(NEXT) | instid1(VALU_DEP_1)
	v_add_co_u32 v4, s0, v4, v6
	v_add_co_ci_u32_e64 v5, s0, v5, v7, s0
	global_store_b64 v[0:1], v[4:5], off offset:48
	s_or_b32 exec_lo, exec_lo, s1
	s_and_saveexec_b32 s0, vcc_lo
	s_cbranch_execz .LBB179_244
.LBB179_252:
	s_waitcnt lgkmcnt(1)
	v_cndmask_b32_e64 v4, v46, v48, s14
	s_waitcnt lgkmcnt(0)
	v_dual_cndmask_b32 v2, 0, v2 :: v_dual_cndmask_b32 v3, 0, v3
	v_cndmask_b32_e64 v5, v47, v49, s14
	s_delay_alu instid0(VALU_DEP_2) | instskip(NEXT) | instid1(VALU_DEP_2)
	v_add_co_u32 v2, vcc_lo, v2, v4
	v_add_co_ci_u32_e32 v3, vcc_lo, v3, v5, vcc_lo
	global_store_b64 v[0:1], v[2:3], off offset:56
	s_nop 0
	s_sendmsg sendmsg(MSG_DEALLOC_VGPRS)
	s_endpgm
	.section	.rodata,"a",@progbits
	.p2align	6, 0x0
	.amdhsa_kernel _Z20sort_pairs_segmentedILj256ELj32ELj8ExN10test_utils4lessEEvPKT2_PS2_PKjT3_
		.amdhsa_group_segment_fixed_size 16448
		.amdhsa_private_segment_fixed_size 0
		.amdhsa_kernarg_size 28
		.amdhsa_user_sgpr_count 15
		.amdhsa_user_sgpr_dispatch_ptr 0
		.amdhsa_user_sgpr_queue_ptr 0
		.amdhsa_user_sgpr_kernarg_segment_ptr 1
		.amdhsa_user_sgpr_dispatch_id 0
		.amdhsa_user_sgpr_private_segment_size 0
		.amdhsa_wavefront_size32 1
		.amdhsa_uses_dynamic_stack 0
		.amdhsa_enable_private_segment 0
		.amdhsa_system_sgpr_workgroup_id_x 1
		.amdhsa_system_sgpr_workgroup_id_y 0
		.amdhsa_system_sgpr_workgroup_id_z 0
		.amdhsa_system_sgpr_workgroup_info 0
		.amdhsa_system_vgpr_workitem_id 0
		.amdhsa_next_free_vgpr 73
		.amdhsa_next_free_sgpr 20
		.amdhsa_reserve_vcc 1
		.amdhsa_float_round_mode_32 0
		.amdhsa_float_round_mode_16_64 0
		.amdhsa_float_denorm_mode_32 3
		.amdhsa_float_denorm_mode_16_64 3
		.amdhsa_dx10_clamp 1
		.amdhsa_ieee_mode 1
		.amdhsa_fp16_overflow 0
		.amdhsa_workgroup_processor_mode 1
		.amdhsa_memory_ordered 1
		.amdhsa_forward_progress 0
		.amdhsa_shared_vgpr_count 0
		.amdhsa_exception_fp_ieee_invalid_op 0
		.amdhsa_exception_fp_denorm_src 0
		.amdhsa_exception_fp_ieee_div_zero 0
		.amdhsa_exception_fp_ieee_overflow 0
		.amdhsa_exception_fp_ieee_underflow 0
		.amdhsa_exception_fp_ieee_inexact 0
		.amdhsa_exception_int_div_zero 0
	.end_amdhsa_kernel
	.section	.text._Z20sort_pairs_segmentedILj256ELj32ELj8ExN10test_utils4lessEEvPKT2_PS2_PKjT3_,"axG",@progbits,_Z20sort_pairs_segmentedILj256ELj32ELj8ExN10test_utils4lessEEvPKT2_PS2_PKjT3_,comdat
.Lfunc_end179:
	.size	_Z20sort_pairs_segmentedILj256ELj32ELj8ExN10test_utils4lessEEvPKT2_PS2_PKjT3_, .Lfunc_end179-_Z20sort_pairs_segmentedILj256ELj32ELj8ExN10test_utils4lessEEvPKT2_PS2_PKjT3_
                                        ; -- End function
	.section	.AMDGPU.csdata,"",@progbits
; Kernel info:
; codeLenInByte = 12664
; NumSgprs: 22
; NumVgprs: 73
; ScratchSize: 0
; MemoryBound: 0
; FloatMode: 240
; IeeeMode: 1
; LDSByteSize: 16448 bytes/workgroup (compile time only)
; SGPRBlocks: 2
; VGPRBlocks: 9
; NumSGPRsForWavesPerEU: 22
; NumVGPRsForWavesPerEU: 73
; Occupancy: 14
; WaveLimiterHint : 0
; COMPUTE_PGM_RSRC2:SCRATCH_EN: 0
; COMPUTE_PGM_RSRC2:USER_SGPR: 15
; COMPUTE_PGM_RSRC2:TRAP_HANDLER: 0
; COMPUTE_PGM_RSRC2:TGID_X_EN: 1
; COMPUTE_PGM_RSRC2:TGID_Y_EN: 0
; COMPUTE_PGM_RSRC2:TGID_Z_EN: 0
; COMPUTE_PGM_RSRC2:TIDIG_COMP_CNT: 0
	.section	.text._Z9sort_keysILj256ELj64ELj1ExN10test_utils4lessEEvPKT2_PS2_T3_,"axG",@progbits,_Z9sort_keysILj256ELj64ELj1ExN10test_utils4lessEEvPKT2_PS2_T3_,comdat
	.protected	_Z9sort_keysILj256ELj64ELj1ExN10test_utils4lessEEvPKT2_PS2_T3_ ; -- Begin function _Z9sort_keysILj256ELj64ELj1ExN10test_utils4lessEEvPKT2_PS2_T3_
	.globl	_Z9sort_keysILj256ELj64ELj1ExN10test_utils4lessEEvPKT2_PS2_T3_
	.p2align	8
	.type	_Z9sort_keysILj256ELj64ELj1ExN10test_utils4lessEEvPKT2_PS2_T3_,@function
_Z9sort_keysILj256ELj64ELj1ExN10test_utils4lessEEvPKT2_PS2_T3_: ; @_Z9sort_keysILj256ELj64ELj1ExN10test_utils4lessEEvPKT2_PS2_T3_
; %bb.0:
	s_endpgm
	.section	.rodata,"a",@progbits
	.p2align	6, 0x0
	.amdhsa_kernel _Z9sort_keysILj256ELj64ELj1ExN10test_utils4lessEEvPKT2_PS2_T3_
		.amdhsa_group_segment_fixed_size 0
		.amdhsa_private_segment_fixed_size 0
		.amdhsa_kernarg_size 20
		.amdhsa_user_sgpr_count 15
		.amdhsa_user_sgpr_dispatch_ptr 0
		.amdhsa_user_sgpr_queue_ptr 0
		.amdhsa_user_sgpr_kernarg_segment_ptr 1
		.amdhsa_user_sgpr_dispatch_id 0
		.amdhsa_user_sgpr_private_segment_size 0
		.amdhsa_wavefront_size32 1
		.amdhsa_uses_dynamic_stack 0
		.amdhsa_enable_private_segment 0
		.amdhsa_system_sgpr_workgroup_id_x 1
		.amdhsa_system_sgpr_workgroup_id_y 0
		.amdhsa_system_sgpr_workgroup_id_z 0
		.amdhsa_system_sgpr_workgroup_info 0
		.amdhsa_system_vgpr_workitem_id 0
		.amdhsa_next_free_vgpr 1
		.amdhsa_next_free_sgpr 1
		.amdhsa_reserve_vcc 0
		.amdhsa_float_round_mode_32 0
		.amdhsa_float_round_mode_16_64 0
		.amdhsa_float_denorm_mode_32 3
		.amdhsa_float_denorm_mode_16_64 3
		.amdhsa_dx10_clamp 1
		.amdhsa_ieee_mode 1
		.amdhsa_fp16_overflow 0
		.amdhsa_workgroup_processor_mode 1
		.amdhsa_memory_ordered 1
		.amdhsa_forward_progress 0
		.amdhsa_shared_vgpr_count 0
		.amdhsa_exception_fp_ieee_invalid_op 0
		.amdhsa_exception_fp_denorm_src 0
		.amdhsa_exception_fp_ieee_div_zero 0
		.amdhsa_exception_fp_ieee_overflow 0
		.amdhsa_exception_fp_ieee_underflow 0
		.amdhsa_exception_fp_ieee_inexact 0
		.amdhsa_exception_int_div_zero 0
	.end_amdhsa_kernel
	.section	.text._Z9sort_keysILj256ELj64ELj1ExN10test_utils4lessEEvPKT2_PS2_T3_,"axG",@progbits,_Z9sort_keysILj256ELj64ELj1ExN10test_utils4lessEEvPKT2_PS2_T3_,comdat
.Lfunc_end180:
	.size	_Z9sort_keysILj256ELj64ELj1ExN10test_utils4lessEEvPKT2_PS2_T3_, .Lfunc_end180-_Z9sort_keysILj256ELj64ELj1ExN10test_utils4lessEEvPKT2_PS2_T3_
                                        ; -- End function
	.section	.AMDGPU.csdata,"",@progbits
; Kernel info:
; codeLenInByte = 4
; NumSgprs: 0
; NumVgprs: 0
; ScratchSize: 0
; MemoryBound: 0
; FloatMode: 240
; IeeeMode: 1
; LDSByteSize: 0 bytes/workgroup (compile time only)
; SGPRBlocks: 0
; VGPRBlocks: 0
; NumSGPRsForWavesPerEU: 1
; NumVGPRsForWavesPerEU: 1
; Occupancy: 16
; WaveLimiterHint : 0
; COMPUTE_PGM_RSRC2:SCRATCH_EN: 0
; COMPUTE_PGM_RSRC2:USER_SGPR: 15
; COMPUTE_PGM_RSRC2:TRAP_HANDLER: 0
; COMPUTE_PGM_RSRC2:TGID_X_EN: 1
; COMPUTE_PGM_RSRC2:TGID_Y_EN: 0
; COMPUTE_PGM_RSRC2:TGID_Z_EN: 0
; COMPUTE_PGM_RSRC2:TIDIG_COMP_CNT: 0
	.section	.text._Z10sort_pairsILj256ELj64ELj1ExN10test_utils4lessEEvPKT2_PS2_T3_,"axG",@progbits,_Z10sort_pairsILj256ELj64ELj1ExN10test_utils4lessEEvPKT2_PS2_T3_,comdat
	.protected	_Z10sort_pairsILj256ELj64ELj1ExN10test_utils4lessEEvPKT2_PS2_T3_ ; -- Begin function _Z10sort_pairsILj256ELj64ELj1ExN10test_utils4lessEEvPKT2_PS2_T3_
	.globl	_Z10sort_pairsILj256ELj64ELj1ExN10test_utils4lessEEvPKT2_PS2_T3_
	.p2align	8
	.type	_Z10sort_pairsILj256ELj64ELj1ExN10test_utils4lessEEvPKT2_PS2_T3_,@function
_Z10sort_pairsILj256ELj64ELj1ExN10test_utils4lessEEvPKT2_PS2_T3_: ; @_Z10sort_pairsILj256ELj64ELj1ExN10test_utils4lessEEvPKT2_PS2_T3_
; %bb.0:
	s_endpgm
	.section	.rodata,"a",@progbits
	.p2align	6, 0x0
	.amdhsa_kernel _Z10sort_pairsILj256ELj64ELj1ExN10test_utils4lessEEvPKT2_PS2_T3_
		.amdhsa_group_segment_fixed_size 0
		.amdhsa_private_segment_fixed_size 0
		.amdhsa_kernarg_size 20
		.amdhsa_user_sgpr_count 15
		.amdhsa_user_sgpr_dispatch_ptr 0
		.amdhsa_user_sgpr_queue_ptr 0
		.amdhsa_user_sgpr_kernarg_segment_ptr 1
		.amdhsa_user_sgpr_dispatch_id 0
		.amdhsa_user_sgpr_private_segment_size 0
		.amdhsa_wavefront_size32 1
		.amdhsa_uses_dynamic_stack 0
		.amdhsa_enable_private_segment 0
		.amdhsa_system_sgpr_workgroup_id_x 1
		.amdhsa_system_sgpr_workgroup_id_y 0
		.amdhsa_system_sgpr_workgroup_id_z 0
		.amdhsa_system_sgpr_workgroup_info 0
		.amdhsa_system_vgpr_workitem_id 0
		.amdhsa_next_free_vgpr 1
		.amdhsa_next_free_sgpr 1
		.amdhsa_reserve_vcc 0
		.amdhsa_float_round_mode_32 0
		.amdhsa_float_round_mode_16_64 0
		.amdhsa_float_denorm_mode_32 3
		.amdhsa_float_denorm_mode_16_64 3
		.amdhsa_dx10_clamp 1
		.amdhsa_ieee_mode 1
		.amdhsa_fp16_overflow 0
		.amdhsa_workgroup_processor_mode 1
		.amdhsa_memory_ordered 1
		.amdhsa_forward_progress 0
		.amdhsa_shared_vgpr_count 0
		.amdhsa_exception_fp_ieee_invalid_op 0
		.amdhsa_exception_fp_denorm_src 0
		.amdhsa_exception_fp_ieee_div_zero 0
		.amdhsa_exception_fp_ieee_overflow 0
		.amdhsa_exception_fp_ieee_underflow 0
		.amdhsa_exception_fp_ieee_inexact 0
		.amdhsa_exception_int_div_zero 0
	.end_amdhsa_kernel
	.section	.text._Z10sort_pairsILj256ELj64ELj1ExN10test_utils4lessEEvPKT2_PS2_T3_,"axG",@progbits,_Z10sort_pairsILj256ELj64ELj1ExN10test_utils4lessEEvPKT2_PS2_T3_,comdat
.Lfunc_end181:
	.size	_Z10sort_pairsILj256ELj64ELj1ExN10test_utils4lessEEvPKT2_PS2_T3_, .Lfunc_end181-_Z10sort_pairsILj256ELj64ELj1ExN10test_utils4lessEEvPKT2_PS2_T3_
                                        ; -- End function
	.section	.AMDGPU.csdata,"",@progbits
; Kernel info:
; codeLenInByte = 4
; NumSgprs: 0
; NumVgprs: 0
; ScratchSize: 0
; MemoryBound: 0
; FloatMode: 240
; IeeeMode: 1
; LDSByteSize: 0 bytes/workgroup (compile time only)
; SGPRBlocks: 0
; VGPRBlocks: 0
; NumSGPRsForWavesPerEU: 1
; NumVGPRsForWavesPerEU: 1
; Occupancy: 16
; WaveLimiterHint : 0
; COMPUTE_PGM_RSRC2:SCRATCH_EN: 0
; COMPUTE_PGM_RSRC2:USER_SGPR: 15
; COMPUTE_PGM_RSRC2:TRAP_HANDLER: 0
; COMPUTE_PGM_RSRC2:TGID_X_EN: 1
; COMPUTE_PGM_RSRC2:TGID_Y_EN: 0
; COMPUTE_PGM_RSRC2:TGID_Z_EN: 0
; COMPUTE_PGM_RSRC2:TIDIG_COMP_CNT: 0
	.section	.text._Z19sort_keys_segmentedILj256ELj64ELj1ExN10test_utils4lessEEvPKT2_PS2_PKjT3_,"axG",@progbits,_Z19sort_keys_segmentedILj256ELj64ELj1ExN10test_utils4lessEEvPKT2_PS2_PKjT3_,comdat
	.protected	_Z19sort_keys_segmentedILj256ELj64ELj1ExN10test_utils4lessEEvPKT2_PS2_PKjT3_ ; -- Begin function _Z19sort_keys_segmentedILj256ELj64ELj1ExN10test_utils4lessEEvPKT2_PS2_PKjT3_
	.globl	_Z19sort_keys_segmentedILj256ELj64ELj1ExN10test_utils4lessEEvPKT2_PS2_PKjT3_
	.p2align	8
	.type	_Z19sort_keys_segmentedILj256ELj64ELj1ExN10test_utils4lessEEvPKT2_PS2_PKjT3_,@function
_Z19sort_keys_segmentedILj256ELj64ELj1ExN10test_utils4lessEEvPKT2_PS2_PKjT3_: ; @_Z19sort_keys_segmentedILj256ELj64ELj1ExN10test_utils4lessEEvPKT2_PS2_PKjT3_
; %bb.0:
	s_endpgm
	.section	.rodata,"a",@progbits
	.p2align	6, 0x0
	.amdhsa_kernel _Z19sort_keys_segmentedILj256ELj64ELj1ExN10test_utils4lessEEvPKT2_PS2_PKjT3_
		.amdhsa_group_segment_fixed_size 0
		.amdhsa_private_segment_fixed_size 0
		.amdhsa_kernarg_size 28
		.amdhsa_user_sgpr_count 15
		.amdhsa_user_sgpr_dispatch_ptr 0
		.amdhsa_user_sgpr_queue_ptr 0
		.amdhsa_user_sgpr_kernarg_segment_ptr 1
		.amdhsa_user_sgpr_dispatch_id 0
		.amdhsa_user_sgpr_private_segment_size 0
		.amdhsa_wavefront_size32 1
		.amdhsa_uses_dynamic_stack 0
		.amdhsa_enable_private_segment 0
		.amdhsa_system_sgpr_workgroup_id_x 1
		.amdhsa_system_sgpr_workgroup_id_y 0
		.amdhsa_system_sgpr_workgroup_id_z 0
		.amdhsa_system_sgpr_workgroup_info 0
		.amdhsa_system_vgpr_workitem_id 0
		.amdhsa_next_free_vgpr 1
		.amdhsa_next_free_sgpr 1
		.amdhsa_reserve_vcc 0
		.amdhsa_float_round_mode_32 0
		.amdhsa_float_round_mode_16_64 0
		.amdhsa_float_denorm_mode_32 3
		.amdhsa_float_denorm_mode_16_64 3
		.amdhsa_dx10_clamp 1
		.amdhsa_ieee_mode 1
		.amdhsa_fp16_overflow 0
		.amdhsa_workgroup_processor_mode 1
		.amdhsa_memory_ordered 1
		.amdhsa_forward_progress 0
		.amdhsa_shared_vgpr_count 0
		.amdhsa_exception_fp_ieee_invalid_op 0
		.amdhsa_exception_fp_denorm_src 0
		.amdhsa_exception_fp_ieee_div_zero 0
		.amdhsa_exception_fp_ieee_overflow 0
		.amdhsa_exception_fp_ieee_underflow 0
		.amdhsa_exception_fp_ieee_inexact 0
		.amdhsa_exception_int_div_zero 0
	.end_amdhsa_kernel
	.section	.text._Z19sort_keys_segmentedILj256ELj64ELj1ExN10test_utils4lessEEvPKT2_PS2_PKjT3_,"axG",@progbits,_Z19sort_keys_segmentedILj256ELj64ELj1ExN10test_utils4lessEEvPKT2_PS2_PKjT3_,comdat
.Lfunc_end182:
	.size	_Z19sort_keys_segmentedILj256ELj64ELj1ExN10test_utils4lessEEvPKT2_PS2_PKjT3_, .Lfunc_end182-_Z19sort_keys_segmentedILj256ELj64ELj1ExN10test_utils4lessEEvPKT2_PS2_PKjT3_
                                        ; -- End function
	.section	.AMDGPU.csdata,"",@progbits
; Kernel info:
; codeLenInByte = 4
; NumSgprs: 0
; NumVgprs: 0
; ScratchSize: 0
; MemoryBound: 0
; FloatMode: 240
; IeeeMode: 1
; LDSByteSize: 0 bytes/workgroup (compile time only)
; SGPRBlocks: 0
; VGPRBlocks: 0
; NumSGPRsForWavesPerEU: 1
; NumVGPRsForWavesPerEU: 1
; Occupancy: 16
; WaveLimiterHint : 0
; COMPUTE_PGM_RSRC2:SCRATCH_EN: 0
; COMPUTE_PGM_RSRC2:USER_SGPR: 15
; COMPUTE_PGM_RSRC2:TRAP_HANDLER: 0
; COMPUTE_PGM_RSRC2:TGID_X_EN: 1
; COMPUTE_PGM_RSRC2:TGID_Y_EN: 0
; COMPUTE_PGM_RSRC2:TGID_Z_EN: 0
; COMPUTE_PGM_RSRC2:TIDIG_COMP_CNT: 0
	.section	.text._Z20sort_pairs_segmentedILj256ELj64ELj1ExN10test_utils4lessEEvPKT2_PS2_PKjT3_,"axG",@progbits,_Z20sort_pairs_segmentedILj256ELj64ELj1ExN10test_utils4lessEEvPKT2_PS2_PKjT3_,comdat
	.protected	_Z20sort_pairs_segmentedILj256ELj64ELj1ExN10test_utils4lessEEvPKT2_PS2_PKjT3_ ; -- Begin function _Z20sort_pairs_segmentedILj256ELj64ELj1ExN10test_utils4lessEEvPKT2_PS2_PKjT3_
	.globl	_Z20sort_pairs_segmentedILj256ELj64ELj1ExN10test_utils4lessEEvPKT2_PS2_PKjT3_
	.p2align	8
	.type	_Z20sort_pairs_segmentedILj256ELj64ELj1ExN10test_utils4lessEEvPKT2_PS2_PKjT3_,@function
_Z20sort_pairs_segmentedILj256ELj64ELj1ExN10test_utils4lessEEvPKT2_PS2_PKjT3_: ; @_Z20sort_pairs_segmentedILj256ELj64ELj1ExN10test_utils4lessEEvPKT2_PS2_PKjT3_
; %bb.0:
	s_endpgm
	.section	.rodata,"a",@progbits
	.p2align	6, 0x0
	.amdhsa_kernel _Z20sort_pairs_segmentedILj256ELj64ELj1ExN10test_utils4lessEEvPKT2_PS2_PKjT3_
		.amdhsa_group_segment_fixed_size 0
		.amdhsa_private_segment_fixed_size 0
		.amdhsa_kernarg_size 28
		.amdhsa_user_sgpr_count 15
		.amdhsa_user_sgpr_dispatch_ptr 0
		.amdhsa_user_sgpr_queue_ptr 0
		.amdhsa_user_sgpr_kernarg_segment_ptr 1
		.amdhsa_user_sgpr_dispatch_id 0
		.amdhsa_user_sgpr_private_segment_size 0
		.amdhsa_wavefront_size32 1
		.amdhsa_uses_dynamic_stack 0
		.amdhsa_enable_private_segment 0
		.amdhsa_system_sgpr_workgroup_id_x 1
		.amdhsa_system_sgpr_workgroup_id_y 0
		.amdhsa_system_sgpr_workgroup_id_z 0
		.amdhsa_system_sgpr_workgroup_info 0
		.amdhsa_system_vgpr_workitem_id 0
		.amdhsa_next_free_vgpr 1
		.amdhsa_next_free_sgpr 1
		.amdhsa_reserve_vcc 0
		.amdhsa_float_round_mode_32 0
		.amdhsa_float_round_mode_16_64 0
		.amdhsa_float_denorm_mode_32 3
		.amdhsa_float_denorm_mode_16_64 3
		.amdhsa_dx10_clamp 1
		.amdhsa_ieee_mode 1
		.amdhsa_fp16_overflow 0
		.amdhsa_workgroup_processor_mode 1
		.amdhsa_memory_ordered 1
		.amdhsa_forward_progress 0
		.amdhsa_shared_vgpr_count 0
		.amdhsa_exception_fp_ieee_invalid_op 0
		.amdhsa_exception_fp_denorm_src 0
		.amdhsa_exception_fp_ieee_div_zero 0
		.amdhsa_exception_fp_ieee_overflow 0
		.amdhsa_exception_fp_ieee_underflow 0
		.amdhsa_exception_fp_ieee_inexact 0
		.amdhsa_exception_int_div_zero 0
	.end_amdhsa_kernel
	.section	.text._Z20sort_pairs_segmentedILj256ELj64ELj1ExN10test_utils4lessEEvPKT2_PS2_PKjT3_,"axG",@progbits,_Z20sort_pairs_segmentedILj256ELj64ELj1ExN10test_utils4lessEEvPKT2_PS2_PKjT3_,comdat
.Lfunc_end183:
	.size	_Z20sort_pairs_segmentedILj256ELj64ELj1ExN10test_utils4lessEEvPKT2_PS2_PKjT3_, .Lfunc_end183-_Z20sort_pairs_segmentedILj256ELj64ELj1ExN10test_utils4lessEEvPKT2_PS2_PKjT3_
                                        ; -- End function
	.section	.AMDGPU.csdata,"",@progbits
; Kernel info:
; codeLenInByte = 4
; NumSgprs: 0
; NumVgprs: 0
; ScratchSize: 0
; MemoryBound: 0
; FloatMode: 240
; IeeeMode: 1
; LDSByteSize: 0 bytes/workgroup (compile time only)
; SGPRBlocks: 0
; VGPRBlocks: 0
; NumSGPRsForWavesPerEU: 1
; NumVGPRsForWavesPerEU: 1
; Occupancy: 16
; WaveLimiterHint : 0
; COMPUTE_PGM_RSRC2:SCRATCH_EN: 0
; COMPUTE_PGM_RSRC2:USER_SGPR: 15
; COMPUTE_PGM_RSRC2:TRAP_HANDLER: 0
; COMPUTE_PGM_RSRC2:TGID_X_EN: 1
; COMPUTE_PGM_RSRC2:TGID_Y_EN: 0
; COMPUTE_PGM_RSRC2:TGID_Z_EN: 0
; COMPUTE_PGM_RSRC2:TIDIG_COMP_CNT: 0
	.section	.text._Z9sort_keysILj256ELj64ELj4ExN10test_utils4lessEEvPKT2_PS2_T3_,"axG",@progbits,_Z9sort_keysILj256ELj64ELj4ExN10test_utils4lessEEvPKT2_PS2_T3_,comdat
	.protected	_Z9sort_keysILj256ELj64ELj4ExN10test_utils4lessEEvPKT2_PS2_T3_ ; -- Begin function _Z9sort_keysILj256ELj64ELj4ExN10test_utils4lessEEvPKT2_PS2_T3_
	.globl	_Z9sort_keysILj256ELj64ELj4ExN10test_utils4lessEEvPKT2_PS2_T3_
	.p2align	8
	.type	_Z9sort_keysILj256ELj64ELj4ExN10test_utils4lessEEvPKT2_PS2_T3_,@function
_Z9sort_keysILj256ELj64ELj4ExN10test_utils4lessEEvPKT2_PS2_T3_: ; @_Z9sort_keysILj256ELj64ELj4ExN10test_utils4lessEEvPKT2_PS2_T3_
; %bb.0:
	s_endpgm
	.section	.rodata,"a",@progbits
	.p2align	6, 0x0
	.amdhsa_kernel _Z9sort_keysILj256ELj64ELj4ExN10test_utils4lessEEvPKT2_PS2_T3_
		.amdhsa_group_segment_fixed_size 0
		.amdhsa_private_segment_fixed_size 0
		.amdhsa_kernarg_size 20
		.amdhsa_user_sgpr_count 15
		.amdhsa_user_sgpr_dispatch_ptr 0
		.amdhsa_user_sgpr_queue_ptr 0
		.amdhsa_user_sgpr_kernarg_segment_ptr 1
		.amdhsa_user_sgpr_dispatch_id 0
		.amdhsa_user_sgpr_private_segment_size 0
		.amdhsa_wavefront_size32 1
		.amdhsa_uses_dynamic_stack 0
		.amdhsa_enable_private_segment 0
		.amdhsa_system_sgpr_workgroup_id_x 1
		.amdhsa_system_sgpr_workgroup_id_y 0
		.amdhsa_system_sgpr_workgroup_id_z 0
		.amdhsa_system_sgpr_workgroup_info 0
		.amdhsa_system_vgpr_workitem_id 0
		.amdhsa_next_free_vgpr 1
		.amdhsa_next_free_sgpr 1
		.amdhsa_reserve_vcc 0
		.amdhsa_float_round_mode_32 0
		.amdhsa_float_round_mode_16_64 0
		.amdhsa_float_denorm_mode_32 3
		.amdhsa_float_denorm_mode_16_64 3
		.amdhsa_dx10_clamp 1
		.amdhsa_ieee_mode 1
		.amdhsa_fp16_overflow 0
		.amdhsa_workgroup_processor_mode 1
		.amdhsa_memory_ordered 1
		.amdhsa_forward_progress 0
		.amdhsa_shared_vgpr_count 0
		.amdhsa_exception_fp_ieee_invalid_op 0
		.amdhsa_exception_fp_denorm_src 0
		.amdhsa_exception_fp_ieee_div_zero 0
		.amdhsa_exception_fp_ieee_overflow 0
		.amdhsa_exception_fp_ieee_underflow 0
		.amdhsa_exception_fp_ieee_inexact 0
		.amdhsa_exception_int_div_zero 0
	.end_amdhsa_kernel
	.section	.text._Z9sort_keysILj256ELj64ELj4ExN10test_utils4lessEEvPKT2_PS2_T3_,"axG",@progbits,_Z9sort_keysILj256ELj64ELj4ExN10test_utils4lessEEvPKT2_PS2_T3_,comdat
.Lfunc_end184:
	.size	_Z9sort_keysILj256ELj64ELj4ExN10test_utils4lessEEvPKT2_PS2_T3_, .Lfunc_end184-_Z9sort_keysILj256ELj64ELj4ExN10test_utils4lessEEvPKT2_PS2_T3_
                                        ; -- End function
	.section	.AMDGPU.csdata,"",@progbits
; Kernel info:
; codeLenInByte = 4
; NumSgprs: 0
; NumVgprs: 0
; ScratchSize: 0
; MemoryBound: 0
; FloatMode: 240
; IeeeMode: 1
; LDSByteSize: 0 bytes/workgroup (compile time only)
; SGPRBlocks: 0
; VGPRBlocks: 0
; NumSGPRsForWavesPerEU: 1
; NumVGPRsForWavesPerEU: 1
; Occupancy: 16
; WaveLimiterHint : 0
; COMPUTE_PGM_RSRC2:SCRATCH_EN: 0
; COMPUTE_PGM_RSRC2:USER_SGPR: 15
; COMPUTE_PGM_RSRC2:TRAP_HANDLER: 0
; COMPUTE_PGM_RSRC2:TGID_X_EN: 1
; COMPUTE_PGM_RSRC2:TGID_Y_EN: 0
; COMPUTE_PGM_RSRC2:TGID_Z_EN: 0
; COMPUTE_PGM_RSRC2:TIDIG_COMP_CNT: 0
	.section	.text._Z10sort_pairsILj256ELj64ELj4ExN10test_utils4lessEEvPKT2_PS2_T3_,"axG",@progbits,_Z10sort_pairsILj256ELj64ELj4ExN10test_utils4lessEEvPKT2_PS2_T3_,comdat
	.protected	_Z10sort_pairsILj256ELj64ELj4ExN10test_utils4lessEEvPKT2_PS2_T3_ ; -- Begin function _Z10sort_pairsILj256ELj64ELj4ExN10test_utils4lessEEvPKT2_PS2_T3_
	.globl	_Z10sort_pairsILj256ELj64ELj4ExN10test_utils4lessEEvPKT2_PS2_T3_
	.p2align	8
	.type	_Z10sort_pairsILj256ELj64ELj4ExN10test_utils4lessEEvPKT2_PS2_T3_,@function
_Z10sort_pairsILj256ELj64ELj4ExN10test_utils4lessEEvPKT2_PS2_T3_: ; @_Z10sort_pairsILj256ELj64ELj4ExN10test_utils4lessEEvPKT2_PS2_T3_
; %bb.0:
	s_endpgm
	.section	.rodata,"a",@progbits
	.p2align	6, 0x0
	.amdhsa_kernel _Z10sort_pairsILj256ELj64ELj4ExN10test_utils4lessEEvPKT2_PS2_T3_
		.amdhsa_group_segment_fixed_size 0
		.amdhsa_private_segment_fixed_size 0
		.amdhsa_kernarg_size 20
		.amdhsa_user_sgpr_count 15
		.amdhsa_user_sgpr_dispatch_ptr 0
		.amdhsa_user_sgpr_queue_ptr 0
		.amdhsa_user_sgpr_kernarg_segment_ptr 1
		.amdhsa_user_sgpr_dispatch_id 0
		.amdhsa_user_sgpr_private_segment_size 0
		.amdhsa_wavefront_size32 1
		.amdhsa_uses_dynamic_stack 0
		.amdhsa_enable_private_segment 0
		.amdhsa_system_sgpr_workgroup_id_x 1
		.amdhsa_system_sgpr_workgroup_id_y 0
		.amdhsa_system_sgpr_workgroup_id_z 0
		.amdhsa_system_sgpr_workgroup_info 0
		.amdhsa_system_vgpr_workitem_id 0
		.amdhsa_next_free_vgpr 1
		.amdhsa_next_free_sgpr 1
		.amdhsa_reserve_vcc 0
		.amdhsa_float_round_mode_32 0
		.amdhsa_float_round_mode_16_64 0
		.amdhsa_float_denorm_mode_32 3
		.amdhsa_float_denorm_mode_16_64 3
		.amdhsa_dx10_clamp 1
		.amdhsa_ieee_mode 1
		.amdhsa_fp16_overflow 0
		.amdhsa_workgroup_processor_mode 1
		.amdhsa_memory_ordered 1
		.amdhsa_forward_progress 0
		.amdhsa_shared_vgpr_count 0
		.amdhsa_exception_fp_ieee_invalid_op 0
		.amdhsa_exception_fp_denorm_src 0
		.amdhsa_exception_fp_ieee_div_zero 0
		.amdhsa_exception_fp_ieee_overflow 0
		.amdhsa_exception_fp_ieee_underflow 0
		.amdhsa_exception_fp_ieee_inexact 0
		.amdhsa_exception_int_div_zero 0
	.end_amdhsa_kernel
	.section	.text._Z10sort_pairsILj256ELj64ELj4ExN10test_utils4lessEEvPKT2_PS2_T3_,"axG",@progbits,_Z10sort_pairsILj256ELj64ELj4ExN10test_utils4lessEEvPKT2_PS2_T3_,comdat
.Lfunc_end185:
	.size	_Z10sort_pairsILj256ELj64ELj4ExN10test_utils4lessEEvPKT2_PS2_T3_, .Lfunc_end185-_Z10sort_pairsILj256ELj64ELj4ExN10test_utils4lessEEvPKT2_PS2_T3_
                                        ; -- End function
	.section	.AMDGPU.csdata,"",@progbits
; Kernel info:
; codeLenInByte = 4
; NumSgprs: 0
; NumVgprs: 0
; ScratchSize: 0
; MemoryBound: 0
; FloatMode: 240
; IeeeMode: 1
; LDSByteSize: 0 bytes/workgroup (compile time only)
; SGPRBlocks: 0
; VGPRBlocks: 0
; NumSGPRsForWavesPerEU: 1
; NumVGPRsForWavesPerEU: 1
; Occupancy: 16
; WaveLimiterHint : 0
; COMPUTE_PGM_RSRC2:SCRATCH_EN: 0
; COMPUTE_PGM_RSRC2:USER_SGPR: 15
; COMPUTE_PGM_RSRC2:TRAP_HANDLER: 0
; COMPUTE_PGM_RSRC2:TGID_X_EN: 1
; COMPUTE_PGM_RSRC2:TGID_Y_EN: 0
; COMPUTE_PGM_RSRC2:TGID_Z_EN: 0
; COMPUTE_PGM_RSRC2:TIDIG_COMP_CNT: 0
	.section	.text._Z19sort_keys_segmentedILj256ELj64ELj4ExN10test_utils4lessEEvPKT2_PS2_PKjT3_,"axG",@progbits,_Z19sort_keys_segmentedILj256ELj64ELj4ExN10test_utils4lessEEvPKT2_PS2_PKjT3_,comdat
	.protected	_Z19sort_keys_segmentedILj256ELj64ELj4ExN10test_utils4lessEEvPKT2_PS2_PKjT3_ ; -- Begin function _Z19sort_keys_segmentedILj256ELj64ELj4ExN10test_utils4lessEEvPKT2_PS2_PKjT3_
	.globl	_Z19sort_keys_segmentedILj256ELj64ELj4ExN10test_utils4lessEEvPKT2_PS2_PKjT3_
	.p2align	8
	.type	_Z19sort_keys_segmentedILj256ELj64ELj4ExN10test_utils4lessEEvPKT2_PS2_PKjT3_,@function
_Z19sort_keys_segmentedILj256ELj64ELj4ExN10test_utils4lessEEvPKT2_PS2_PKjT3_: ; @_Z19sort_keys_segmentedILj256ELj64ELj4ExN10test_utils4lessEEvPKT2_PS2_PKjT3_
; %bb.0:
	s_endpgm
	.section	.rodata,"a",@progbits
	.p2align	6, 0x0
	.amdhsa_kernel _Z19sort_keys_segmentedILj256ELj64ELj4ExN10test_utils4lessEEvPKT2_PS2_PKjT3_
		.amdhsa_group_segment_fixed_size 0
		.amdhsa_private_segment_fixed_size 0
		.amdhsa_kernarg_size 28
		.amdhsa_user_sgpr_count 15
		.amdhsa_user_sgpr_dispatch_ptr 0
		.amdhsa_user_sgpr_queue_ptr 0
		.amdhsa_user_sgpr_kernarg_segment_ptr 1
		.amdhsa_user_sgpr_dispatch_id 0
		.amdhsa_user_sgpr_private_segment_size 0
		.amdhsa_wavefront_size32 1
		.amdhsa_uses_dynamic_stack 0
		.amdhsa_enable_private_segment 0
		.amdhsa_system_sgpr_workgroup_id_x 1
		.amdhsa_system_sgpr_workgroup_id_y 0
		.amdhsa_system_sgpr_workgroup_id_z 0
		.amdhsa_system_sgpr_workgroup_info 0
		.amdhsa_system_vgpr_workitem_id 0
		.amdhsa_next_free_vgpr 1
		.amdhsa_next_free_sgpr 1
		.amdhsa_reserve_vcc 0
		.amdhsa_float_round_mode_32 0
		.amdhsa_float_round_mode_16_64 0
		.amdhsa_float_denorm_mode_32 3
		.amdhsa_float_denorm_mode_16_64 3
		.amdhsa_dx10_clamp 1
		.amdhsa_ieee_mode 1
		.amdhsa_fp16_overflow 0
		.amdhsa_workgroup_processor_mode 1
		.amdhsa_memory_ordered 1
		.amdhsa_forward_progress 0
		.amdhsa_shared_vgpr_count 0
		.amdhsa_exception_fp_ieee_invalid_op 0
		.amdhsa_exception_fp_denorm_src 0
		.amdhsa_exception_fp_ieee_div_zero 0
		.amdhsa_exception_fp_ieee_overflow 0
		.amdhsa_exception_fp_ieee_underflow 0
		.amdhsa_exception_fp_ieee_inexact 0
		.amdhsa_exception_int_div_zero 0
	.end_amdhsa_kernel
	.section	.text._Z19sort_keys_segmentedILj256ELj64ELj4ExN10test_utils4lessEEvPKT2_PS2_PKjT3_,"axG",@progbits,_Z19sort_keys_segmentedILj256ELj64ELj4ExN10test_utils4lessEEvPKT2_PS2_PKjT3_,comdat
.Lfunc_end186:
	.size	_Z19sort_keys_segmentedILj256ELj64ELj4ExN10test_utils4lessEEvPKT2_PS2_PKjT3_, .Lfunc_end186-_Z19sort_keys_segmentedILj256ELj64ELj4ExN10test_utils4lessEEvPKT2_PS2_PKjT3_
                                        ; -- End function
	.section	.AMDGPU.csdata,"",@progbits
; Kernel info:
; codeLenInByte = 4
; NumSgprs: 0
; NumVgprs: 0
; ScratchSize: 0
; MemoryBound: 0
; FloatMode: 240
; IeeeMode: 1
; LDSByteSize: 0 bytes/workgroup (compile time only)
; SGPRBlocks: 0
; VGPRBlocks: 0
; NumSGPRsForWavesPerEU: 1
; NumVGPRsForWavesPerEU: 1
; Occupancy: 16
; WaveLimiterHint : 0
; COMPUTE_PGM_RSRC2:SCRATCH_EN: 0
; COMPUTE_PGM_RSRC2:USER_SGPR: 15
; COMPUTE_PGM_RSRC2:TRAP_HANDLER: 0
; COMPUTE_PGM_RSRC2:TGID_X_EN: 1
; COMPUTE_PGM_RSRC2:TGID_Y_EN: 0
; COMPUTE_PGM_RSRC2:TGID_Z_EN: 0
; COMPUTE_PGM_RSRC2:TIDIG_COMP_CNT: 0
	.section	.text._Z20sort_pairs_segmentedILj256ELj64ELj4ExN10test_utils4lessEEvPKT2_PS2_PKjT3_,"axG",@progbits,_Z20sort_pairs_segmentedILj256ELj64ELj4ExN10test_utils4lessEEvPKT2_PS2_PKjT3_,comdat
	.protected	_Z20sort_pairs_segmentedILj256ELj64ELj4ExN10test_utils4lessEEvPKT2_PS2_PKjT3_ ; -- Begin function _Z20sort_pairs_segmentedILj256ELj64ELj4ExN10test_utils4lessEEvPKT2_PS2_PKjT3_
	.globl	_Z20sort_pairs_segmentedILj256ELj64ELj4ExN10test_utils4lessEEvPKT2_PS2_PKjT3_
	.p2align	8
	.type	_Z20sort_pairs_segmentedILj256ELj64ELj4ExN10test_utils4lessEEvPKT2_PS2_PKjT3_,@function
_Z20sort_pairs_segmentedILj256ELj64ELj4ExN10test_utils4lessEEvPKT2_PS2_PKjT3_: ; @_Z20sort_pairs_segmentedILj256ELj64ELj4ExN10test_utils4lessEEvPKT2_PS2_PKjT3_
; %bb.0:
	s_endpgm
	.section	.rodata,"a",@progbits
	.p2align	6, 0x0
	.amdhsa_kernel _Z20sort_pairs_segmentedILj256ELj64ELj4ExN10test_utils4lessEEvPKT2_PS2_PKjT3_
		.amdhsa_group_segment_fixed_size 0
		.amdhsa_private_segment_fixed_size 0
		.amdhsa_kernarg_size 28
		.amdhsa_user_sgpr_count 15
		.amdhsa_user_sgpr_dispatch_ptr 0
		.amdhsa_user_sgpr_queue_ptr 0
		.amdhsa_user_sgpr_kernarg_segment_ptr 1
		.amdhsa_user_sgpr_dispatch_id 0
		.amdhsa_user_sgpr_private_segment_size 0
		.amdhsa_wavefront_size32 1
		.amdhsa_uses_dynamic_stack 0
		.amdhsa_enable_private_segment 0
		.amdhsa_system_sgpr_workgroup_id_x 1
		.amdhsa_system_sgpr_workgroup_id_y 0
		.amdhsa_system_sgpr_workgroup_id_z 0
		.amdhsa_system_sgpr_workgroup_info 0
		.amdhsa_system_vgpr_workitem_id 0
		.amdhsa_next_free_vgpr 1
		.amdhsa_next_free_sgpr 1
		.amdhsa_reserve_vcc 0
		.amdhsa_float_round_mode_32 0
		.amdhsa_float_round_mode_16_64 0
		.amdhsa_float_denorm_mode_32 3
		.amdhsa_float_denorm_mode_16_64 3
		.amdhsa_dx10_clamp 1
		.amdhsa_ieee_mode 1
		.amdhsa_fp16_overflow 0
		.amdhsa_workgroup_processor_mode 1
		.amdhsa_memory_ordered 1
		.amdhsa_forward_progress 0
		.amdhsa_shared_vgpr_count 0
		.amdhsa_exception_fp_ieee_invalid_op 0
		.amdhsa_exception_fp_denorm_src 0
		.amdhsa_exception_fp_ieee_div_zero 0
		.amdhsa_exception_fp_ieee_overflow 0
		.amdhsa_exception_fp_ieee_underflow 0
		.amdhsa_exception_fp_ieee_inexact 0
		.amdhsa_exception_int_div_zero 0
	.end_amdhsa_kernel
	.section	.text._Z20sort_pairs_segmentedILj256ELj64ELj4ExN10test_utils4lessEEvPKT2_PS2_PKjT3_,"axG",@progbits,_Z20sort_pairs_segmentedILj256ELj64ELj4ExN10test_utils4lessEEvPKT2_PS2_PKjT3_,comdat
.Lfunc_end187:
	.size	_Z20sort_pairs_segmentedILj256ELj64ELj4ExN10test_utils4lessEEvPKT2_PS2_PKjT3_, .Lfunc_end187-_Z20sort_pairs_segmentedILj256ELj64ELj4ExN10test_utils4lessEEvPKT2_PS2_PKjT3_
                                        ; -- End function
	.section	.AMDGPU.csdata,"",@progbits
; Kernel info:
; codeLenInByte = 4
; NumSgprs: 0
; NumVgprs: 0
; ScratchSize: 0
; MemoryBound: 0
; FloatMode: 240
; IeeeMode: 1
; LDSByteSize: 0 bytes/workgroup (compile time only)
; SGPRBlocks: 0
; VGPRBlocks: 0
; NumSGPRsForWavesPerEU: 1
; NumVGPRsForWavesPerEU: 1
; Occupancy: 16
; WaveLimiterHint : 0
; COMPUTE_PGM_RSRC2:SCRATCH_EN: 0
; COMPUTE_PGM_RSRC2:USER_SGPR: 15
; COMPUTE_PGM_RSRC2:TRAP_HANDLER: 0
; COMPUTE_PGM_RSRC2:TGID_X_EN: 1
; COMPUTE_PGM_RSRC2:TGID_Y_EN: 0
; COMPUTE_PGM_RSRC2:TGID_Z_EN: 0
; COMPUTE_PGM_RSRC2:TIDIG_COMP_CNT: 0
	.section	.text._Z9sort_keysILj256ELj64ELj8ExN10test_utils4lessEEvPKT2_PS2_T3_,"axG",@progbits,_Z9sort_keysILj256ELj64ELj8ExN10test_utils4lessEEvPKT2_PS2_T3_,comdat
	.protected	_Z9sort_keysILj256ELj64ELj8ExN10test_utils4lessEEvPKT2_PS2_T3_ ; -- Begin function _Z9sort_keysILj256ELj64ELj8ExN10test_utils4lessEEvPKT2_PS2_T3_
	.globl	_Z9sort_keysILj256ELj64ELj8ExN10test_utils4lessEEvPKT2_PS2_T3_
	.p2align	8
	.type	_Z9sort_keysILj256ELj64ELj8ExN10test_utils4lessEEvPKT2_PS2_T3_,@function
_Z9sort_keysILj256ELj64ELj8ExN10test_utils4lessEEvPKT2_PS2_T3_: ; @_Z9sort_keysILj256ELj64ELj8ExN10test_utils4lessEEvPKT2_PS2_T3_
; %bb.0:
	s_endpgm
	.section	.rodata,"a",@progbits
	.p2align	6, 0x0
	.amdhsa_kernel _Z9sort_keysILj256ELj64ELj8ExN10test_utils4lessEEvPKT2_PS2_T3_
		.amdhsa_group_segment_fixed_size 0
		.amdhsa_private_segment_fixed_size 0
		.amdhsa_kernarg_size 20
		.amdhsa_user_sgpr_count 15
		.amdhsa_user_sgpr_dispatch_ptr 0
		.amdhsa_user_sgpr_queue_ptr 0
		.amdhsa_user_sgpr_kernarg_segment_ptr 1
		.amdhsa_user_sgpr_dispatch_id 0
		.amdhsa_user_sgpr_private_segment_size 0
		.amdhsa_wavefront_size32 1
		.amdhsa_uses_dynamic_stack 0
		.amdhsa_enable_private_segment 0
		.amdhsa_system_sgpr_workgroup_id_x 1
		.amdhsa_system_sgpr_workgroup_id_y 0
		.amdhsa_system_sgpr_workgroup_id_z 0
		.amdhsa_system_sgpr_workgroup_info 0
		.amdhsa_system_vgpr_workitem_id 0
		.amdhsa_next_free_vgpr 1
		.amdhsa_next_free_sgpr 1
		.amdhsa_reserve_vcc 0
		.amdhsa_float_round_mode_32 0
		.amdhsa_float_round_mode_16_64 0
		.amdhsa_float_denorm_mode_32 3
		.amdhsa_float_denorm_mode_16_64 3
		.amdhsa_dx10_clamp 1
		.amdhsa_ieee_mode 1
		.amdhsa_fp16_overflow 0
		.amdhsa_workgroup_processor_mode 1
		.amdhsa_memory_ordered 1
		.amdhsa_forward_progress 0
		.amdhsa_shared_vgpr_count 0
		.amdhsa_exception_fp_ieee_invalid_op 0
		.amdhsa_exception_fp_denorm_src 0
		.amdhsa_exception_fp_ieee_div_zero 0
		.amdhsa_exception_fp_ieee_overflow 0
		.amdhsa_exception_fp_ieee_underflow 0
		.amdhsa_exception_fp_ieee_inexact 0
		.amdhsa_exception_int_div_zero 0
	.end_amdhsa_kernel
	.section	.text._Z9sort_keysILj256ELj64ELj8ExN10test_utils4lessEEvPKT2_PS2_T3_,"axG",@progbits,_Z9sort_keysILj256ELj64ELj8ExN10test_utils4lessEEvPKT2_PS2_T3_,comdat
.Lfunc_end188:
	.size	_Z9sort_keysILj256ELj64ELj8ExN10test_utils4lessEEvPKT2_PS2_T3_, .Lfunc_end188-_Z9sort_keysILj256ELj64ELj8ExN10test_utils4lessEEvPKT2_PS2_T3_
                                        ; -- End function
	.section	.AMDGPU.csdata,"",@progbits
; Kernel info:
; codeLenInByte = 4
; NumSgprs: 0
; NumVgprs: 0
; ScratchSize: 0
; MemoryBound: 0
; FloatMode: 240
; IeeeMode: 1
; LDSByteSize: 0 bytes/workgroup (compile time only)
; SGPRBlocks: 0
; VGPRBlocks: 0
; NumSGPRsForWavesPerEU: 1
; NumVGPRsForWavesPerEU: 1
; Occupancy: 16
; WaveLimiterHint : 0
; COMPUTE_PGM_RSRC2:SCRATCH_EN: 0
; COMPUTE_PGM_RSRC2:USER_SGPR: 15
; COMPUTE_PGM_RSRC2:TRAP_HANDLER: 0
; COMPUTE_PGM_RSRC2:TGID_X_EN: 1
; COMPUTE_PGM_RSRC2:TGID_Y_EN: 0
; COMPUTE_PGM_RSRC2:TGID_Z_EN: 0
; COMPUTE_PGM_RSRC2:TIDIG_COMP_CNT: 0
	.section	.text._Z10sort_pairsILj256ELj64ELj8ExN10test_utils4lessEEvPKT2_PS2_T3_,"axG",@progbits,_Z10sort_pairsILj256ELj64ELj8ExN10test_utils4lessEEvPKT2_PS2_T3_,comdat
	.protected	_Z10sort_pairsILj256ELj64ELj8ExN10test_utils4lessEEvPKT2_PS2_T3_ ; -- Begin function _Z10sort_pairsILj256ELj64ELj8ExN10test_utils4lessEEvPKT2_PS2_T3_
	.globl	_Z10sort_pairsILj256ELj64ELj8ExN10test_utils4lessEEvPKT2_PS2_T3_
	.p2align	8
	.type	_Z10sort_pairsILj256ELj64ELj8ExN10test_utils4lessEEvPKT2_PS2_T3_,@function
_Z10sort_pairsILj256ELj64ELj8ExN10test_utils4lessEEvPKT2_PS2_T3_: ; @_Z10sort_pairsILj256ELj64ELj8ExN10test_utils4lessEEvPKT2_PS2_T3_
; %bb.0:
	s_endpgm
	.section	.rodata,"a",@progbits
	.p2align	6, 0x0
	.amdhsa_kernel _Z10sort_pairsILj256ELj64ELj8ExN10test_utils4lessEEvPKT2_PS2_T3_
		.amdhsa_group_segment_fixed_size 0
		.amdhsa_private_segment_fixed_size 0
		.amdhsa_kernarg_size 20
		.amdhsa_user_sgpr_count 15
		.amdhsa_user_sgpr_dispatch_ptr 0
		.amdhsa_user_sgpr_queue_ptr 0
		.amdhsa_user_sgpr_kernarg_segment_ptr 1
		.amdhsa_user_sgpr_dispatch_id 0
		.amdhsa_user_sgpr_private_segment_size 0
		.amdhsa_wavefront_size32 1
		.amdhsa_uses_dynamic_stack 0
		.amdhsa_enable_private_segment 0
		.amdhsa_system_sgpr_workgroup_id_x 1
		.amdhsa_system_sgpr_workgroup_id_y 0
		.amdhsa_system_sgpr_workgroup_id_z 0
		.amdhsa_system_sgpr_workgroup_info 0
		.amdhsa_system_vgpr_workitem_id 0
		.amdhsa_next_free_vgpr 1
		.amdhsa_next_free_sgpr 1
		.amdhsa_reserve_vcc 0
		.amdhsa_float_round_mode_32 0
		.amdhsa_float_round_mode_16_64 0
		.amdhsa_float_denorm_mode_32 3
		.amdhsa_float_denorm_mode_16_64 3
		.amdhsa_dx10_clamp 1
		.amdhsa_ieee_mode 1
		.amdhsa_fp16_overflow 0
		.amdhsa_workgroup_processor_mode 1
		.amdhsa_memory_ordered 1
		.amdhsa_forward_progress 0
		.amdhsa_shared_vgpr_count 0
		.amdhsa_exception_fp_ieee_invalid_op 0
		.amdhsa_exception_fp_denorm_src 0
		.amdhsa_exception_fp_ieee_div_zero 0
		.amdhsa_exception_fp_ieee_overflow 0
		.amdhsa_exception_fp_ieee_underflow 0
		.amdhsa_exception_fp_ieee_inexact 0
		.amdhsa_exception_int_div_zero 0
	.end_amdhsa_kernel
	.section	.text._Z10sort_pairsILj256ELj64ELj8ExN10test_utils4lessEEvPKT2_PS2_T3_,"axG",@progbits,_Z10sort_pairsILj256ELj64ELj8ExN10test_utils4lessEEvPKT2_PS2_T3_,comdat
.Lfunc_end189:
	.size	_Z10sort_pairsILj256ELj64ELj8ExN10test_utils4lessEEvPKT2_PS2_T3_, .Lfunc_end189-_Z10sort_pairsILj256ELj64ELj8ExN10test_utils4lessEEvPKT2_PS2_T3_
                                        ; -- End function
	.section	.AMDGPU.csdata,"",@progbits
; Kernel info:
; codeLenInByte = 4
; NumSgprs: 0
; NumVgprs: 0
; ScratchSize: 0
; MemoryBound: 0
; FloatMode: 240
; IeeeMode: 1
; LDSByteSize: 0 bytes/workgroup (compile time only)
; SGPRBlocks: 0
; VGPRBlocks: 0
; NumSGPRsForWavesPerEU: 1
; NumVGPRsForWavesPerEU: 1
; Occupancy: 16
; WaveLimiterHint : 0
; COMPUTE_PGM_RSRC2:SCRATCH_EN: 0
; COMPUTE_PGM_RSRC2:USER_SGPR: 15
; COMPUTE_PGM_RSRC2:TRAP_HANDLER: 0
; COMPUTE_PGM_RSRC2:TGID_X_EN: 1
; COMPUTE_PGM_RSRC2:TGID_Y_EN: 0
; COMPUTE_PGM_RSRC2:TGID_Z_EN: 0
; COMPUTE_PGM_RSRC2:TIDIG_COMP_CNT: 0
	.section	.text._Z19sort_keys_segmentedILj256ELj64ELj8ExN10test_utils4lessEEvPKT2_PS2_PKjT3_,"axG",@progbits,_Z19sort_keys_segmentedILj256ELj64ELj8ExN10test_utils4lessEEvPKT2_PS2_PKjT3_,comdat
	.protected	_Z19sort_keys_segmentedILj256ELj64ELj8ExN10test_utils4lessEEvPKT2_PS2_PKjT3_ ; -- Begin function _Z19sort_keys_segmentedILj256ELj64ELj8ExN10test_utils4lessEEvPKT2_PS2_PKjT3_
	.globl	_Z19sort_keys_segmentedILj256ELj64ELj8ExN10test_utils4lessEEvPKT2_PS2_PKjT3_
	.p2align	8
	.type	_Z19sort_keys_segmentedILj256ELj64ELj8ExN10test_utils4lessEEvPKT2_PS2_PKjT3_,@function
_Z19sort_keys_segmentedILj256ELj64ELj8ExN10test_utils4lessEEvPKT2_PS2_PKjT3_: ; @_Z19sort_keys_segmentedILj256ELj64ELj8ExN10test_utils4lessEEvPKT2_PS2_PKjT3_
; %bb.0:
	s_endpgm
	.section	.rodata,"a",@progbits
	.p2align	6, 0x0
	.amdhsa_kernel _Z19sort_keys_segmentedILj256ELj64ELj8ExN10test_utils4lessEEvPKT2_PS2_PKjT3_
		.amdhsa_group_segment_fixed_size 0
		.amdhsa_private_segment_fixed_size 0
		.amdhsa_kernarg_size 28
		.amdhsa_user_sgpr_count 15
		.amdhsa_user_sgpr_dispatch_ptr 0
		.amdhsa_user_sgpr_queue_ptr 0
		.amdhsa_user_sgpr_kernarg_segment_ptr 1
		.amdhsa_user_sgpr_dispatch_id 0
		.amdhsa_user_sgpr_private_segment_size 0
		.amdhsa_wavefront_size32 1
		.amdhsa_uses_dynamic_stack 0
		.amdhsa_enable_private_segment 0
		.amdhsa_system_sgpr_workgroup_id_x 1
		.amdhsa_system_sgpr_workgroup_id_y 0
		.amdhsa_system_sgpr_workgroup_id_z 0
		.amdhsa_system_sgpr_workgroup_info 0
		.amdhsa_system_vgpr_workitem_id 0
		.amdhsa_next_free_vgpr 1
		.amdhsa_next_free_sgpr 1
		.amdhsa_reserve_vcc 0
		.amdhsa_float_round_mode_32 0
		.amdhsa_float_round_mode_16_64 0
		.amdhsa_float_denorm_mode_32 3
		.amdhsa_float_denorm_mode_16_64 3
		.amdhsa_dx10_clamp 1
		.amdhsa_ieee_mode 1
		.amdhsa_fp16_overflow 0
		.amdhsa_workgroup_processor_mode 1
		.amdhsa_memory_ordered 1
		.amdhsa_forward_progress 0
		.amdhsa_shared_vgpr_count 0
		.amdhsa_exception_fp_ieee_invalid_op 0
		.amdhsa_exception_fp_denorm_src 0
		.amdhsa_exception_fp_ieee_div_zero 0
		.amdhsa_exception_fp_ieee_overflow 0
		.amdhsa_exception_fp_ieee_underflow 0
		.amdhsa_exception_fp_ieee_inexact 0
		.amdhsa_exception_int_div_zero 0
	.end_amdhsa_kernel
	.section	.text._Z19sort_keys_segmentedILj256ELj64ELj8ExN10test_utils4lessEEvPKT2_PS2_PKjT3_,"axG",@progbits,_Z19sort_keys_segmentedILj256ELj64ELj8ExN10test_utils4lessEEvPKT2_PS2_PKjT3_,comdat
.Lfunc_end190:
	.size	_Z19sort_keys_segmentedILj256ELj64ELj8ExN10test_utils4lessEEvPKT2_PS2_PKjT3_, .Lfunc_end190-_Z19sort_keys_segmentedILj256ELj64ELj8ExN10test_utils4lessEEvPKT2_PS2_PKjT3_
                                        ; -- End function
	.section	.AMDGPU.csdata,"",@progbits
; Kernel info:
; codeLenInByte = 4
; NumSgprs: 0
; NumVgprs: 0
; ScratchSize: 0
; MemoryBound: 0
; FloatMode: 240
; IeeeMode: 1
; LDSByteSize: 0 bytes/workgroup (compile time only)
; SGPRBlocks: 0
; VGPRBlocks: 0
; NumSGPRsForWavesPerEU: 1
; NumVGPRsForWavesPerEU: 1
; Occupancy: 16
; WaveLimiterHint : 0
; COMPUTE_PGM_RSRC2:SCRATCH_EN: 0
; COMPUTE_PGM_RSRC2:USER_SGPR: 15
; COMPUTE_PGM_RSRC2:TRAP_HANDLER: 0
; COMPUTE_PGM_RSRC2:TGID_X_EN: 1
; COMPUTE_PGM_RSRC2:TGID_Y_EN: 0
; COMPUTE_PGM_RSRC2:TGID_Z_EN: 0
; COMPUTE_PGM_RSRC2:TIDIG_COMP_CNT: 0
	.section	.text._Z20sort_pairs_segmentedILj256ELj64ELj8ExN10test_utils4lessEEvPKT2_PS2_PKjT3_,"axG",@progbits,_Z20sort_pairs_segmentedILj256ELj64ELj8ExN10test_utils4lessEEvPKT2_PS2_PKjT3_,comdat
	.protected	_Z20sort_pairs_segmentedILj256ELj64ELj8ExN10test_utils4lessEEvPKT2_PS2_PKjT3_ ; -- Begin function _Z20sort_pairs_segmentedILj256ELj64ELj8ExN10test_utils4lessEEvPKT2_PS2_PKjT3_
	.globl	_Z20sort_pairs_segmentedILj256ELj64ELj8ExN10test_utils4lessEEvPKT2_PS2_PKjT3_
	.p2align	8
	.type	_Z20sort_pairs_segmentedILj256ELj64ELj8ExN10test_utils4lessEEvPKT2_PS2_PKjT3_,@function
_Z20sort_pairs_segmentedILj256ELj64ELj8ExN10test_utils4lessEEvPKT2_PS2_PKjT3_: ; @_Z20sort_pairs_segmentedILj256ELj64ELj8ExN10test_utils4lessEEvPKT2_PS2_PKjT3_
; %bb.0:
	s_endpgm
	.section	.rodata,"a",@progbits
	.p2align	6, 0x0
	.amdhsa_kernel _Z20sort_pairs_segmentedILj256ELj64ELj8ExN10test_utils4lessEEvPKT2_PS2_PKjT3_
		.amdhsa_group_segment_fixed_size 0
		.amdhsa_private_segment_fixed_size 0
		.amdhsa_kernarg_size 28
		.amdhsa_user_sgpr_count 15
		.amdhsa_user_sgpr_dispatch_ptr 0
		.amdhsa_user_sgpr_queue_ptr 0
		.amdhsa_user_sgpr_kernarg_segment_ptr 1
		.amdhsa_user_sgpr_dispatch_id 0
		.amdhsa_user_sgpr_private_segment_size 0
		.amdhsa_wavefront_size32 1
		.amdhsa_uses_dynamic_stack 0
		.amdhsa_enable_private_segment 0
		.amdhsa_system_sgpr_workgroup_id_x 1
		.amdhsa_system_sgpr_workgroup_id_y 0
		.amdhsa_system_sgpr_workgroup_id_z 0
		.amdhsa_system_sgpr_workgroup_info 0
		.amdhsa_system_vgpr_workitem_id 0
		.amdhsa_next_free_vgpr 1
		.amdhsa_next_free_sgpr 1
		.amdhsa_reserve_vcc 0
		.amdhsa_float_round_mode_32 0
		.amdhsa_float_round_mode_16_64 0
		.amdhsa_float_denorm_mode_32 3
		.amdhsa_float_denorm_mode_16_64 3
		.amdhsa_dx10_clamp 1
		.amdhsa_ieee_mode 1
		.amdhsa_fp16_overflow 0
		.amdhsa_workgroup_processor_mode 1
		.amdhsa_memory_ordered 1
		.amdhsa_forward_progress 0
		.amdhsa_shared_vgpr_count 0
		.amdhsa_exception_fp_ieee_invalid_op 0
		.amdhsa_exception_fp_denorm_src 0
		.amdhsa_exception_fp_ieee_div_zero 0
		.amdhsa_exception_fp_ieee_overflow 0
		.amdhsa_exception_fp_ieee_underflow 0
		.amdhsa_exception_fp_ieee_inexact 0
		.amdhsa_exception_int_div_zero 0
	.end_amdhsa_kernel
	.section	.text._Z20sort_pairs_segmentedILj256ELj64ELj8ExN10test_utils4lessEEvPKT2_PS2_PKjT3_,"axG",@progbits,_Z20sort_pairs_segmentedILj256ELj64ELj8ExN10test_utils4lessEEvPKT2_PS2_PKjT3_,comdat
.Lfunc_end191:
	.size	_Z20sort_pairs_segmentedILj256ELj64ELj8ExN10test_utils4lessEEvPKT2_PS2_PKjT3_, .Lfunc_end191-_Z20sort_pairs_segmentedILj256ELj64ELj8ExN10test_utils4lessEEvPKT2_PS2_PKjT3_
                                        ; -- End function
	.section	.AMDGPU.csdata,"",@progbits
; Kernel info:
; codeLenInByte = 4
; NumSgprs: 0
; NumVgprs: 0
; ScratchSize: 0
; MemoryBound: 0
; FloatMode: 240
; IeeeMode: 1
; LDSByteSize: 0 bytes/workgroup (compile time only)
; SGPRBlocks: 0
; VGPRBlocks: 0
; NumSGPRsForWavesPerEU: 1
; NumVGPRsForWavesPerEU: 1
; Occupancy: 16
; WaveLimiterHint : 0
; COMPUTE_PGM_RSRC2:SCRATCH_EN: 0
; COMPUTE_PGM_RSRC2:USER_SGPR: 15
; COMPUTE_PGM_RSRC2:TRAP_HANDLER: 0
; COMPUTE_PGM_RSRC2:TGID_X_EN: 1
; COMPUTE_PGM_RSRC2:TGID_Y_EN: 0
; COMPUTE_PGM_RSRC2:TGID_Z_EN: 0
; COMPUTE_PGM_RSRC2:TIDIG_COMP_CNT: 0
	.text
	.p2alignl 7, 3214868480
	.fill 96, 4, 3214868480
	.type	__hip_cuid_bfac644c154333c7,@object ; @__hip_cuid_bfac644c154333c7
	.section	.bss,"aw",@nobits
	.globl	__hip_cuid_bfac644c154333c7
__hip_cuid_bfac644c154333c7:
	.byte	0                               ; 0x0
	.size	__hip_cuid_bfac644c154333c7, 1

	.ident	"AMD clang version 19.0.0git (https://github.com/RadeonOpenCompute/llvm-project roc-6.4.0 25133 c7fe45cf4b819c5991fe208aaa96edf142730f1d)"
	.section	".note.GNU-stack","",@progbits
	.addrsig
	.addrsig_sym __hip_cuid_bfac644c154333c7
	.amdgpu_metadata
---
amdhsa.kernels:
  - .args:
      - .address_space:  global
        .offset:         0
        .size:           8
        .value_kind:     global_buffer
      - .address_space:  global
        .offset:         8
        .size:           8
        .value_kind:     global_buffer
      - .offset:         16
        .size:           1
        .value_kind:     by_value
    .group_segment_fixed_size: 1280
    .kernarg_segment_align: 8
    .kernarg_segment_size: 20
    .language:       OpenCL C
    .language_version:
      - 2
      - 0
    .max_flat_workgroup_size: 256
    .name:           _Z9sort_keysILj256ELj4ELj1EiN10test_utils4lessEEvPKT2_PS2_T3_
    .private_segment_fixed_size: 0
    .sgpr_count:     18
    .sgpr_spill_count: 0
    .symbol:         _Z9sort_keysILj256ELj4ELj1EiN10test_utils4lessEEvPKT2_PS2_T3_.kd
    .uniform_work_group_size: 1
    .uses_dynamic_stack: false
    .vgpr_count:     15
    .vgpr_spill_count: 0
    .wavefront_size: 32
    .workgroup_processor_mode: 1
  - .args:
      - .address_space:  global
        .offset:         0
        .size:           8
        .value_kind:     global_buffer
      - .address_space:  global
        .offset:         8
        .size:           8
        .value_kind:     global_buffer
      - .offset:         16
        .size:           1
        .value_kind:     by_value
    .group_segment_fixed_size: 1280
    .kernarg_segment_align: 8
    .kernarg_segment_size: 20
    .language:       OpenCL C
    .language_version:
      - 2
      - 0
    .max_flat_workgroup_size: 256
    .name:           _Z10sort_pairsILj256ELj4ELj1EiN10test_utils4lessEEvPKT2_PS2_T3_
    .private_segment_fixed_size: 0
    .sgpr_count:     18
    .sgpr_spill_count: 0
    .symbol:         _Z10sort_pairsILj256ELj4ELj1EiN10test_utils4lessEEvPKT2_PS2_T3_.kd
    .uniform_work_group_size: 1
    .uses_dynamic_stack: false
    .vgpr_count:     16
    .vgpr_spill_count: 0
    .wavefront_size: 32
    .workgroup_processor_mode: 1
  - .args:
      - .address_space:  global
        .offset:         0
        .size:           8
        .value_kind:     global_buffer
      - .address_space:  global
        .offset:         8
        .size:           8
        .value_kind:     global_buffer
      - .address_space:  global
        .offset:         16
        .size:           8
        .value_kind:     global_buffer
      - .offset:         24
        .size:           1
        .value_kind:     by_value
    .group_segment_fixed_size: 1280
    .kernarg_segment_align: 8
    .kernarg_segment_size: 28
    .language:       OpenCL C
    .language_version:
      - 2
      - 0
    .max_flat_workgroup_size: 256
    .name:           _Z19sort_keys_segmentedILj256ELj4ELj1EiN10test_utils4lessEEvPKT2_PS2_PKjT3_
    .private_segment_fixed_size: 0
    .sgpr_count:     18
    .sgpr_spill_count: 0
    .symbol:         _Z19sort_keys_segmentedILj256ELj4ELj1EiN10test_utils4lessEEvPKT2_PS2_PKjT3_.kd
    .uniform_work_group_size: 1
    .uses_dynamic_stack: false
    .vgpr_count:     19
    .vgpr_spill_count: 0
    .wavefront_size: 32
    .workgroup_processor_mode: 1
  - .args:
      - .address_space:  global
        .offset:         0
        .size:           8
        .value_kind:     global_buffer
      - .address_space:  global
        .offset:         8
        .size:           8
        .value_kind:     global_buffer
      - .address_space:  global
        .offset:         16
        .size:           8
        .value_kind:     global_buffer
      - .offset:         24
        .size:           1
        .value_kind:     by_value
    .group_segment_fixed_size: 1280
    .kernarg_segment_align: 8
    .kernarg_segment_size: 28
    .language:       OpenCL C
    .language_version:
      - 2
      - 0
    .max_flat_workgroup_size: 256
    .name:           _Z20sort_pairs_segmentedILj256ELj4ELj1EiN10test_utils4lessEEvPKT2_PS2_PKjT3_
    .private_segment_fixed_size: 0
    .sgpr_count:     18
    .sgpr_spill_count: 0
    .symbol:         _Z20sort_pairs_segmentedILj256ELj4ELj1EiN10test_utils4lessEEvPKT2_PS2_PKjT3_.kd
    .uniform_work_group_size: 1
    .uses_dynamic_stack: false
    .vgpr_count:     20
    .vgpr_spill_count: 0
    .wavefront_size: 32
    .workgroup_processor_mode: 1
  - .args:
      - .address_space:  global
        .offset:         0
        .size:           8
        .value_kind:     global_buffer
      - .address_space:  global
        .offset:         8
        .size:           8
        .value_kind:     global_buffer
      - .offset:         16
        .size:           1
        .value_kind:     by_value
    .group_segment_fixed_size: 4352
    .kernarg_segment_align: 8
    .kernarg_segment_size: 20
    .language:       OpenCL C
    .language_version:
      - 2
      - 0
    .max_flat_workgroup_size: 256
    .name:           _Z9sort_keysILj256ELj4ELj4EiN10test_utils4lessEEvPKT2_PS2_T3_
    .private_segment_fixed_size: 0
    .sgpr_count:     18
    .sgpr_spill_count: 0
    .symbol:         _Z9sort_keysILj256ELj4ELj4EiN10test_utils4lessEEvPKT2_PS2_T3_.kd
    .uniform_work_group_size: 1
    .uses_dynamic_stack: false
    .vgpr_count:     20
    .vgpr_spill_count: 0
    .wavefront_size: 32
    .workgroup_processor_mode: 1
  - .args:
      - .address_space:  global
        .offset:         0
        .size:           8
        .value_kind:     global_buffer
      - .address_space:  global
        .offset:         8
        .size:           8
        .value_kind:     global_buffer
      - .offset:         16
        .size:           1
        .value_kind:     by_value
    .group_segment_fixed_size: 4352
    .kernarg_segment_align: 8
    .kernarg_segment_size: 20
    .language:       OpenCL C
    .language_version:
      - 2
      - 0
    .max_flat_workgroup_size: 256
    .name:           _Z10sort_pairsILj256ELj4ELj4EiN10test_utils4lessEEvPKT2_PS2_T3_
    .private_segment_fixed_size: 0
    .sgpr_count:     18
    .sgpr_spill_count: 0
    .symbol:         _Z10sort_pairsILj256ELj4ELj4EiN10test_utils4lessEEvPKT2_PS2_T3_.kd
    .uniform_work_group_size: 1
    .uses_dynamic_stack: false
    .vgpr_count:     28
    .vgpr_spill_count: 0
    .wavefront_size: 32
    .workgroup_processor_mode: 1
  - .args:
      - .address_space:  global
        .offset:         0
        .size:           8
        .value_kind:     global_buffer
      - .address_space:  global
        .offset:         8
        .size:           8
        .value_kind:     global_buffer
      - .address_space:  global
        .offset:         16
        .size:           8
        .value_kind:     global_buffer
      - .offset:         24
        .size:           1
        .value_kind:     by_value
    .group_segment_fixed_size: 4352
    .kernarg_segment_align: 8
    .kernarg_segment_size: 28
    .language:       OpenCL C
    .language_version:
      - 2
      - 0
    .max_flat_workgroup_size: 256
    .name:           _Z19sort_keys_segmentedILj256ELj4ELj4EiN10test_utils4lessEEvPKT2_PS2_PKjT3_
    .private_segment_fixed_size: 0
    .sgpr_count:     18
    .sgpr_spill_count: 0
    .symbol:         _Z19sort_keys_segmentedILj256ELj4ELj4EiN10test_utils4lessEEvPKT2_PS2_PKjT3_.kd
    .uniform_work_group_size: 1
    .uses_dynamic_stack: false
    .vgpr_count:     23
    .vgpr_spill_count: 0
    .wavefront_size: 32
    .workgroup_processor_mode: 1
  - .args:
      - .address_space:  global
        .offset:         0
        .size:           8
        .value_kind:     global_buffer
      - .address_space:  global
        .offset:         8
        .size:           8
        .value_kind:     global_buffer
      - .address_space:  global
        .offset:         16
        .size:           8
        .value_kind:     global_buffer
      - .offset:         24
        .size:           1
        .value_kind:     by_value
    .group_segment_fixed_size: 4352
    .kernarg_segment_align: 8
    .kernarg_segment_size: 28
    .language:       OpenCL C
    .language_version:
      - 2
      - 0
    .max_flat_workgroup_size: 256
    .name:           _Z20sort_pairs_segmentedILj256ELj4ELj4EiN10test_utils4lessEEvPKT2_PS2_PKjT3_
    .private_segment_fixed_size: 0
    .sgpr_count:     18
    .sgpr_spill_count: 0
    .symbol:         _Z20sort_pairs_segmentedILj256ELj4ELj4EiN10test_utils4lessEEvPKT2_PS2_PKjT3_.kd
    .uniform_work_group_size: 1
    .uses_dynamic_stack: false
    .vgpr_count:     31
    .vgpr_spill_count: 0
    .wavefront_size: 32
    .workgroup_processor_mode: 1
  - .args:
      - .address_space:  global
        .offset:         0
        .size:           8
        .value_kind:     global_buffer
      - .address_space:  global
        .offset:         8
        .size:           8
        .value_kind:     global_buffer
      - .offset:         16
        .size:           1
        .value_kind:     by_value
    .group_segment_fixed_size: 8448
    .kernarg_segment_align: 8
    .kernarg_segment_size: 20
    .language:       OpenCL C
    .language_version:
      - 2
      - 0
    .max_flat_workgroup_size: 256
    .name:           _Z9sort_keysILj256ELj4ELj8EiN10test_utils4lessEEvPKT2_PS2_T3_
    .private_segment_fixed_size: 0
    .sgpr_count:     18
    .sgpr_spill_count: 0
    .symbol:         _Z9sort_keysILj256ELj4ELj8EiN10test_utils4lessEEvPKT2_PS2_T3_.kd
    .uniform_work_group_size: 1
    .uses_dynamic_stack: false
    .vgpr_count:     33
    .vgpr_spill_count: 0
    .wavefront_size: 32
    .workgroup_processor_mode: 1
  - .args:
      - .address_space:  global
        .offset:         0
        .size:           8
        .value_kind:     global_buffer
      - .address_space:  global
        .offset:         8
        .size:           8
        .value_kind:     global_buffer
      - .offset:         16
        .size:           1
        .value_kind:     by_value
    .group_segment_fixed_size: 8448
    .kernarg_segment_align: 8
    .kernarg_segment_size: 20
    .language:       OpenCL C
    .language_version:
      - 2
      - 0
    .max_flat_workgroup_size: 256
    .name:           _Z10sort_pairsILj256ELj4ELj8EiN10test_utils4lessEEvPKT2_PS2_T3_
    .private_segment_fixed_size: 0
    .sgpr_count:     28
    .sgpr_spill_count: 0
    .symbol:         _Z10sort_pairsILj256ELj4ELj8EiN10test_utils4lessEEvPKT2_PS2_T3_.kd
    .uniform_work_group_size: 1
    .uses_dynamic_stack: false
    .vgpr_count:     52
    .vgpr_spill_count: 0
    .wavefront_size: 32
    .workgroup_processor_mode: 1
  - .args:
      - .address_space:  global
        .offset:         0
        .size:           8
        .value_kind:     global_buffer
      - .address_space:  global
        .offset:         8
        .size:           8
        .value_kind:     global_buffer
      - .address_space:  global
        .offset:         16
        .size:           8
        .value_kind:     global_buffer
      - .offset:         24
        .size:           1
        .value_kind:     by_value
    .group_segment_fixed_size: 8448
    .kernarg_segment_align: 8
    .kernarg_segment_size: 28
    .language:       OpenCL C
    .language_version:
      - 2
      - 0
    .max_flat_workgroup_size: 256
    .name:           _Z19sort_keys_segmentedILj256ELj4ELj8EiN10test_utils4lessEEvPKT2_PS2_PKjT3_
    .private_segment_fixed_size: 0
    .sgpr_count:     22
    .sgpr_spill_count: 0
    .symbol:         _Z19sort_keys_segmentedILj256ELj4ELj8EiN10test_utils4lessEEvPKT2_PS2_PKjT3_.kd
    .uniform_work_group_size: 1
    .uses_dynamic_stack: false
    .vgpr_count:     30
    .vgpr_spill_count: 0
    .wavefront_size: 32
    .workgroup_processor_mode: 1
  - .args:
      - .address_space:  global
        .offset:         0
        .size:           8
        .value_kind:     global_buffer
      - .address_space:  global
        .offset:         8
        .size:           8
        .value_kind:     global_buffer
      - .address_space:  global
        .offset:         16
        .size:           8
        .value_kind:     global_buffer
      - .offset:         24
        .size:           1
        .value_kind:     by_value
    .group_segment_fixed_size: 8448
    .kernarg_segment_align: 8
    .kernarg_segment_size: 28
    .language:       OpenCL C
    .language_version:
      - 2
      - 0
    .max_flat_workgroup_size: 256
    .name:           _Z20sort_pairs_segmentedILj256ELj4ELj8EiN10test_utils4lessEEvPKT2_PS2_PKjT3_
    .private_segment_fixed_size: 0
    .sgpr_count:     22
    .sgpr_spill_count: 0
    .symbol:         _Z20sort_pairs_segmentedILj256ELj4ELj8EiN10test_utils4lessEEvPKT2_PS2_PKjT3_.kd
    .uniform_work_group_size: 1
    .uses_dynamic_stack: false
    .vgpr_count:     49
    .vgpr_spill_count: 0
    .wavefront_size: 32
    .workgroup_processor_mode: 1
  - .args:
      - .address_space:  global
        .offset:         0
        .size:           8
        .value_kind:     global_buffer
      - .address_space:  global
        .offset:         8
        .size:           8
        .value_kind:     global_buffer
      - .offset:         16
        .size:           1
        .value_kind:     by_value
    .group_segment_fixed_size: 1088
    .kernarg_segment_align: 8
    .kernarg_segment_size: 20
    .language:       OpenCL C
    .language_version:
      - 2
      - 0
    .max_flat_workgroup_size: 256
    .name:           _Z9sort_keysILj256ELj16ELj1EiN10test_utils4lessEEvPKT2_PS2_T3_
    .private_segment_fixed_size: 0
    .sgpr_count:     18
    .sgpr_spill_count: 0
    .symbol:         _Z9sort_keysILj256ELj16ELj1EiN10test_utils4lessEEvPKT2_PS2_T3_.kd
    .uniform_work_group_size: 1
    .uses_dynamic_stack: false
    .vgpr_count:     17
    .vgpr_spill_count: 0
    .wavefront_size: 32
    .workgroup_processor_mode: 1
  - .args:
      - .address_space:  global
        .offset:         0
        .size:           8
        .value_kind:     global_buffer
      - .address_space:  global
        .offset:         8
        .size:           8
        .value_kind:     global_buffer
      - .offset:         16
        .size:           1
        .value_kind:     by_value
    .group_segment_fixed_size: 1088
    .kernarg_segment_align: 8
    .kernarg_segment_size: 20
    .language:       OpenCL C
    .language_version:
      - 2
      - 0
    .max_flat_workgroup_size: 256
    .name:           _Z10sort_pairsILj256ELj16ELj1EiN10test_utils4lessEEvPKT2_PS2_T3_
    .private_segment_fixed_size: 0
    .sgpr_count:     18
    .sgpr_spill_count: 0
    .symbol:         _Z10sort_pairsILj256ELj16ELj1EiN10test_utils4lessEEvPKT2_PS2_T3_.kd
    .uniform_work_group_size: 1
    .uses_dynamic_stack: false
    .vgpr_count:     18
    .vgpr_spill_count: 0
    .wavefront_size: 32
    .workgroup_processor_mode: 1
  - .args:
      - .address_space:  global
        .offset:         0
        .size:           8
        .value_kind:     global_buffer
      - .address_space:  global
        .offset:         8
        .size:           8
        .value_kind:     global_buffer
      - .address_space:  global
        .offset:         16
        .size:           8
        .value_kind:     global_buffer
      - .offset:         24
        .size:           1
        .value_kind:     by_value
    .group_segment_fixed_size: 1088
    .kernarg_segment_align: 8
    .kernarg_segment_size: 28
    .language:       OpenCL C
    .language_version:
      - 2
      - 0
    .max_flat_workgroup_size: 256
    .name:           _Z19sort_keys_segmentedILj256ELj16ELj1EiN10test_utils4lessEEvPKT2_PS2_PKjT3_
    .private_segment_fixed_size: 0
    .sgpr_count:     18
    .sgpr_spill_count: 0
    .symbol:         _Z19sort_keys_segmentedILj256ELj16ELj1EiN10test_utils4lessEEvPKT2_PS2_PKjT3_.kd
    .uniform_work_group_size: 1
    .uses_dynamic_stack: false
    .vgpr_count:     20
    .vgpr_spill_count: 0
    .wavefront_size: 32
    .workgroup_processor_mode: 1
  - .args:
      - .address_space:  global
        .offset:         0
        .size:           8
        .value_kind:     global_buffer
      - .address_space:  global
        .offset:         8
        .size:           8
        .value_kind:     global_buffer
      - .address_space:  global
        .offset:         16
        .size:           8
        .value_kind:     global_buffer
      - .offset:         24
        .size:           1
        .value_kind:     by_value
    .group_segment_fixed_size: 1088
    .kernarg_segment_align: 8
    .kernarg_segment_size: 28
    .language:       OpenCL C
    .language_version:
      - 2
      - 0
    .max_flat_workgroup_size: 256
    .name:           _Z20sort_pairs_segmentedILj256ELj16ELj1EiN10test_utils4lessEEvPKT2_PS2_PKjT3_
    .private_segment_fixed_size: 0
    .sgpr_count:     18
    .sgpr_spill_count: 0
    .symbol:         _Z20sort_pairs_segmentedILj256ELj16ELj1EiN10test_utils4lessEEvPKT2_PS2_PKjT3_.kd
    .uniform_work_group_size: 1
    .uses_dynamic_stack: false
    .vgpr_count:     21
    .vgpr_spill_count: 0
    .wavefront_size: 32
    .workgroup_processor_mode: 1
  - .args:
      - .address_space:  global
        .offset:         0
        .size:           8
        .value_kind:     global_buffer
      - .address_space:  global
        .offset:         8
        .size:           8
        .value_kind:     global_buffer
      - .offset:         16
        .size:           1
        .value_kind:     by_value
    .group_segment_fixed_size: 4160
    .kernarg_segment_align: 8
    .kernarg_segment_size: 20
    .language:       OpenCL C
    .language_version:
      - 2
      - 0
    .max_flat_workgroup_size: 256
    .name:           _Z9sort_keysILj256ELj16ELj4EiN10test_utils4lessEEvPKT2_PS2_T3_
    .private_segment_fixed_size: 0
    .sgpr_count:     18
    .sgpr_spill_count: 0
    .symbol:         _Z9sort_keysILj256ELj16ELj4EiN10test_utils4lessEEvPKT2_PS2_T3_.kd
    .uniform_work_group_size: 1
    .uses_dynamic_stack: false
    .vgpr_count:     21
    .vgpr_spill_count: 0
    .wavefront_size: 32
    .workgroup_processor_mode: 1
  - .args:
      - .address_space:  global
        .offset:         0
        .size:           8
        .value_kind:     global_buffer
      - .address_space:  global
        .offset:         8
        .size:           8
        .value_kind:     global_buffer
      - .offset:         16
        .size:           1
        .value_kind:     by_value
    .group_segment_fixed_size: 4160
    .kernarg_segment_align: 8
    .kernarg_segment_size: 20
    .language:       OpenCL C
    .language_version:
      - 2
      - 0
    .max_flat_workgroup_size: 256
    .name:           _Z10sort_pairsILj256ELj16ELj4EiN10test_utils4lessEEvPKT2_PS2_T3_
    .private_segment_fixed_size: 0
    .sgpr_count:     18
    .sgpr_spill_count: 0
    .symbol:         _Z10sort_pairsILj256ELj16ELj4EiN10test_utils4lessEEvPKT2_PS2_T3_.kd
    .uniform_work_group_size: 1
    .uses_dynamic_stack: false
    .vgpr_count:     29
    .vgpr_spill_count: 0
    .wavefront_size: 32
    .workgroup_processor_mode: 1
  - .args:
      - .address_space:  global
        .offset:         0
        .size:           8
        .value_kind:     global_buffer
      - .address_space:  global
        .offset:         8
        .size:           8
        .value_kind:     global_buffer
      - .address_space:  global
        .offset:         16
        .size:           8
        .value_kind:     global_buffer
      - .offset:         24
        .size:           1
        .value_kind:     by_value
    .group_segment_fixed_size: 4160
    .kernarg_segment_align: 8
    .kernarg_segment_size: 28
    .language:       OpenCL C
    .language_version:
      - 2
      - 0
    .max_flat_workgroup_size: 256
    .name:           _Z19sort_keys_segmentedILj256ELj16ELj4EiN10test_utils4lessEEvPKT2_PS2_PKjT3_
    .private_segment_fixed_size: 0
    .sgpr_count:     18
    .sgpr_spill_count: 0
    .symbol:         _Z19sort_keys_segmentedILj256ELj16ELj4EiN10test_utils4lessEEvPKT2_PS2_PKjT3_.kd
    .uniform_work_group_size: 1
    .uses_dynamic_stack: false
    .vgpr_count:     25
    .vgpr_spill_count: 0
    .wavefront_size: 32
    .workgroup_processor_mode: 1
  - .args:
      - .address_space:  global
        .offset:         0
        .size:           8
        .value_kind:     global_buffer
      - .address_space:  global
        .offset:         8
        .size:           8
        .value_kind:     global_buffer
      - .address_space:  global
        .offset:         16
        .size:           8
        .value_kind:     global_buffer
      - .offset:         24
        .size:           1
        .value_kind:     by_value
    .group_segment_fixed_size: 4160
    .kernarg_segment_align: 8
    .kernarg_segment_size: 28
    .language:       OpenCL C
    .language_version:
      - 2
      - 0
    .max_flat_workgroup_size: 256
    .name:           _Z20sort_pairs_segmentedILj256ELj16ELj4EiN10test_utils4lessEEvPKT2_PS2_PKjT3_
    .private_segment_fixed_size: 0
    .sgpr_count:     18
    .sgpr_spill_count: 0
    .symbol:         _Z20sort_pairs_segmentedILj256ELj16ELj4EiN10test_utils4lessEEvPKT2_PS2_PKjT3_.kd
    .uniform_work_group_size: 1
    .uses_dynamic_stack: false
    .vgpr_count:     32
    .vgpr_spill_count: 0
    .wavefront_size: 32
    .workgroup_processor_mode: 1
  - .args:
      - .address_space:  global
        .offset:         0
        .size:           8
        .value_kind:     global_buffer
      - .address_space:  global
        .offset:         8
        .size:           8
        .value_kind:     global_buffer
      - .offset:         16
        .size:           1
        .value_kind:     by_value
    .group_segment_fixed_size: 8256
    .kernarg_segment_align: 8
    .kernarg_segment_size: 20
    .language:       OpenCL C
    .language_version:
      - 2
      - 0
    .max_flat_workgroup_size: 256
    .name:           _Z9sort_keysILj256ELj16ELj8EiN10test_utils4lessEEvPKT2_PS2_T3_
    .private_segment_fixed_size: 0
    .sgpr_count:     18
    .sgpr_spill_count: 0
    .symbol:         _Z9sort_keysILj256ELj16ELj8EiN10test_utils4lessEEvPKT2_PS2_T3_.kd
    .uniform_work_group_size: 1
    .uses_dynamic_stack: false
    .vgpr_count:     34
    .vgpr_spill_count: 0
    .wavefront_size: 32
    .workgroup_processor_mode: 1
  - .args:
      - .address_space:  global
        .offset:         0
        .size:           8
        .value_kind:     global_buffer
      - .address_space:  global
        .offset:         8
        .size:           8
        .value_kind:     global_buffer
      - .offset:         16
        .size:           1
        .value_kind:     by_value
    .group_segment_fixed_size: 8256
    .kernarg_segment_align: 8
    .kernarg_segment_size: 20
    .language:       OpenCL C
    .language_version:
      - 2
      - 0
    .max_flat_workgroup_size: 256
    .name:           _Z10sort_pairsILj256ELj16ELj8EiN10test_utils4lessEEvPKT2_PS2_T3_
    .private_segment_fixed_size: 0
    .sgpr_count:     28
    .sgpr_spill_count: 0
    .symbol:         _Z10sort_pairsILj256ELj16ELj8EiN10test_utils4lessEEvPKT2_PS2_T3_.kd
    .uniform_work_group_size: 1
    .uses_dynamic_stack: false
    .vgpr_count:     53
    .vgpr_spill_count: 0
    .wavefront_size: 32
    .workgroup_processor_mode: 1
  - .args:
      - .address_space:  global
        .offset:         0
        .size:           8
        .value_kind:     global_buffer
      - .address_space:  global
        .offset:         8
        .size:           8
        .value_kind:     global_buffer
      - .address_space:  global
        .offset:         16
        .size:           8
        .value_kind:     global_buffer
      - .offset:         24
        .size:           1
        .value_kind:     by_value
    .group_segment_fixed_size: 8256
    .kernarg_segment_align: 8
    .kernarg_segment_size: 28
    .language:       OpenCL C
    .language_version:
      - 2
      - 0
    .max_flat_workgroup_size: 256
    .name:           _Z19sort_keys_segmentedILj256ELj16ELj8EiN10test_utils4lessEEvPKT2_PS2_PKjT3_
    .private_segment_fixed_size: 0
    .sgpr_count:     22
    .sgpr_spill_count: 0
    .symbol:         _Z19sort_keys_segmentedILj256ELj16ELj8EiN10test_utils4lessEEvPKT2_PS2_PKjT3_.kd
    .uniform_work_group_size: 1
    .uses_dynamic_stack: false
    .vgpr_count:     31
    .vgpr_spill_count: 0
    .wavefront_size: 32
    .workgroup_processor_mode: 1
  - .args:
      - .address_space:  global
        .offset:         0
        .size:           8
        .value_kind:     global_buffer
      - .address_space:  global
        .offset:         8
        .size:           8
        .value_kind:     global_buffer
      - .address_space:  global
        .offset:         16
        .size:           8
        .value_kind:     global_buffer
      - .offset:         24
        .size:           1
        .value_kind:     by_value
    .group_segment_fixed_size: 8256
    .kernarg_segment_align: 8
    .kernarg_segment_size: 28
    .language:       OpenCL C
    .language_version:
      - 2
      - 0
    .max_flat_workgroup_size: 256
    .name:           _Z20sort_pairs_segmentedILj256ELj16ELj8EiN10test_utils4lessEEvPKT2_PS2_PKjT3_
    .private_segment_fixed_size: 0
    .sgpr_count:     22
    .sgpr_spill_count: 0
    .symbol:         _Z20sort_pairs_segmentedILj256ELj16ELj8EiN10test_utils4lessEEvPKT2_PS2_PKjT3_.kd
    .uniform_work_group_size: 1
    .uses_dynamic_stack: false
    .vgpr_count:     50
    .vgpr_spill_count: 0
    .wavefront_size: 32
    .workgroup_processor_mode: 1
  - .args:
      - .address_space:  global
        .offset:         0
        .size:           8
        .value_kind:     global_buffer
      - .address_space:  global
        .offset:         8
        .size:           8
        .value_kind:     global_buffer
      - .offset:         16
        .size:           1
        .value_kind:     by_value
    .group_segment_fixed_size: 1056
    .kernarg_segment_align: 8
    .kernarg_segment_size: 20
    .language:       OpenCL C
    .language_version:
      - 2
      - 0
    .max_flat_workgroup_size: 256
    .name:           _Z9sort_keysILj256ELj32ELj1EiN10test_utils4lessEEvPKT2_PS2_T3_
    .private_segment_fixed_size: 0
    .sgpr_count:     18
    .sgpr_spill_count: 0
    .symbol:         _Z9sort_keysILj256ELj32ELj1EiN10test_utils4lessEEvPKT2_PS2_T3_.kd
    .uniform_work_group_size: 1
    .uses_dynamic_stack: false
    .vgpr_count:     17
    .vgpr_spill_count: 0
    .wavefront_size: 32
    .workgroup_processor_mode: 1
  - .args:
      - .address_space:  global
        .offset:         0
        .size:           8
        .value_kind:     global_buffer
      - .address_space:  global
        .offset:         8
        .size:           8
        .value_kind:     global_buffer
      - .offset:         16
        .size:           1
        .value_kind:     by_value
    .group_segment_fixed_size: 1056
    .kernarg_segment_align: 8
    .kernarg_segment_size: 20
    .language:       OpenCL C
    .language_version:
      - 2
      - 0
    .max_flat_workgroup_size: 256
    .name:           _Z10sort_pairsILj256ELj32ELj1EiN10test_utils4lessEEvPKT2_PS2_T3_
    .private_segment_fixed_size: 0
    .sgpr_count:     18
    .sgpr_spill_count: 0
    .symbol:         _Z10sort_pairsILj256ELj32ELj1EiN10test_utils4lessEEvPKT2_PS2_T3_.kd
    .uniform_work_group_size: 1
    .uses_dynamic_stack: false
    .vgpr_count:     18
    .vgpr_spill_count: 0
    .wavefront_size: 32
    .workgroup_processor_mode: 1
  - .args:
      - .address_space:  global
        .offset:         0
        .size:           8
        .value_kind:     global_buffer
      - .address_space:  global
        .offset:         8
        .size:           8
        .value_kind:     global_buffer
      - .address_space:  global
        .offset:         16
        .size:           8
        .value_kind:     global_buffer
      - .offset:         24
        .size:           1
        .value_kind:     by_value
    .group_segment_fixed_size: 1056
    .kernarg_segment_align: 8
    .kernarg_segment_size: 28
    .language:       OpenCL C
    .language_version:
      - 2
      - 0
    .max_flat_workgroup_size: 256
    .name:           _Z19sort_keys_segmentedILj256ELj32ELj1EiN10test_utils4lessEEvPKT2_PS2_PKjT3_
    .private_segment_fixed_size: 0
    .sgpr_count:     18
    .sgpr_spill_count: 0
    .symbol:         _Z19sort_keys_segmentedILj256ELj32ELj1EiN10test_utils4lessEEvPKT2_PS2_PKjT3_.kd
    .uniform_work_group_size: 1
    .uses_dynamic_stack: false
    .vgpr_count:     19
    .vgpr_spill_count: 0
    .wavefront_size: 32
    .workgroup_processor_mode: 1
  - .args:
      - .address_space:  global
        .offset:         0
        .size:           8
        .value_kind:     global_buffer
      - .address_space:  global
        .offset:         8
        .size:           8
        .value_kind:     global_buffer
      - .address_space:  global
        .offset:         16
        .size:           8
        .value_kind:     global_buffer
      - .offset:         24
        .size:           1
        .value_kind:     by_value
    .group_segment_fixed_size: 1056
    .kernarg_segment_align: 8
    .kernarg_segment_size: 28
    .language:       OpenCL C
    .language_version:
      - 2
      - 0
    .max_flat_workgroup_size: 256
    .name:           _Z20sort_pairs_segmentedILj256ELj32ELj1EiN10test_utils4lessEEvPKT2_PS2_PKjT3_
    .private_segment_fixed_size: 0
    .sgpr_count:     18
    .sgpr_spill_count: 0
    .symbol:         _Z20sort_pairs_segmentedILj256ELj32ELj1EiN10test_utils4lessEEvPKT2_PS2_PKjT3_.kd
    .uniform_work_group_size: 1
    .uses_dynamic_stack: false
    .vgpr_count:     20
    .vgpr_spill_count: 0
    .wavefront_size: 32
    .workgroup_processor_mode: 1
  - .args:
      - .address_space:  global
        .offset:         0
        .size:           8
        .value_kind:     global_buffer
      - .address_space:  global
        .offset:         8
        .size:           8
        .value_kind:     global_buffer
      - .offset:         16
        .size:           1
        .value_kind:     by_value
    .group_segment_fixed_size: 4128
    .kernarg_segment_align: 8
    .kernarg_segment_size: 20
    .language:       OpenCL C
    .language_version:
      - 2
      - 0
    .max_flat_workgroup_size: 256
    .name:           _Z9sort_keysILj256ELj32ELj4EiN10test_utils4lessEEvPKT2_PS2_T3_
    .private_segment_fixed_size: 0
    .sgpr_count:     18
    .sgpr_spill_count: 0
    .symbol:         _Z9sort_keysILj256ELj32ELj4EiN10test_utils4lessEEvPKT2_PS2_T3_.kd
    .uniform_work_group_size: 1
    .uses_dynamic_stack: false
    .vgpr_count:     21
    .vgpr_spill_count: 0
    .wavefront_size: 32
    .workgroup_processor_mode: 1
  - .args:
      - .address_space:  global
        .offset:         0
        .size:           8
        .value_kind:     global_buffer
      - .address_space:  global
        .offset:         8
        .size:           8
        .value_kind:     global_buffer
      - .offset:         16
        .size:           1
        .value_kind:     by_value
    .group_segment_fixed_size: 4128
    .kernarg_segment_align: 8
    .kernarg_segment_size: 20
    .language:       OpenCL C
    .language_version:
      - 2
      - 0
    .max_flat_workgroup_size: 256
    .name:           _Z10sort_pairsILj256ELj32ELj4EiN10test_utils4lessEEvPKT2_PS2_T3_
    .private_segment_fixed_size: 0
    .sgpr_count:     18
    .sgpr_spill_count: 0
    .symbol:         _Z10sort_pairsILj256ELj32ELj4EiN10test_utils4lessEEvPKT2_PS2_T3_.kd
    .uniform_work_group_size: 1
    .uses_dynamic_stack: false
    .vgpr_count:     28
    .vgpr_spill_count: 0
    .wavefront_size: 32
    .workgroup_processor_mode: 1
  - .args:
      - .address_space:  global
        .offset:         0
        .size:           8
        .value_kind:     global_buffer
      - .address_space:  global
        .offset:         8
        .size:           8
        .value_kind:     global_buffer
      - .address_space:  global
        .offset:         16
        .size:           8
        .value_kind:     global_buffer
      - .offset:         24
        .size:           1
        .value_kind:     by_value
    .group_segment_fixed_size: 4128
    .kernarg_segment_align: 8
    .kernarg_segment_size: 28
    .language:       OpenCL C
    .language_version:
      - 2
      - 0
    .max_flat_workgroup_size: 256
    .name:           _Z19sort_keys_segmentedILj256ELj32ELj4EiN10test_utils4lessEEvPKT2_PS2_PKjT3_
    .private_segment_fixed_size: 0
    .sgpr_count:     18
    .sgpr_spill_count: 0
    .symbol:         _Z19sort_keys_segmentedILj256ELj32ELj4EiN10test_utils4lessEEvPKT2_PS2_PKjT3_.kd
    .uniform_work_group_size: 1
    .uses_dynamic_stack: false
    .vgpr_count:     24
    .vgpr_spill_count: 0
    .wavefront_size: 32
    .workgroup_processor_mode: 1
  - .args:
      - .address_space:  global
        .offset:         0
        .size:           8
        .value_kind:     global_buffer
      - .address_space:  global
        .offset:         8
        .size:           8
        .value_kind:     global_buffer
      - .address_space:  global
        .offset:         16
        .size:           8
        .value_kind:     global_buffer
      - .offset:         24
        .size:           1
        .value_kind:     by_value
    .group_segment_fixed_size: 4128
    .kernarg_segment_align: 8
    .kernarg_segment_size: 28
    .language:       OpenCL C
    .language_version:
      - 2
      - 0
    .max_flat_workgroup_size: 256
    .name:           _Z20sort_pairs_segmentedILj256ELj32ELj4EiN10test_utils4lessEEvPKT2_PS2_PKjT3_
    .private_segment_fixed_size: 0
    .sgpr_count:     18
    .sgpr_spill_count: 0
    .symbol:         _Z20sort_pairs_segmentedILj256ELj32ELj4EiN10test_utils4lessEEvPKT2_PS2_PKjT3_.kd
    .uniform_work_group_size: 1
    .uses_dynamic_stack: false
    .vgpr_count:     31
    .vgpr_spill_count: 0
    .wavefront_size: 32
    .workgroup_processor_mode: 1
  - .args:
      - .address_space:  global
        .offset:         0
        .size:           8
        .value_kind:     global_buffer
      - .address_space:  global
        .offset:         8
        .size:           8
        .value_kind:     global_buffer
      - .offset:         16
        .size:           1
        .value_kind:     by_value
    .group_segment_fixed_size: 8224
    .kernarg_segment_align: 8
    .kernarg_segment_size: 20
    .language:       OpenCL C
    .language_version:
      - 2
      - 0
    .max_flat_workgroup_size: 256
    .name:           _Z9sort_keysILj256ELj32ELj8EiN10test_utils4lessEEvPKT2_PS2_T3_
    .private_segment_fixed_size: 0
    .sgpr_count:     18
    .sgpr_spill_count: 0
    .symbol:         _Z9sort_keysILj256ELj32ELj8EiN10test_utils4lessEEvPKT2_PS2_T3_.kd
    .uniform_work_group_size: 1
    .uses_dynamic_stack: false
    .vgpr_count:     33
    .vgpr_spill_count: 0
    .wavefront_size: 32
    .workgroup_processor_mode: 1
  - .args:
      - .address_space:  global
        .offset:         0
        .size:           8
        .value_kind:     global_buffer
      - .address_space:  global
        .offset:         8
        .size:           8
        .value_kind:     global_buffer
      - .offset:         16
        .size:           1
        .value_kind:     by_value
    .group_segment_fixed_size: 8224
    .kernarg_segment_align: 8
    .kernarg_segment_size: 20
    .language:       OpenCL C
    .language_version:
      - 2
      - 0
    .max_flat_workgroup_size: 256
    .name:           _Z10sort_pairsILj256ELj32ELj8EiN10test_utils4lessEEvPKT2_PS2_T3_
    .private_segment_fixed_size: 0
    .sgpr_count:     28
    .sgpr_spill_count: 0
    .symbol:         _Z10sort_pairsILj256ELj32ELj8EiN10test_utils4lessEEvPKT2_PS2_T3_.kd
    .uniform_work_group_size: 1
    .uses_dynamic_stack: false
    .vgpr_count:     52
    .vgpr_spill_count: 0
    .wavefront_size: 32
    .workgroup_processor_mode: 1
  - .args:
      - .address_space:  global
        .offset:         0
        .size:           8
        .value_kind:     global_buffer
      - .address_space:  global
        .offset:         8
        .size:           8
        .value_kind:     global_buffer
      - .address_space:  global
        .offset:         16
        .size:           8
        .value_kind:     global_buffer
      - .offset:         24
        .size:           1
        .value_kind:     by_value
    .group_segment_fixed_size: 8224
    .kernarg_segment_align: 8
    .kernarg_segment_size: 28
    .language:       OpenCL C
    .language_version:
      - 2
      - 0
    .max_flat_workgroup_size: 256
    .name:           _Z19sort_keys_segmentedILj256ELj32ELj8EiN10test_utils4lessEEvPKT2_PS2_PKjT3_
    .private_segment_fixed_size: 0
    .sgpr_count:     22
    .sgpr_spill_count: 0
    .symbol:         _Z19sort_keys_segmentedILj256ELj32ELj8EiN10test_utils4lessEEvPKT2_PS2_PKjT3_.kd
    .uniform_work_group_size: 1
    .uses_dynamic_stack: false
    .vgpr_count:     30
    .vgpr_spill_count: 0
    .wavefront_size: 32
    .workgroup_processor_mode: 1
  - .args:
      - .address_space:  global
        .offset:         0
        .size:           8
        .value_kind:     global_buffer
      - .address_space:  global
        .offset:         8
        .size:           8
        .value_kind:     global_buffer
      - .address_space:  global
        .offset:         16
        .size:           8
        .value_kind:     global_buffer
      - .offset:         24
        .size:           1
        .value_kind:     by_value
    .group_segment_fixed_size: 8224
    .kernarg_segment_align: 8
    .kernarg_segment_size: 28
    .language:       OpenCL C
    .language_version:
      - 2
      - 0
    .max_flat_workgroup_size: 256
    .name:           _Z20sort_pairs_segmentedILj256ELj32ELj8EiN10test_utils4lessEEvPKT2_PS2_PKjT3_
    .private_segment_fixed_size: 0
    .sgpr_count:     22
    .sgpr_spill_count: 0
    .symbol:         _Z20sort_pairs_segmentedILj256ELj32ELj8EiN10test_utils4lessEEvPKT2_PS2_PKjT3_.kd
    .uniform_work_group_size: 1
    .uses_dynamic_stack: false
    .vgpr_count:     49
    .vgpr_spill_count: 0
    .wavefront_size: 32
    .workgroup_processor_mode: 1
  - .args:
      - .address_space:  global
        .offset:         0
        .size:           8
        .value_kind:     global_buffer
      - .address_space:  global
        .offset:         8
        .size:           8
        .value_kind:     global_buffer
      - .offset:         16
        .size:           1
        .value_kind:     by_value
    .group_segment_fixed_size: 0
    .kernarg_segment_align: 8
    .kernarg_segment_size: 20
    .language:       OpenCL C
    .language_version:
      - 2
      - 0
    .max_flat_workgroup_size: 256
    .name:           _Z9sort_keysILj256ELj64ELj1EiN10test_utils4lessEEvPKT2_PS2_T3_
    .private_segment_fixed_size: 0
    .sgpr_count:     0
    .sgpr_spill_count: 0
    .symbol:         _Z9sort_keysILj256ELj64ELj1EiN10test_utils4lessEEvPKT2_PS2_T3_.kd
    .uniform_work_group_size: 1
    .uses_dynamic_stack: false
    .vgpr_count:     0
    .vgpr_spill_count: 0
    .wavefront_size: 32
    .workgroup_processor_mode: 1
  - .args:
      - .address_space:  global
        .offset:         0
        .size:           8
        .value_kind:     global_buffer
      - .address_space:  global
        .offset:         8
        .size:           8
        .value_kind:     global_buffer
      - .offset:         16
        .size:           1
        .value_kind:     by_value
    .group_segment_fixed_size: 0
    .kernarg_segment_align: 8
    .kernarg_segment_size: 20
    .language:       OpenCL C
    .language_version:
      - 2
      - 0
    .max_flat_workgroup_size: 256
    .name:           _Z10sort_pairsILj256ELj64ELj1EiN10test_utils4lessEEvPKT2_PS2_T3_
    .private_segment_fixed_size: 0
    .sgpr_count:     0
    .sgpr_spill_count: 0
    .symbol:         _Z10sort_pairsILj256ELj64ELj1EiN10test_utils4lessEEvPKT2_PS2_T3_.kd
    .uniform_work_group_size: 1
    .uses_dynamic_stack: false
    .vgpr_count:     0
    .vgpr_spill_count: 0
    .wavefront_size: 32
    .workgroup_processor_mode: 1
  - .args:
      - .address_space:  global
        .offset:         0
        .size:           8
        .value_kind:     global_buffer
      - .address_space:  global
        .offset:         8
        .size:           8
        .value_kind:     global_buffer
      - .address_space:  global
        .offset:         16
        .size:           8
        .value_kind:     global_buffer
      - .offset:         24
        .size:           1
        .value_kind:     by_value
    .group_segment_fixed_size: 0
    .kernarg_segment_align: 8
    .kernarg_segment_size: 28
    .language:       OpenCL C
    .language_version:
      - 2
      - 0
    .max_flat_workgroup_size: 256
    .name:           _Z19sort_keys_segmentedILj256ELj64ELj1EiN10test_utils4lessEEvPKT2_PS2_PKjT3_
    .private_segment_fixed_size: 0
    .sgpr_count:     0
    .sgpr_spill_count: 0
    .symbol:         _Z19sort_keys_segmentedILj256ELj64ELj1EiN10test_utils4lessEEvPKT2_PS2_PKjT3_.kd
    .uniform_work_group_size: 1
    .uses_dynamic_stack: false
    .vgpr_count:     0
    .vgpr_spill_count: 0
    .wavefront_size: 32
    .workgroup_processor_mode: 1
  - .args:
      - .address_space:  global
        .offset:         0
        .size:           8
        .value_kind:     global_buffer
      - .address_space:  global
        .offset:         8
        .size:           8
        .value_kind:     global_buffer
      - .address_space:  global
        .offset:         16
        .size:           8
        .value_kind:     global_buffer
      - .offset:         24
        .size:           1
        .value_kind:     by_value
    .group_segment_fixed_size: 0
    .kernarg_segment_align: 8
    .kernarg_segment_size: 28
    .language:       OpenCL C
    .language_version:
      - 2
      - 0
    .max_flat_workgroup_size: 256
    .name:           _Z20sort_pairs_segmentedILj256ELj64ELj1EiN10test_utils4lessEEvPKT2_PS2_PKjT3_
    .private_segment_fixed_size: 0
    .sgpr_count:     0
    .sgpr_spill_count: 0
    .symbol:         _Z20sort_pairs_segmentedILj256ELj64ELj1EiN10test_utils4lessEEvPKT2_PS2_PKjT3_.kd
    .uniform_work_group_size: 1
    .uses_dynamic_stack: false
    .vgpr_count:     0
    .vgpr_spill_count: 0
    .wavefront_size: 32
    .workgroup_processor_mode: 1
  - .args:
      - .address_space:  global
        .offset:         0
        .size:           8
        .value_kind:     global_buffer
      - .address_space:  global
        .offset:         8
        .size:           8
        .value_kind:     global_buffer
      - .offset:         16
        .size:           1
        .value_kind:     by_value
    .group_segment_fixed_size: 0
    .kernarg_segment_align: 8
    .kernarg_segment_size: 20
    .language:       OpenCL C
    .language_version:
      - 2
      - 0
    .max_flat_workgroup_size: 256
    .name:           _Z9sort_keysILj256ELj64ELj4EiN10test_utils4lessEEvPKT2_PS2_T3_
    .private_segment_fixed_size: 0
    .sgpr_count:     0
    .sgpr_spill_count: 0
    .symbol:         _Z9sort_keysILj256ELj64ELj4EiN10test_utils4lessEEvPKT2_PS2_T3_.kd
    .uniform_work_group_size: 1
    .uses_dynamic_stack: false
    .vgpr_count:     0
    .vgpr_spill_count: 0
    .wavefront_size: 32
    .workgroup_processor_mode: 1
  - .args:
      - .address_space:  global
        .offset:         0
        .size:           8
        .value_kind:     global_buffer
      - .address_space:  global
        .offset:         8
        .size:           8
        .value_kind:     global_buffer
      - .offset:         16
        .size:           1
        .value_kind:     by_value
    .group_segment_fixed_size: 0
    .kernarg_segment_align: 8
    .kernarg_segment_size: 20
    .language:       OpenCL C
    .language_version:
      - 2
      - 0
    .max_flat_workgroup_size: 256
    .name:           _Z10sort_pairsILj256ELj64ELj4EiN10test_utils4lessEEvPKT2_PS2_T3_
    .private_segment_fixed_size: 0
    .sgpr_count:     0
    .sgpr_spill_count: 0
    .symbol:         _Z10sort_pairsILj256ELj64ELj4EiN10test_utils4lessEEvPKT2_PS2_T3_.kd
    .uniform_work_group_size: 1
    .uses_dynamic_stack: false
    .vgpr_count:     0
    .vgpr_spill_count: 0
    .wavefront_size: 32
    .workgroup_processor_mode: 1
  - .args:
      - .address_space:  global
        .offset:         0
        .size:           8
        .value_kind:     global_buffer
      - .address_space:  global
        .offset:         8
        .size:           8
        .value_kind:     global_buffer
      - .address_space:  global
        .offset:         16
        .size:           8
        .value_kind:     global_buffer
      - .offset:         24
        .size:           1
        .value_kind:     by_value
    .group_segment_fixed_size: 0
    .kernarg_segment_align: 8
    .kernarg_segment_size: 28
    .language:       OpenCL C
    .language_version:
      - 2
      - 0
    .max_flat_workgroup_size: 256
    .name:           _Z19sort_keys_segmentedILj256ELj64ELj4EiN10test_utils4lessEEvPKT2_PS2_PKjT3_
    .private_segment_fixed_size: 0
    .sgpr_count:     0
    .sgpr_spill_count: 0
    .symbol:         _Z19sort_keys_segmentedILj256ELj64ELj4EiN10test_utils4lessEEvPKT2_PS2_PKjT3_.kd
    .uniform_work_group_size: 1
    .uses_dynamic_stack: false
    .vgpr_count:     0
    .vgpr_spill_count: 0
    .wavefront_size: 32
    .workgroup_processor_mode: 1
  - .args:
      - .address_space:  global
        .offset:         0
        .size:           8
        .value_kind:     global_buffer
      - .address_space:  global
        .offset:         8
        .size:           8
        .value_kind:     global_buffer
      - .address_space:  global
        .offset:         16
        .size:           8
        .value_kind:     global_buffer
      - .offset:         24
        .size:           1
        .value_kind:     by_value
    .group_segment_fixed_size: 0
    .kernarg_segment_align: 8
    .kernarg_segment_size: 28
    .language:       OpenCL C
    .language_version:
      - 2
      - 0
    .max_flat_workgroup_size: 256
    .name:           _Z20sort_pairs_segmentedILj256ELj64ELj4EiN10test_utils4lessEEvPKT2_PS2_PKjT3_
    .private_segment_fixed_size: 0
    .sgpr_count:     0
    .sgpr_spill_count: 0
    .symbol:         _Z20sort_pairs_segmentedILj256ELj64ELj4EiN10test_utils4lessEEvPKT2_PS2_PKjT3_.kd
    .uniform_work_group_size: 1
    .uses_dynamic_stack: false
    .vgpr_count:     0
    .vgpr_spill_count: 0
    .wavefront_size: 32
    .workgroup_processor_mode: 1
  - .args:
      - .address_space:  global
        .offset:         0
        .size:           8
        .value_kind:     global_buffer
      - .address_space:  global
        .offset:         8
        .size:           8
        .value_kind:     global_buffer
      - .offset:         16
        .size:           1
        .value_kind:     by_value
    .group_segment_fixed_size: 0
    .kernarg_segment_align: 8
    .kernarg_segment_size: 20
    .language:       OpenCL C
    .language_version:
      - 2
      - 0
    .max_flat_workgroup_size: 256
    .name:           _Z9sort_keysILj256ELj64ELj8EiN10test_utils4lessEEvPKT2_PS2_T3_
    .private_segment_fixed_size: 0
    .sgpr_count:     0
    .sgpr_spill_count: 0
    .symbol:         _Z9sort_keysILj256ELj64ELj8EiN10test_utils4lessEEvPKT2_PS2_T3_.kd
    .uniform_work_group_size: 1
    .uses_dynamic_stack: false
    .vgpr_count:     0
    .vgpr_spill_count: 0
    .wavefront_size: 32
    .workgroup_processor_mode: 1
  - .args:
      - .address_space:  global
        .offset:         0
        .size:           8
        .value_kind:     global_buffer
      - .address_space:  global
        .offset:         8
        .size:           8
        .value_kind:     global_buffer
      - .offset:         16
        .size:           1
        .value_kind:     by_value
    .group_segment_fixed_size: 0
    .kernarg_segment_align: 8
    .kernarg_segment_size: 20
    .language:       OpenCL C
    .language_version:
      - 2
      - 0
    .max_flat_workgroup_size: 256
    .name:           _Z10sort_pairsILj256ELj64ELj8EiN10test_utils4lessEEvPKT2_PS2_T3_
    .private_segment_fixed_size: 0
    .sgpr_count:     0
    .sgpr_spill_count: 0
    .symbol:         _Z10sort_pairsILj256ELj64ELj8EiN10test_utils4lessEEvPKT2_PS2_T3_.kd
    .uniform_work_group_size: 1
    .uses_dynamic_stack: false
    .vgpr_count:     0
    .vgpr_spill_count: 0
    .wavefront_size: 32
    .workgroup_processor_mode: 1
  - .args:
      - .address_space:  global
        .offset:         0
        .size:           8
        .value_kind:     global_buffer
      - .address_space:  global
        .offset:         8
        .size:           8
        .value_kind:     global_buffer
      - .address_space:  global
        .offset:         16
        .size:           8
        .value_kind:     global_buffer
      - .offset:         24
        .size:           1
        .value_kind:     by_value
    .group_segment_fixed_size: 0
    .kernarg_segment_align: 8
    .kernarg_segment_size: 28
    .language:       OpenCL C
    .language_version:
      - 2
      - 0
    .max_flat_workgroup_size: 256
    .name:           _Z19sort_keys_segmentedILj256ELj64ELj8EiN10test_utils4lessEEvPKT2_PS2_PKjT3_
    .private_segment_fixed_size: 0
    .sgpr_count:     0
    .sgpr_spill_count: 0
    .symbol:         _Z19sort_keys_segmentedILj256ELj64ELj8EiN10test_utils4lessEEvPKT2_PS2_PKjT3_.kd
    .uniform_work_group_size: 1
    .uses_dynamic_stack: false
    .vgpr_count:     0
    .vgpr_spill_count: 0
    .wavefront_size: 32
    .workgroup_processor_mode: 1
  - .args:
      - .address_space:  global
        .offset:         0
        .size:           8
        .value_kind:     global_buffer
      - .address_space:  global
        .offset:         8
        .size:           8
        .value_kind:     global_buffer
      - .address_space:  global
        .offset:         16
        .size:           8
        .value_kind:     global_buffer
      - .offset:         24
        .size:           1
        .value_kind:     by_value
    .group_segment_fixed_size: 0
    .kernarg_segment_align: 8
    .kernarg_segment_size: 28
    .language:       OpenCL C
    .language_version:
      - 2
      - 0
    .max_flat_workgroup_size: 256
    .name:           _Z20sort_pairs_segmentedILj256ELj64ELj8EiN10test_utils4lessEEvPKT2_PS2_PKjT3_
    .private_segment_fixed_size: 0
    .sgpr_count:     0
    .sgpr_spill_count: 0
    .symbol:         _Z20sort_pairs_segmentedILj256ELj64ELj8EiN10test_utils4lessEEvPKT2_PS2_PKjT3_.kd
    .uniform_work_group_size: 1
    .uses_dynamic_stack: false
    .vgpr_count:     0
    .vgpr_spill_count: 0
    .wavefront_size: 32
    .workgroup_processor_mode: 1
  - .args:
      - .address_space:  global
        .offset:         0
        .size:           8
        .value_kind:     global_buffer
      - .address_space:  global
        .offset:         8
        .size:           8
        .value_kind:     global_buffer
      - .offset:         16
        .size:           1
        .value_kind:     by_value
    .group_segment_fixed_size: 320
    .kernarg_segment_align: 8
    .kernarg_segment_size: 20
    .language:       OpenCL C
    .language_version:
      - 2
      - 0
    .max_flat_workgroup_size: 256
    .name:           _Z9sort_keysILj256ELj4ELj1EaN10test_utils4lessEEvPKT2_PS2_T3_
    .private_segment_fixed_size: 0
    .sgpr_count:     18
    .sgpr_spill_count: 0
    .symbol:         _Z9sort_keysILj256ELj4ELj1EaN10test_utils4lessEEvPKT2_PS2_T3_.kd
    .uniform_work_group_size: 1
    .uses_dynamic_stack: false
    .vgpr_count:     15
    .vgpr_spill_count: 0
    .wavefront_size: 32
    .workgroup_processor_mode: 1
  - .args:
      - .address_space:  global
        .offset:         0
        .size:           8
        .value_kind:     global_buffer
      - .address_space:  global
        .offset:         8
        .size:           8
        .value_kind:     global_buffer
      - .offset:         16
        .size:           1
        .value_kind:     by_value
    .group_segment_fixed_size: 320
    .kernarg_segment_align: 8
    .kernarg_segment_size: 20
    .language:       OpenCL C
    .language_version:
      - 2
      - 0
    .max_flat_workgroup_size: 256
    .name:           _Z10sort_pairsILj256ELj4ELj1EaN10test_utils4lessEEvPKT2_PS2_T3_
    .private_segment_fixed_size: 0
    .sgpr_count:     18
    .sgpr_spill_count: 0
    .symbol:         _Z10sort_pairsILj256ELj4ELj1EaN10test_utils4lessEEvPKT2_PS2_T3_.kd
    .uniform_work_group_size: 1
    .uses_dynamic_stack: false
    .vgpr_count:     16
    .vgpr_spill_count: 0
    .wavefront_size: 32
    .workgroup_processor_mode: 1
  - .args:
      - .address_space:  global
        .offset:         0
        .size:           8
        .value_kind:     global_buffer
      - .address_space:  global
        .offset:         8
        .size:           8
        .value_kind:     global_buffer
      - .address_space:  global
        .offset:         16
        .size:           8
        .value_kind:     global_buffer
      - .offset:         24
        .size:           1
        .value_kind:     by_value
    .group_segment_fixed_size: 320
    .kernarg_segment_align: 8
    .kernarg_segment_size: 28
    .language:       OpenCL C
    .language_version:
      - 2
      - 0
    .max_flat_workgroup_size: 256
    .name:           _Z19sort_keys_segmentedILj256ELj4ELj1EaN10test_utils4lessEEvPKT2_PS2_PKjT3_
    .private_segment_fixed_size: 0
    .sgpr_count:     18
    .sgpr_spill_count: 0
    .symbol:         _Z19sort_keys_segmentedILj256ELj4ELj1EaN10test_utils4lessEEvPKT2_PS2_PKjT3_.kd
    .uniform_work_group_size: 1
    .uses_dynamic_stack: false
    .vgpr_count:     17
    .vgpr_spill_count: 0
    .wavefront_size: 32
    .workgroup_processor_mode: 1
  - .args:
      - .address_space:  global
        .offset:         0
        .size:           8
        .value_kind:     global_buffer
      - .address_space:  global
        .offset:         8
        .size:           8
        .value_kind:     global_buffer
      - .address_space:  global
        .offset:         16
        .size:           8
        .value_kind:     global_buffer
      - .offset:         24
        .size:           1
        .value_kind:     by_value
    .group_segment_fixed_size: 320
    .kernarg_segment_align: 8
    .kernarg_segment_size: 28
    .language:       OpenCL C
    .language_version:
      - 2
      - 0
    .max_flat_workgroup_size: 256
    .name:           _Z20sort_pairs_segmentedILj256ELj4ELj1EaN10test_utils4lessEEvPKT2_PS2_PKjT3_
    .private_segment_fixed_size: 0
    .sgpr_count:     18
    .sgpr_spill_count: 0
    .symbol:         _Z20sort_pairs_segmentedILj256ELj4ELj1EaN10test_utils4lessEEvPKT2_PS2_PKjT3_.kd
    .uniform_work_group_size: 1
    .uses_dynamic_stack: false
    .vgpr_count:     18
    .vgpr_spill_count: 0
    .wavefront_size: 32
    .workgroup_processor_mode: 1
  - .args:
      - .address_space:  global
        .offset:         0
        .size:           8
        .value_kind:     global_buffer
      - .address_space:  global
        .offset:         8
        .size:           8
        .value_kind:     global_buffer
      - .offset:         16
        .size:           1
        .value_kind:     by_value
    .group_segment_fixed_size: 1088
    .kernarg_segment_align: 8
    .kernarg_segment_size: 20
    .language:       OpenCL C
    .language_version:
      - 2
      - 0
    .max_flat_workgroup_size: 256
    .name:           _Z9sort_keysILj256ELj4ELj4EaN10test_utils4lessEEvPKT2_PS2_T3_
    .private_segment_fixed_size: 0
    .sgpr_count:     18
    .sgpr_spill_count: 0
    .symbol:         _Z9sort_keysILj256ELj4ELj4EaN10test_utils4lessEEvPKT2_PS2_T3_.kd
    .uniform_work_group_size: 1
    .uses_dynamic_stack: false
    .vgpr_count:     20
    .vgpr_spill_count: 0
    .wavefront_size: 32
    .workgroup_processor_mode: 1
  - .args:
      - .address_space:  global
        .offset:         0
        .size:           8
        .value_kind:     global_buffer
      - .address_space:  global
        .offset:         8
        .size:           8
        .value_kind:     global_buffer
      - .offset:         16
        .size:           1
        .value_kind:     by_value
    .group_segment_fixed_size: 1088
    .kernarg_segment_align: 8
    .kernarg_segment_size: 20
    .language:       OpenCL C
    .language_version:
      - 2
      - 0
    .max_flat_workgroup_size: 256
    .name:           _Z10sort_pairsILj256ELj4ELj4EaN10test_utils4lessEEvPKT2_PS2_T3_
    .private_segment_fixed_size: 0
    .sgpr_count:     18
    .sgpr_spill_count: 0
    .symbol:         _Z10sort_pairsILj256ELj4ELj4EaN10test_utils4lessEEvPKT2_PS2_T3_.kd
    .uniform_work_group_size: 1
    .uses_dynamic_stack: false
    .vgpr_count:     26
    .vgpr_spill_count: 0
    .wavefront_size: 32
    .workgroup_processor_mode: 1
  - .args:
      - .address_space:  global
        .offset:         0
        .size:           8
        .value_kind:     global_buffer
      - .address_space:  global
        .offset:         8
        .size:           8
        .value_kind:     global_buffer
      - .address_space:  global
        .offset:         16
        .size:           8
        .value_kind:     global_buffer
      - .offset:         24
        .size:           1
        .value_kind:     by_value
    .group_segment_fixed_size: 1088
    .kernarg_segment_align: 8
    .kernarg_segment_size: 28
    .language:       OpenCL C
    .language_version:
      - 2
      - 0
    .max_flat_workgroup_size: 256
    .name:           _Z19sort_keys_segmentedILj256ELj4ELj4EaN10test_utils4lessEEvPKT2_PS2_PKjT3_
    .private_segment_fixed_size: 0
    .sgpr_count:     18
    .sgpr_spill_count: 0
    .symbol:         _Z19sort_keys_segmentedILj256ELj4ELj4EaN10test_utils4lessEEvPKT2_PS2_PKjT3_.kd
    .uniform_work_group_size: 1
    .uses_dynamic_stack: false
    .vgpr_count:     22
    .vgpr_spill_count: 0
    .wavefront_size: 32
    .workgroup_processor_mode: 1
  - .args:
      - .address_space:  global
        .offset:         0
        .size:           8
        .value_kind:     global_buffer
      - .address_space:  global
        .offset:         8
        .size:           8
        .value_kind:     global_buffer
      - .address_space:  global
        .offset:         16
        .size:           8
        .value_kind:     global_buffer
      - .offset:         24
        .size:           1
        .value_kind:     by_value
    .group_segment_fixed_size: 1088
    .kernarg_segment_align: 8
    .kernarg_segment_size: 28
    .language:       OpenCL C
    .language_version:
      - 2
      - 0
    .max_flat_workgroup_size: 256
    .name:           _Z20sort_pairs_segmentedILj256ELj4ELj4EaN10test_utils4lessEEvPKT2_PS2_PKjT3_
    .private_segment_fixed_size: 0
    .sgpr_count:     18
    .sgpr_spill_count: 0
    .symbol:         _Z20sort_pairs_segmentedILj256ELj4ELj4EaN10test_utils4lessEEvPKT2_PS2_PKjT3_.kd
    .uniform_work_group_size: 1
    .uses_dynamic_stack: false
    .vgpr_count:     27
    .vgpr_spill_count: 0
    .wavefront_size: 32
    .workgroup_processor_mode: 1
  - .args:
      - .address_space:  global
        .offset:         0
        .size:           8
        .value_kind:     global_buffer
      - .address_space:  global
        .offset:         8
        .size:           8
        .value_kind:     global_buffer
      - .offset:         16
        .size:           1
        .value_kind:     by_value
    .group_segment_fixed_size: 2112
    .kernarg_segment_align: 8
    .kernarg_segment_size: 20
    .language:       OpenCL C
    .language_version:
      - 2
      - 0
    .max_flat_workgroup_size: 256
    .name:           _Z9sort_keysILj256ELj4ELj8EaN10test_utils4lessEEvPKT2_PS2_T3_
    .private_segment_fixed_size: 0
    .sgpr_count:     18
    .sgpr_spill_count: 0
    .symbol:         _Z9sort_keysILj256ELj4ELj8EaN10test_utils4lessEEvPKT2_PS2_T3_.kd
    .uniform_work_group_size: 1
    .uses_dynamic_stack: false
    .vgpr_count:     30
    .vgpr_spill_count: 0
    .wavefront_size: 32
    .workgroup_processor_mode: 1
  - .args:
      - .address_space:  global
        .offset:         0
        .size:           8
        .value_kind:     global_buffer
      - .address_space:  global
        .offset:         8
        .size:           8
        .value_kind:     global_buffer
      - .offset:         16
        .size:           1
        .value_kind:     by_value
    .group_segment_fixed_size: 2112
    .kernarg_segment_align: 8
    .kernarg_segment_size: 20
    .language:       OpenCL C
    .language_version:
      - 2
      - 0
    .max_flat_workgroup_size: 256
    .name:           _Z10sort_pairsILj256ELj4ELj8EaN10test_utils4lessEEvPKT2_PS2_T3_
    .private_segment_fixed_size: 0
    .sgpr_count:     43
    .sgpr_spill_count: 0
    .symbol:         _Z10sort_pairsILj256ELj4ELj8EaN10test_utils4lessEEvPKT2_PS2_T3_.kd
    .uniform_work_group_size: 1
    .uses_dynamic_stack: false
    .vgpr_count:     46
    .vgpr_spill_count: 0
    .wavefront_size: 32
    .workgroup_processor_mode: 1
  - .args:
      - .address_space:  global
        .offset:         0
        .size:           8
        .value_kind:     global_buffer
      - .address_space:  global
        .offset:         8
        .size:           8
        .value_kind:     global_buffer
      - .address_space:  global
        .offset:         16
        .size:           8
        .value_kind:     global_buffer
      - .offset:         24
        .size:           1
        .value_kind:     by_value
    .group_segment_fixed_size: 2112
    .kernarg_segment_align: 8
    .kernarg_segment_size: 28
    .language:       OpenCL C
    .language_version:
      - 2
      - 0
    .max_flat_workgroup_size: 256
    .name:           _Z19sort_keys_segmentedILj256ELj4ELj8EaN10test_utils4lessEEvPKT2_PS2_PKjT3_
    .private_segment_fixed_size: 0
    .sgpr_count:     22
    .sgpr_spill_count: 0
    .symbol:         _Z19sort_keys_segmentedILj256ELj4ELj8EaN10test_utils4lessEEvPKT2_PS2_PKjT3_.kd
    .uniform_work_group_size: 1
    .uses_dynamic_stack: false
    .vgpr_count:     33
    .vgpr_spill_count: 0
    .wavefront_size: 32
    .workgroup_processor_mode: 1
  - .args:
      - .address_space:  global
        .offset:         0
        .size:           8
        .value_kind:     global_buffer
      - .address_space:  global
        .offset:         8
        .size:           8
        .value_kind:     global_buffer
      - .address_space:  global
        .offset:         16
        .size:           8
        .value_kind:     global_buffer
      - .offset:         24
        .size:           1
        .value_kind:     by_value
    .group_segment_fixed_size: 2112
    .kernarg_segment_align: 8
    .kernarg_segment_size: 28
    .language:       OpenCL C
    .language_version:
      - 2
      - 0
    .max_flat_workgroup_size: 256
    .name:           _Z20sort_pairs_segmentedILj256ELj4ELj8EaN10test_utils4lessEEvPKT2_PS2_PKjT3_
    .private_segment_fixed_size: 0
    .sgpr_count:     22
    .sgpr_spill_count: 0
    .symbol:         _Z20sort_pairs_segmentedILj256ELj4ELj8EaN10test_utils4lessEEvPKT2_PS2_PKjT3_.kd
    .uniform_work_group_size: 1
    .uses_dynamic_stack: false
    .vgpr_count:     46
    .vgpr_spill_count: 0
    .wavefront_size: 32
    .workgroup_processor_mode: 1
  - .args:
      - .address_space:  global
        .offset:         0
        .size:           8
        .value_kind:     global_buffer
      - .address_space:  global
        .offset:         8
        .size:           8
        .value_kind:     global_buffer
      - .offset:         16
        .size:           1
        .value_kind:     by_value
    .group_segment_fixed_size: 272
    .kernarg_segment_align: 8
    .kernarg_segment_size: 20
    .language:       OpenCL C
    .language_version:
      - 2
      - 0
    .max_flat_workgroup_size: 256
    .name:           _Z9sort_keysILj256ELj16ELj1EaN10test_utils4lessEEvPKT2_PS2_T3_
    .private_segment_fixed_size: 0
    .sgpr_count:     18
    .sgpr_spill_count: 0
    .symbol:         _Z9sort_keysILj256ELj16ELj1EaN10test_utils4lessEEvPKT2_PS2_T3_.kd
    .uniform_work_group_size: 1
    .uses_dynamic_stack: false
    .vgpr_count:     17
    .vgpr_spill_count: 0
    .wavefront_size: 32
    .workgroup_processor_mode: 1
  - .args:
      - .address_space:  global
        .offset:         0
        .size:           8
        .value_kind:     global_buffer
      - .address_space:  global
        .offset:         8
        .size:           8
        .value_kind:     global_buffer
      - .offset:         16
        .size:           1
        .value_kind:     by_value
    .group_segment_fixed_size: 272
    .kernarg_segment_align: 8
    .kernarg_segment_size: 20
    .language:       OpenCL C
    .language_version:
      - 2
      - 0
    .max_flat_workgroup_size: 256
    .name:           _Z10sort_pairsILj256ELj16ELj1EaN10test_utils4lessEEvPKT2_PS2_T3_
    .private_segment_fixed_size: 0
    .sgpr_count:     18
    .sgpr_spill_count: 0
    .symbol:         _Z10sort_pairsILj256ELj16ELj1EaN10test_utils4lessEEvPKT2_PS2_T3_.kd
    .uniform_work_group_size: 1
    .uses_dynamic_stack: false
    .vgpr_count:     18
    .vgpr_spill_count: 0
    .wavefront_size: 32
    .workgroup_processor_mode: 1
  - .args:
      - .address_space:  global
        .offset:         0
        .size:           8
        .value_kind:     global_buffer
      - .address_space:  global
        .offset:         8
        .size:           8
        .value_kind:     global_buffer
      - .address_space:  global
        .offset:         16
        .size:           8
        .value_kind:     global_buffer
      - .offset:         24
        .size:           1
        .value_kind:     by_value
    .group_segment_fixed_size: 272
    .kernarg_segment_align: 8
    .kernarg_segment_size: 28
    .language:       OpenCL C
    .language_version:
      - 2
      - 0
    .max_flat_workgroup_size: 256
    .name:           _Z19sort_keys_segmentedILj256ELj16ELj1EaN10test_utils4lessEEvPKT2_PS2_PKjT3_
    .private_segment_fixed_size: 0
    .sgpr_count:     18
    .sgpr_spill_count: 0
    .symbol:         _Z19sort_keys_segmentedILj256ELj16ELj1EaN10test_utils4lessEEvPKT2_PS2_PKjT3_.kd
    .uniform_work_group_size: 1
    .uses_dynamic_stack: false
    .vgpr_count:     19
    .vgpr_spill_count: 0
    .wavefront_size: 32
    .workgroup_processor_mode: 1
  - .args:
      - .address_space:  global
        .offset:         0
        .size:           8
        .value_kind:     global_buffer
      - .address_space:  global
        .offset:         8
        .size:           8
        .value_kind:     global_buffer
      - .address_space:  global
        .offset:         16
        .size:           8
        .value_kind:     global_buffer
      - .offset:         24
        .size:           1
        .value_kind:     by_value
    .group_segment_fixed_size: 272
    .kernarg_segment_align: 8
    .kernarg_segment_size: 28
    .language:       OpenCL C
    .language_version:
      - 2
      - 0
    .max_flat_workgroup_size: 256
    .name:           _Z20sort_pairs_segmentedILj256ELj16ELj1EaN10test_utils4lessEEvPKT2_PS2_PKjT3_
    .private_segment_fixed_size: 0
    .sgpr_count:     18
    .sgpr_spill_count: 0
    .symbol:         _Z20sort_pairs_segmentedILj256ELj16ELj1EaN10test_utils4lessEEvPKT2_PS2_PKjT3_.kd
    .uniform_work_group_size: 1
    .uses_dynamic_stack: false
    .vgpr_count:     20
    .vgpr_spill_count: 0
    .wavefront_size: 32
    .workgroup_processor_mode: 1
  - .args:
      - .address_space:  global
        .offset:         0
        .size:           8
        .value_kind:     global_buffer
      - .address_space:  global
        .offset:         8
        .size:           8
        .value_kind:     global_buffer
      - .offset:         16
        .size:           1
        .value_kind:     by_value
    .group_segment_fixed_size: 1040
    .kernarg_segment_align: 8
    .kernarg_segment_size: 20
    .language:       OpenCL C
    .language_version:
      - 2
      - 0
    .max_flat_workgroup_size: 256
    .name:           _Z9sort_keysILj256ELj16ELj4EaN10test_utils4lessEEvPKT2_PS2_T3_
    .private_segment_fixed_size: 0
    .sgpr_count:     18
    .sgpr_spill_count: 0
    .symbol:         _Z9sort_keysILj256ELj16ELj4EaN10test_utils4lessEEvPKT2_PS2_T3_.kd
    .uniform_work_group_size: 1
    .uses_dynamic_stack: false
    .vgpr_count:     23
    .vgpr_spill_count: 0
    .wavefront_size: 32
    .workgroup_processor_mode: 1
  - .args:
      - .address_space:  global
        .offset:         0
        .size:           8
        .value_kind:     global_buffer
      - .address_space:  global
        .offset:         8
        .size:           8
        .value_kind:     global_buffer
      - .offset:         16
        .size:           1
        .value_kind:     by_value
    .group_segment_fixed_size: 1040
    .kernarg_segment_align: 8
    .kernarg_segment_size: 20
    .language:       OpenCL C
    .language_version:
      - 2
      - 0
    .max_flat_workgroup_size: 256
    .name:           _Z10sort_pairsILj256ELj16ELj4EaN10test_utils4lessEEvPKT2_PS2_T3_
    .private_segment_fixed_size: 0
    .sgpr_count:     18
    .sgpr_spill_count: 0
    .symbol:         _Z10sort_pairsILj256ELj16ELj4EaN10test_utils4lessEEvPKT2_PS2_T3_.kd
    .uniform_work_group_size: 1
    .uses_dynamic_stack: false
    .vgpr_count:     29
    .vgpr_spill_count: 0
    .wavefront_size: 32
    .workgroup_processor_mode: 1
  - .args:
      - .address_space:  global
        .offset:         0
        .size:           8
        .value_kind:     global_buffer
      - .address_space:  global
        .offset:         8
        .size:           8
        .value_kind:     global_buffer
      - .address_space:  global
        .offset:         16
        .size:           8
        .value_kind:     global_buffer
      - .offset:         24
        .size:           1
        .value_kind:     by_value
    .group_segment_fixed_size: 1040
    .kernarg_segment_align: 8
    .kernarg_segment_size: 28
    .language:       OpenCL C
    .language_version:
      - 2
      - 0
    .max_flat_workgroup_size: 256
    .name:           _Z19sort_keys_segmentedILj256ELj16ELj4EaN10test_utils4lessEEvPKT2_PS2_PKjT3_
    .private_segment_fixed_size: 0
    .sgpr_count:     18
    .sgpr_spill_count: 0
    .symbol:         _Z19sort_keys_segmentedILj256ELj16ELj4EaN10test_utils4lessEEvPKT2_PS2_PKjT3_.kd
    .uniform_work_group_size: 1
    .uses_dynamic_stack: false
    .vgpr_count:     24
    .vgpr_spill_count: 0
    .wavefront_size: 32
    .workgroup_processor_mode: 1
  - .args:
      - .address_space:  global
        .offset:         0
        .size:           8
        .value_kind:     global_buffer
      - .address_space:  global
        .offset:         8
        .size:           8
        .value_kind:     global_buffer
      - .address_space:  global
        .offset:         16
        .size:           8
        .value_kind:     global_buffer
      - .offset:         24
        .size:           1
        .value_kind:     by_value
    .group_segment_fixed_size: 1040
    .kernarg_segment_align: 8
    .kernarg_segment_size: 28
    .language:       OpenCL C
    .language_version:
      - 2
      - 0
    .max_flat_workgroup_size: 256
    .name:           _Z20sort_pairs_segmentedILj256ELj16ELj4EaN10test_utils4lessEEvPKT2_PS2_PKjT3_
    .private_segment_fixed_size: 0
    .sgpr_count:     18
    .sgpr_spill_count: 0
    .symbol:         _Z20sort_pairs_segmentedILj256ELj16ELj4EaN10test_utils4lessEEvPKT2_PS2_PKjT3_.kd
    .uniform_work_group_size: 1
    .uses_dynamic_stack: false
    .vgpr_count:     31
    .vgpr_spill_count: 0
    .wavefront_size: 32
    .workgroup_processor_mode: 1
  - .args:
      - .address_space:  global
        .offset:         0
        .size:           8
        .value_kind:     global_buffer
      - .address_space:  global
        .offset:         8
        .size:           8
        .value_kind:     global_buffer
      - .offset:         16
        .size:           1
        .value_kind:     by_value
    .group_segment_fixed_size: 2064
    .kernarg_segment_align: 8
    .kernarg_segment_size: 20
    .language:       OpenCL C
    .language_version:
      - 2
      - 0
    .max_flat_workgroup_size: 256
    .name:           _Z9sort_keysILj256ELj16ELj8EaN10test_utils4lessEEvPKT2_PS2_T3_
    .private_segment_fixed_size: 0
    .sgpr_count:     18
    .sgpr_spill_count: 0
    .symbol:         _Z9sort_keysILj256ELj16ELj8EaN10test_utils4lessEEvPKT2_PS2_T3_.kd
    .uniform_work_group_size: 1
    .uses_dynamic_stack: false
    .vgpr_count:     30
    .vgpr_spill_count: 0
    .wavefront_size: 32
    .workgroup_processor_mode: 1
  - .args:
      - .address_space:  global
        .offset:         0
        .size:           8
        .value_kind:     global_buffer
      - .address_space:  global
        .offset:         8
        .size:           8
        .value_kind:     global_buffer
      - .offset:         16
        .size:           1
        .value_kind:     by_value
    .group_segment_fixed_size: 2064
    .kernarg_segment_align: 8
    .kernarg_segment_size: 20
    .language:       OpenCL C
    .language_version:
      - 2
      - 0
    .max_flat_workgroup_size: 256
    .name:           _Z10sort_pairsILj256ELj16ELj8EaN10test_utils4lessEEvPKT2_PS2_T3_
    .private_segment_fixed_size: 0
    .sgpr_count:     43
    .sgpr_spill_count: 0
    .symbol:         _Z10sort_pairsILj256ELj16ELj8EaN10test_utils4lessEEvPKT2_PS2_T3_.kd
    .uniform_work_group_size: 1
    .uses_dynamic_stack: false
    .vgpr_count:     47
    .vgpr_spill_count: 0
    .wavefront_size: 32
    .workgroup_processor_mode: 1
  - .args:
      - .address_space:  global
        .offset:         0
        .size:           8
        .value_kind:     global_buffer
      - .address_space:  global
        .offset:         8
        .size:           8
        .value_kind:     global_buffer
      - .address_space:  global
        .offset:         16
        .size:           8
        .value_kind:     global_buffer
      - .offset:         24
        .size:           1
        .value_kind:     by_value
    .group_segment_fixed_size: 2064
    .kernarg_segment_align: 8
    .kernarg_segment_size: 28
    .language:       OpenCL C
    .language_version:
      - 2
      - 0
    .max_flat_workgroup_size: 256
    .name:           _Z19sort_keys_segmentedILj256ELj16ELj8EaN10test_utils4lessEEvPKT2_PS2_PKjT3_
    .private_segment_fixed_size: 0
    .sgpr_count:     22
    .sgpr_spill_count: 0
    .symbol:         _Z19sort_keys_segmentedILj256ELj16ELj8EaN10test_utils4lessEEvPKT2_PS2_PKjT3_.kd
    .uniform_work_group_size: 1
    .uses_dynamic_stack: false
    .vgpr_count:     33
    .vgpr_spill_count: 0
    .wavefront_size: 32
    .workgroup_processor_mode: 1
  - .args:
      - .address_space:  global
        .offset:         0
        .size:           8
        .value_kind:     global_buffer
      - .address_space:  global
        .offset:         8
        .size:           8
        .value_kind:     global_buffer
      - .address_space:  global
        .offset:         16
        .size:           8
        .value_kind:     global_buffer
      - .offset:         24
        .size:           1
        .value_kind:     by_value
    .group_segment_fixed_size: 2064
    .kernarg_segment_align: 8
    .kernarg_segment_size: 28
    .language:       OpenCL C
    .language_version:
      - 2
      - 0
    .max_flat_workgroup_size: 256
    .name:           _Z20sort_pairs_segmentedILj256ELj16ELj8EaN10test_utils4lessEEvPKT2_PS2_PKjT3_
    .private_segment_fixed_size: 0
    .sgpr_count:     22
    .sgpr_spill_count: 0
    .symbol:         _Z20sort_pairs_segmentedILj256ELj16ELj8EaN10test_utils4lessEEvPKT2_PS2_PKjT3_.kd
    .uniform_work_group_size: 1
    .uses_dynamic_stack: false
    .vgpr_count:     48
    .vgpr_spill_count: 0
    .wavefront_size: 32
    .workgroup_processor_mode: 1
  - .args:
      - .address_space:  global
        .offset:         0
        .size:           8
        .value_kind:     global_buffer
      - .address_space:  global
        .offset:         8
        .size:           8
        .value_kind:     global_buffer
      - .offset:         16
        .size:           1
        .value_kind:     by_value
    .group_segment_fixed_size: 264
    .kernarg_segment_align: 8
    .kernarg_segment_size: 20
    .language:       OpenCL C
    .language_version:
      - 2
      - 0
    .max_flat_workgroup_size: 256
    .name:           _Z9sort_keysILj256ELj32ELj1EaN10test_utils4lessEEvPKT2_PS2_T3_
    .private_segment_fixed_size: 0
    .sgpr_count:     18
    .sgpr_spill_count: 0
    .symbol:         _Z9sort_keysILj256ELj32ELj1EaN10test_utils4lessEEvPKT2_PS2_T3_.kd
    .uniform_work_group_size: 1
    .uses_dynamic_stack: false
    .vgpr_count:     17
    .vgpr_spill_count: 0
    .wavefront_size: 32
    .workgroup_processor_mode: 1
  - .args:
      - .address_space:  global
        .offset:         0
        .size:           8
        .value_kind:     global_buffer
      - .address_space:  global
        .offset:         8
        .size:           8
        .value_kind:     global_buffer
      - .offset:         16
        .size:           1
        .value_kind:     by_value
    .group_segment_fixed_size: 264
    .kernarg_segment_align: 8
    .kernarg_segment_size: 20
    .language:       OpenCL C
    .language_version:
      - 2
      - 0
    .max_flat_workgroup_size: 256
    .name:           _Z10sort_pairsILj256ELj32ELj1EaN10test_utils4lessEEvPKT2_PS2_T3_
    .private_segment_fixed_size: 0
    .sgpr_count:     18
    .sgpr_spill_count: 0
    .symbol:         _Z10sort_pairsILj256ELj32ELj1EaN10test_utils4lessEEvPKT2_PS2_T3_.kd
    .uniform_work_group_size: 1
    .uses_dynamic_stack: false
    .vgpr_count:     17
    .vgpr_spill_count: 0
    .wavefront_size: 32
    .workgroup_processor_mode: 1
  - .args:
      - .address_space:  global
        .offset:         0
        .size:           8
        .value_kind:     global_buffer
      - .address_space:  global
        .offset:         8
        .size:           8
        .value_kind:     global_buffer
      - .address_space:  global
        .offset:         16
        .size:           8
        .value_kind:     global_buffer
      - .offset:         24
        .size:           1
        .value_kind:     by_value
    .group_segment_fixed_size: 264
    .kernarg_segment_align: 8
    .kernarg_segment_size: 28
    .language:       OpenCL C
    .language_version:
      - 2
      - 0
    .max_flat_workgroup_size: 256
    .name:           _Z19sort_keys_segmentedILj256ELj32ELj1EaN10test_utils4lessEEvPKT2_PS2_PKjT3_
    .private_segment_fixed_size: 0
    .sgpr_count:     18
    .sgpr_spill_count: 0
    .symbol:         _Z19sort_keys_segmentedILj256ELj32ELj1EaN10test_utils4lessEEvPKT2_PS2_PKjT3_.kd
    .uniform_work_group_size: 1
    .uses_dynamic_stack: false
    .vgpr_count:     18
    .vgpr_spill_count: 0
    .wavefront_size: 32
    .workgroup_processor_mode: 1
  - .args:
      - .address_space:  global
        .offset:         0
        .size:           8
        .value_kind:     global_buffer
      - .address_space:  global
        .offset:         8
        .size:           8
        .value_kind:     global_buffer
      - .address_space:  global
        .offset:         16
        .size:           8
        .value_kind:     global_buffer
      - .offset:         24
        .size:           1
        .value_kind:     by_value
    .group_segment_fixed_size: 264
    .kernarg_segment_align: 8
    .kernarg_segment_size: 28
    .language:       OpenCL C
    .language_version:
      - 2
      - 0
    .max_flat_workgroup_size: 256
    .name:           _Z20sort_pairs_segmentedILj256ELj32ELj1EaN10test_utils4lessEEvPKT2_PS2_PKjT3_
    .private_segment_fixed_size: 0
    .sgpr_count:     18
    .sgpr_spill_count: 0
    .symbol:         _Z20sort_pairs_segmentedILj256ELj32ELj1EaN10test_utils4lessEEvPKT2_PS2_PKjT3_.kd
    .uniform_work_group_size: 1
    .uses_dynamic_stack: false
    .vgpr_count:     18
    .vgpr_spill_count: 0
    .wavefront_size: 32
    .workgroup_processor_mode: 1
  - .args:
      - .address_space:  global
        .offset:         0
        .size:           8
        .value_kind:     global_buffer
      - .address_space:  global
        .offset:         8
        .size:           8
        .value_kind:     global_buffer
      - .offset:         16
        .size:           1
        .value_kind:     by_value
    .group_segment_fixed_size: 1032
    .kernarg_segment_align: 8
    .kernarg_segment_size: 20
    .language:       OpenCL C
    .language_version:
      - 2
      - 0
    .max_flat_workgroup_size: 256
    .name:           _Z9sort_keysILj256ELj32ELj4EaN10test_utils4lessEEvPKT2_PS2_T3_
    .private_segment_fixed_size: 0
    .sgpr_count:     18
    .sgpr_spill_count: 0
    .symbol:         _Z9sort_keysILj256ELj32ELj4EaN10test_utils4lessEEvPKT2_PS2_T3_.kd
    .uniform_work_group_size: 1
    .uses_dynamic_stack: false
    .vgpr_count:     22
    .vgpr_spill_count: 0
    .wavefront_size: 32
    .workgroup_processor_mode: 1
  - .args:
      - .address_space:  global
        .offset:         0
        .size:           8
        .value_kind:     global_buffer
      - .address_space:  global
        .offset:         8
        .size:           8
        .value_kind:     global_buffer
      - .offset:         16
        .size:           1
        .value_kind:     by_value
    .group_segment_fixed_size: 1032
    .kernarg_segment_align: 8
    .kernarg_segment_size: 20
    .language:       OpenCL C
    .language_version:
      - 2
      - 0
    .max_flat_workgroup_size: 256
    .name:           _Z10sort_pairsILj256ELj32ELj4EaN10test_utils4lessEEvPKT2_PS2_T3_
    .private_segment_fixed_size: 0
    .sgpr_count:     18
    .sgpr_spill_count: 0
    .symbol:         _Z10sort_pairsILj256ELj32ELj4EaN10test_utils4lessEEvPKT2_PS2_T3_.kd
    .uniform_work_group_size: 1
    .uses_dynamic_stack: false
    .vgpr_count:     28
    .vgpr_spill_count: 0
    .wavefront_size: 32
    .workgroup_processor_mode: 1
  - .args:
      - .address_space:  global
        .offset:         0
        .size:           8
        .value_kind:     global_buffer
      - .address_space:  global
        .offset:         8
        .size:           8
        .value_kind:     global_buffer
      - .address_space:  global
        .offset:         16
        .size:           8
        .value_kind:     global_buffer
      - .offset:         24
        .size:           1
        .value_kind:     by_value
    .group_segment_fixed_size: 1032
    .kernarg_segment_align: 8
    .kernarg_segment_size: 28
    .language:       OpenCL C
    .language_version:
      - 2
      - 0
    .max_flat_workgroup_size: 256
    .name:           _Z19sort_keys_segmentedILj256ELj32ELj4EaN10test_utils4lessEEvPKT2_PS2_PKjT3_
    .private_segment_fixed_size: 0
    .sgpr_count:     18
    .sgpr_spill_count: 0
    .symbol:         _Z19sort_keys_segmentedILj256ELj32ELj4EaN10test_utils4lessEEvPKT2_PS2_PKjT3_.kd
    .uniform_work_group_size: 1
    .uses_dynamic_stack: false
    .vgpr_count:     23
    .vgpr_spill_count: 0
    .wavefront_size: 32
    .workgroup_processor_mode: 1
  - .args:
      - .address_space:  global
        .offset:         0
        .size:           8
        .value_kind:     global_buffer
      - .address_space:  global
        .offset:         8
        .size:           8
        .value_kind:     global_buffer
      - .address_space:  global
        .offset:         16
        .size:           8
        .value_kind:     global_buffer
      - .offset:         24
        .size:           1
        .value_kind:     by_value
    .group_segment_fixed_size: 1032
    .kernarg_segment_align: 8
    .kernarg_segment_size: 28
    .language:       OpenCL C
    .language_version:
      - 2
      - 0
    .max_flat_workgroup_size: 256
    .name:           _Z20sort_pairs_segmentedILj256ELj32ELj4EaN10test_utils4lessEEvPKT2_PS2_PKjT3_
    .private_segment_fixed_size: 0
    .sgpr_count:     18
    .sgpr_spill_count: 0
    .symbol:         _Z20sort_pairs_segmentedILj256ELj32ELj4EaN10test_utils4lessEEvPKT2_PS2_PKjT3_.kd
    .uniform_work_group_size: 1
    .uses_dynamic_stack: false
    .vgpr_count:     30
    .vgpr_spill_count: 0
    .wavefront_size: 32
    .workgroup_processor_mode: 1
  - .args:
      - .address_space:  global
        .offset:         0
        .size:           8
        .value_kind:     global_buffer
      - .address_space:  global
        .offset:         8
        .size:           8
        .value_kind:     global_buffer
      - .offset:         16
        .size:           1
        .value_kind:     by_value
    .group_segment_fixed_size: 2056
    .kernarg_segment_align: 8
    .kernarg_segment_size: 20
    .language:       OpenCL C
    .language_version:
      - 2
      - 0
    .max_flat_workgroup_size: 256
    .name:           _Z9sort_keysILj256ELj32ELj8EaN10test_utils4lessEEvPKT2_PS2_T3_
    .private_segment_fixed_size: 0
    .sgpr_count:     18
    .sgpr_spill_count: 0
    .symbol:         _Z9sort_keysILj256ELj32ELj8EaN10test_utils4lessEEvPKT2_PS2_T3_.kd
    .uniform_work_group_size: 1
    .uses_dynamic_stack: false
    .vgpr_count:     30
    .vgpr_spill_count: 0
    .wavefront_size: 32
    .workgroup_processor_mode: 1
  - .args:
      - .address_space:  global
        .offset:         0
        .size:           8
        .value_kind:     global_buffer
      - .address_space:  global
        .offset:         8
        .size:           8
        .value_kind:     global_buffer
      - .offset:         16
        .size:           1
        .value_kind:     by_value
    .group_segment_fixed_size: 2056
    .kernarg_segment_align: 8
    .kernarg_segment_size: 20
    .language:       OpenCL C
    .language_version:
      - 2
      - 0
    .max_flat_workgroup_size: 256
    .name:           _Z10sort_pairsILj256ELj32ELj8EaN10test_utils4lessEEvPKT2_PS2_T3_
    .private_segment_fixed_size: 0
    .sgpr_count:     43
    .sgpr_spill_count: 0
    .symbol:         _Z10sort_pairsILj256ELj32ELj8EaN10test_utils4lessEEvPKT2_PS2_T3_.kd
    .uniform_work_group_size: 1
    .uses_dynamic_stack: false
    .vgpr_count:     46
    .vgpr_spill_count: 0
    .wavefront_size: 32
    .workgroup_processor_mode: 1
  - .args:
      - .address_space:  global
        .offset:         0
        .size:           8
        .value_kind:     global_buffer
      - .address_space:  global
        .offset:         8
        .size:           8
        .value_kind:     global_buffer
      - .address_space:  global
        .offset:         16
        .size:           8
        .value_kind:     global_buffer
      - .offset:         24
        .size:           1
        .value_kind:     by_value
    .group_segment_fixed_size: 2056
    .kernarg_segment_align: 8
    .kernarg_segment_size: 28
    .language:       OpenCL C
    .language_version:
      - 2
      - 0
    .max_flat_workgroup_size: 256
    .name:           _Z19sort_keys_segmentedILj256ELj32ELj8EaN10test_utils4lessEEvPKT2_PS2_PKjT3_
    .private_segment_fixed_size: 0
    .sgpr_count:     22
    .sgpr_spill_count: 0
    .symbol:         _Z19sort_keys_segmentedILj256ELj32ELj8EaN10test_utils4lessEEvPKT2_PS2_PKjT3_.kd
    .uniform_work_group_size: 1
    .uses_dynamic_stack: false
    .vgpr_count:     32
    .vgpr_spill_count: 0
    .wavefront_size: 32
    .workgroup_processor_mode: 1
  - .args:
      - .address_space:  global
        .offset:         0
        .size:           8
        .value_kind:     global_buffer
      - .address_space:  global
        .offset:         8
        .size:           8
        .value_kind:     global_buffer
      - .address_space:  global
        .offset:         16
        .size:           8
        .value_kind:     global_buffer
      - .offset:         24
        .size:           1
        .value_kind:     by_value
    .group_segment_fixed_size: 2056
    .kernarg_segment_align: 8
    .kernarg_segment_size: 28
    .language:       OpenCL C
    .language_version:
      - 2
      - 0
    .max_flat_workgroup_size: 256
    .name:           _Z20sort_pairs_segmentedILj256ELj32ELj8EaN10test_utils4lessEEvPKT2_PS2_PKjT3_
    .private_segment_fixed_size: 0
    .sgpr_count:     22
    .sgpr_spill_count: 0
    .symbol:         _Z20sort_pairs_segmentedILj256ELj32ELj8EaN10test_utils4lessEEvPKT2_PS2_PKjT3_.kd
    .uniform_work_group_size: 1
    .uses_dynamic_stack: false
    .vgpr_count:     47
    .vgpr_spill_count: 0
    .wavefront_size: 32
    .workgroup_processor_mode: 1
  - .args:
      - .address_space:  global
        .offset:         0
        .size:           8
        .value_kind:     global_buffer
      - .address_space:  global
        .offset:         8
        .size:           8
        .value_kind:     global_buffer
      - .offset:         16
        .size:           1
        .value_kind:     by_value
    .group_segment_fixed_size: 0
    .kernarg_segment_align: 8
    .kernarg_segment_size: 20
    .language:       OpenCL C
    .language_version:
      - 2
      - 0
    .max_flat_workgroup_size: 256
    .name:           _Z9sort_keysILj256ELj64ELj1EaN10test_utils4lessEEvPKT2_PS2_T3_
    .private_segment_fixed_size: 0
    .sgpr_count:     0
    .sgpr_spill_count: 0
    .symbol:         _Z9sort_keysILj256ELj64ELj1EaN10test_utils4lessEEvPKT2_PS2_T3_.kd
    .uniform_work_group_size: 1
    .uses_dynamic_stack: false
    .vgpr_count:     0
    .vgpr_spill_count: 0
    .wavefront_size: 32
    .workgroup_processor_mode: 1
  - .args:
      - .address_space:  global
        .offset:         0
        .size:           8
        .value_kind:     global_buffer
      - .address_space:  global
        .offset:         8
        .size:           8
        .value_kind:     global_buffer
      - .offset:         16
        .size:           1
        .value_kind:     by_value
    .group_segment_fixed_size: 0
    .kernarg_segment_align: 8
    .kernarg_segment_size: 20
    .language:       OpenCL C
    .language_version:
      - 2
      - 0
    .max_flat_workgroup_size: 256
    .name:           _Z10sort_pairsILj256ELj64ELj1EaN10test_utils4lessEEvPKT2_PS2_T3_
    .private_segment_fixed_size: 0
    .sgpr_count:     0
    .sgpr_spill_count: 0
    .symbol:         _Z10sort_pairsILj256ELj64ELj1EaN10test_utils4lessEEvPKT2_PS2_T3_.kd
    .uniform_work_group_size: 1
    .uses_dynamic_stack: false
    .vgpr_count:     0
    .vgpr_spill_count: 0
    .wavefront_size: 32
    .workgroup_processor_mode: 1
  - .args:
      - .address_space:  global
        .offset:         0
        .size:           8
        .value_kind:     global_buffer
      - .address_space:  global
        .offset:         8
        .size:           8
        .value_kind:     global_buffer
      - .address_space:  global
        .offset:         16
        .size:           8
        .value_kind:     global_buffer
      - .offset:         24
        .size:           1
        .value_kind:     by_value
    .group_segment_fixed_size: 0
    .kernarg_segment_align: 8
    .kernarg_segment_size: 28
    .language:       OpenCL C
    .language_version:
      - 2
      - 0
    .max_flat_workgroup_size: 256
    .name:           _Z19sort_keys_segmentedILj256ELj64ELj1EaN10test_utils4lessEEvPKT2_PS2_PKjT3_
    .private_segment_fixed_size: 0
    .sgpr_count:     0
    .sgpr_spill_count: 0
    .symbol:         _Z19sort_keys_segmentedILj256ELj64ELj1EaN10test_utils4lessEEvPKT2_PS2_PKjT3_.kd
    .uniform_work_group_size: 1
    .uses_dynamic_stack: false
    .vgpr_count:     0
    .vgpr_spill_count: 0
    .wavefront_size: 32
    .workgroup_processor_mode: 1
  - .args:
      - .address_space:  global
        .offset:         0
        .size:           8
        .value_kind:     global_buffer
      - .address_space:  global
        .offset:         8
        .size:           8
        .value_kind:     global_buffer
      - .address_space:  global
        .offset:         16
        .size:           8
        .value_kind:     global_buffer
      - .offset:         24
        .size:           1
        .value_kind:     by_value
    .group_segment_fixed_size: 0
    .kernarg_segment_align: 8
    .kernarg_segment_size: 28
    .language:       OpenCL C
    .language_version:
      - 2
      - 0
    .max_flat_workgroup_size: 256
    .name:           _Z20sort_pairs_segmentedILj256ELj64ELj1EaN10test_utils4lessEEvPKT2_PS2_PKjT3_
    .private_segment_fixed_size: 0
    .sgpr_count:     0
    .sgpr_spill_count: 0
    .symbol:         _Z20sort_pairs_segmentedILj256ELj64ELj1EaN10test_utils4lessEEvPKT2_PS2_PKjT3_.kd
    .uniform_work_group_size: 1
    .uses_dynamic_stack: false
    .vgpr_count:     0
    .vgpr_spill_count: 0
    .wavefront_size: 32
    .workgroup_processor_mode: 1
  - .args:
      - .address_space:  global
        .offset:         0
        .size:           8
        .value_kind:     global_buffer
      - .address_space:  global
        .offset:         8
        .size:           8
        .value_kind:     global_buffer
      - .offset:         16
        .size:           1
        .value_kind:     by_value
    .group_segment_fixed_size: 0
    .kernarg_segment_align: 8
    .kernarg_segment_size: 20
    .language:       OpenCL C
    .language_version:
      - 2
      - 0
    .max_flat_workgroup_size: 256
    .name:           _Z9sort_keysILj256ELj64ELj4EaN10test_utils4lessEEvPKT2_PS2_T3_
    .private_segment_fixed_size: 0
    .sgpr_count:     0
    .sgpr_spill_count: 0
    .symbol:         _Z9sort_keysILj256ELj64ELj4EaN10test_utils4lessEEvPKT2_PS2_T3_.kd
    .uniform_work_group_size: 1
    .uses_dynamic_stack: false
    .vgpr_count:     0
    .vgpr_spill_count: 0
    .wavefront_size: 32
    .workgroup_processor_mode: 1
  - .args:
      - .address_space:  global
        .offset:         0
        .size:           8
        .value_kind:     global_buffer
      - .address_space:  global
        .offset:         8
        .size:           8
        .value_kind:     global_buffer
      - .offset:         16
        .size:           1
        .value_kind:     by_value
    .group_segment_fixed_size: 0
    .kernarg_segment_align: 8
    .kernarg_segment_size: 20
    .language:       OpenCL C
    .language_version:
      - 2
      - 0
    .max_flat_workgroup_size: 256
    .name:           _Z10sort_pairsILj256ELj64ELj4EaN10test_utils4lessEEvPKT2_PS2_T3_
    .private_segment_fixed_size: 0
    .sgpr_count:     0
    .sgpr_spill_count: 0
    .symbol:         _Z10sort_pairsILj256ELj64ELj4EaN10test_utils4lessEEvPKT2_PS2_T3_.kd
    .uniform_work_group_size: 1
    .uses_dynamic_stack: false
    .vgpr_count:     0
    .vgpr_spill_count: 0
    .wavefront_size: 32
    .workgroup_processor_mode: 1
  - .args:
      - .address_space:  global
        .offset:         0
        .size:           8
        .value_kind:     global_buffer
      - .address_space:  global
        .offset:         8
        .size:           8
        .value_kind:     global_buffer
      - .address_space:  global
        .offset:         16
        .size:           8
        .value_kind:     global_buffer
      - .offset:         24
        .size:           1
        .value_kind:     by_value
    .group_segment_fixed_size: 0
    .kernarg_segment_align: 8
    .kernarg_segment_size: 28
    .language:       OpenCL C
    .language_version:
      - 2
      - 0
    .max_flat_workgroup_size: 256
    .name:           _Z19sort_keys_segmentedILj256ELj64ELj4EaN10test_utils4lessEEvPKT2_PS2_PKjT3_
    .private_segment_fixed_size: 0
    .sgpr_count:     0
    .sgpr_spill_count: 0
    .symbol:         _Z19sort_keys_segmentedILj256ELj64ELj4EaN10test_utils4lessEEvPKT2_PS2_PKjT3_.kd
    .uniform_work_group_size: 1
    .uses_dynamic_stack: false
    .vgpr_count:     0
    .vgpr_spill_count: 0
    .wavefront_size: 32
    .workgroup_processor_mode: 1
  - .args:
      - .address_space:  global
        .offset:         0
        .size:           8
        .value_kind:     global_buffer
      - .address_space:  global
        .offset:         8
        .size:           8
        .value_kind:     global_buffer
      - .address_space:  global
        .offset:         16
        .size:           8
        .value_kind:     global_buffer
      - .offset:         24
        .size:           1
        .value_kind:     by_value
    .group_segment_fixed_size: 0
    .kernarg_segment_align: 8
    .kernarg_segment_size: 28
    .language:       OpenCL C
    .language_version:
      - 2
      - 0
    .max_flat_workgroup_size: 256
    .name:           _Z20sort_pairs_segmentedILj256ELj64ELj4EaN10test_utils4lessEEvPKT2_PS2_PKjT3_
    .private_segment_fixed_size: 0
    .sgpr_count:     0
    .sgpr_spill_count: 0
    .symbol:         _Z20sort_pairs_segmentedILj256ELj64ELj4EaN10test_utils4lessEEvPKT2_PS2_PKjT3_.kd
    .uniform_work_group_size: 1
    .uses_dynamic_stack: false
    .vgpr_count:     0
    .vgpr_spill_count: 0
    .wavefront_size: 32
    .workgroup_processor_mode: 1
  - .args:
      - .address_space:  global
        .offset:         0
        .size:           8
        .value_kind:     global_buffer
      - .address_space:  global
        .offset:         8
        .size:           8
        .value_kind:     global_buffer
      - .offset:         16
        .size:           1
        .value_kind:     by_value
    .group_segment_fixed_size: 0
    .kernarg_segment_align: 8
    .kernarg_segment_size: 20
    .language:       OpenCL C
    .language_version:
      - 2
      - 0
    .max_flat_workgroup_size: 256
    .name:           _Z9sort_keysILj256ELj64ELj8EaN10test_utils4lessEEvPKT2_PS2_T3_
    .private_segment_fixed_size: 0
    .sgpr_count:     0
    .sgpr_spill_count: 0
    .symbol:         _Z9sort_keysILj256ELj64ELj8EaN10test_utils4lessEEvPKT2_PS2_T3_.kd
    .uniform_work_group_size: 1
    .uses_dynamic_stack: false
    .vgpr_count:     0
    .vgpr_spill_count: 0
    .wavefront_size: 32
    .workgroup_processor_mode: 1
  - .args:
      - .address_space:  global
        .offset:         0
        .size:           8
        .value_kind:     global_buffer
      - .address_space:  global
        .offset:         8
        .size:           8
        .value_kind:     global_buffer
      - .offset:         16
        .size:           1
        .value_kind:     by_value
    .group_segment_fixed_size: 0
    .kernarg_segment_align: 8
    .kernarg_segment_size: 20
    .language:       OpenCL C
    .language_version:
      - 2
      - 0
    .max_flat_workgroup_size: 256
    .name:           _Z10sort_pairsILj256ELj64ELj8EaN10test_utils4lessEEvPKT2_PS2_T3_
    .private_segment_fixed_size: 0
    .sgpr_count:     0
    .sgpr_spill_count: 0
    .symbol:         _Z10sort_pairsILj256ELj64ELj8EaN10test_utils4lessEEvPKT2_PS2_T3_.kd
    .uniform_work_group_size: 1
    .uses_dynamic_stack: false
    .vgpr_count:     0
    .vgpr_spill_count: 0
    .wavefront_size: 32
    .workgroup_processor_mode: 1
  - .args:
      - .address_space:  global
        .offset:         0
        .size:           8
        .value_kind:     global_buffer
      - .address_space:  global
        .offset:         8
        .size:           8
        .value_kind:     global_buffer
      - .address_space:  global
        .offset:         16
        .size:           8
        .value_kind:     global_buffer
      - .offset:         24
        .size:           1
        .value_kind:     by_value
    .group_segment_fixed_size: 0
    .kernarg_segment_align: 8
    .kernarg_segment_size: 28
    .language:       OpenCL C
    .language_version:
      - 2
      - 0
    .max_flat_workgroup_size: 256
    .name:           _Z19sort_keys_segmentedILj256ELj64ELj8EaN10test_utils4lessEEvPKT2_PS2_PKjT3_
    .private_segment_fixed_size: 0
    .sgpr_count:     0
    .sgpr_spill_count: 0
    .symbol:         _Z19sort_keys_segmentedILj256ELj64ELj8EaN10test_utils4lessEEvPKT2_PS2_PKjT3_.kd
    .uniform_work_group_size: 1
    .uses_dynamic_stack: false
    .vgpr_count:     0
    .vgpr_spill_count: 0
    .wavefront_size: 32
    .workgroup_processor_mode: 1
  - .args:
      - .address_space:  global
        .offset:         0
        .size:           8
        .value_kind:     global_buffer
      - .address_space:  global
        .offset:         8
        .size:           8
        .value_kind:     global_buffer
      - .address_space:  global
        .offset:         16
        .size:           8
        .value_kind:     global_buffer
      - .offset:         24
        .size:           1
        .value_kind:     by_value
    .group_segment_fixed_size: 0
    .kernarg_segment_align: 8
    .kernarg_segment_size: 28
    .language:       OpenCL C
    .language_version:
      - 2
      - 0
    .max_flat_workgroup_size: 256
    .name:           _Z20sort_pairs_segmentedILj256ELj64ELj8EaN10test_utils4lessEEvPKT2_PS2_PKjT3_
    .private_segment_fixed_size: 0
    .sgpr_count:     0
    .sgpr_spill_count: 0
    .symbol:         _Z20sort_pairs_segmentedILj256ELj64ELj8EaN10test_utils4lessEEvPKT2_PS2_PKjT3_.kd
    .uniform_work_group_size: 1
    .uses_dynamic_stack: false
    .vgpr_count:     0
    .vgpr_spill_count: 0
    .wavefront_size: 32
    .workgroup_processor_mode: 1
  - .args:
      - .address_space:  global
        .offset:         0
        .size:           8
        .value_kind:     global_buffer
      - .address_space:  global
        .offset:         8
        .size:           8
        .value_kind:     global_buffer
      - .offset:         16
        .size:           1
        .value_kind:     by_value
    .group_segment_fixed_size: 320
    .kernarg_segment_align: 8
    .kernarg_segment_size: 20
    .language:       OpenCL C
    .language_version:
      - 2
      - 0
    .max_flat_workgroup_size: 256
    .name:           _Z9sort_keysILj256ELj4ELj1EhN10test_utils4lessEEvPKT2_PS2_T3_
    .private_segment_fixed_size: 0
    .sgpr_count:     18
    .sgpr_spill_count: 0
    .symbol:         _Z9sort_keysILj256ELj4ELj1EhN10test_utils4lessEEvPKT2_PS2_T3_.kd
    .uniform_work_group_size: 1
    .uses_dynamic_stack: false
    .vgpr_count:     15
    .vgpr_spill_count: 0
    .wavefront_size: 32
    .workgroup_processor_mode: 1
  - .args:
      - .address_space:  global
        .offset:         0
        .size:           8
        .value_kind:     global_buffer
      - .address_space:  global
        .offset:         8
        .size:           8
        .value_kind:     global_buffer
      - .offset:         16
        .size:           1
        .value_kind:     by_value
    .group_segment_fixed_size: 320
    .kernarg_segment_align: 8
    .kernarg_segment_size: 20
    .language:       OpenCL C
    .language_version:
      - 2
      - 0
    .max_flat_workgroup_size: 256
    .name:           _Z10sort_pairsILj256ELj4ELj1EhN10test_utils4lessEEvPKT2_PS2_T3_
    .private_segment_fixed_size: 0
    .sgpr_count:     18
    .sgpr_spill_count: 0
    .symbol:         _Z10sort_pairsILj256ELj4ELj1EhN10test_utils4lessEEvPKT2_PS2_T3_.kd
    .uniform_work_group_size: 1
    .uses_dynamic_stack: false
    .vgpr_count:     16
    .vgpr_spill_count: 0
    .wavefront_size: 32
    .workgroup_processor_mode: 1
  - .args:
      - .address_space:  global
        .offset:         0
        .size:           8
        .value_kind:     global_buffer
      - .address_space:  global
        .offset:         8
        .size:           8
        .value_kind:     global_buffer
      - .address_space:  global
        .offset:         16
        .size:           8
        .value_kind:     global_buffer
      - .offset:         24
        .size:           1
        .value_kind:     by_value
    .group_segment_fixed_size: 320
    .kernarg_segment_align: 8
    .kernarg_segment_size: 28
    .language:       OpenCL C
    .language_version:
      - 2
      - 0
    .max_flat_workgroup_size: 256
    .name:           _Z19sort_keys_segmentedILj256ELj4ELj1EhN10test_utils4lessEEvPKT2_PS2_PKjT3_
    .private_segment_fixed_size: 0
    .sgpr_count:     18
    .sgpr_spill_count: 0
    .symbol:         _Z19sort_keys_segmentedILj256ELj4ELj1EhN10test_utils4lessEEvPKT2_PS2_PKjT3_.kd
    .uniform_work_group_size: 1
    .uses_dynamic_stack: false
    .vgpr_count:     17
    .vgpr_spill_count: 0
    .wavefront_size: 32
    .workgroup_processor_mode: 1
  - .args:
      - .address_space:  global
        .offset:         0
        .size:           8
        .value_kind:     global_buffer
      - .address_space:  global
        .offset:         8
        .size:           8
        .value_kind:     global_buffer
      - .address_space:  global
        .offset:         16
        .size:           8
        .value_kind:     global_buffer
      - .offset:         24
        .size:           1
        .value_kind:     by_value
    .group_segment_fixed_size: 320
    .kernarg_segment_align: 8
    .kernarg_segment_size: 28
    .language:       OpenCL C
    .language_version:
      - 2
      - 0
    .max_flat_workgroup_size: 256
    .name:           _Z20sort_pairs_segmentedILj256ELj4ELj1EhN10test_utils4lessEEvPKT2_PS2_PKjT3_
    .private_segment_fixed_size: 0
    .sgpr_count:     18
    .sgpr_spill_count: 0
    .symbol:         _Z20sort_pairs_segmentedILj256ELj4ELj1EhN10test_utils4lessEEvPKT2_PS2_PKjT3_.kd
    .uniform_work_group_size: 1
    .uses_dynamic_stack: false
    .vgpr_count:     18
    .vgpr_spill_count: 0
    .wavefront_size: 32
    .workgroup_processor_mode: 1
  - .args:
      - .address_space:  global
        .offset:         0
        .size:           8
        .value_kind:     global_buffer
      - .address_space:  global
        .offset:         8
        .size:           8
        .value_kind:     global_buffer
      - .offset:         16
        .size:           1
        .value_kind:     by_value
    .group_segment_fixed_size: 1088
    .kernarg_segment_align: 8
    .kernarg_segment_size: 20
    .language:       OpenCL C
    .language_version:
      - 2
      - 0
    .max_flat_workgroup_size: 256
    .name:           _Z9sort_keysILj256ELj4ELj4EhN10test_utils4lessEEvPKT2_PS2_T3_
    .private_segment_fixed_size: 0
    .sgpr_count:     18
    .sgpr_spill_count: 0
    .symbol:         _Z9sort_keysILj256ELj4ELj4EhN10test_utils4lessEEvPKT2_PS2_T3_.kd
    .uniform_work_group_size: 1
    .uses_dynamic_stack: false
    .vgpr_count:     20
    .vgpr_spill_count: 0
    .wavefront_size: 32
    .workgroup_processor_mode: 1
  - .args:
      - .address_space:  global
        .offset:         0
        .size:           8
        .value_kind:     global_buffer
      - .address_space:  global
        .offset:         8
        .size:           8
        .value_kind:     global_buffer
      - .offset:         16
        .size:           1
        .value_kind:     by_value
    .group_segment_fixed_size: 1088
    .kernarg_segment_align: 8
    .kernarg_segment_size: 20
    .language:       OpenCL C
    .language_version:
      - 2
      - 0
    .max_flat_workgroup_size: 256
    .name:           _Z10sort_pairsILj256ELj4ELj4EhN10test_utils4lessEEvPKT2_PS2_T3_
    .private_segment_fixed_size: 0
    .sgpr_count:     18
    .sgpr_spill_count: 0
    .symbol:         _Z10sort_pairsILj256ELj4ELj4EhN10test_utils4lessEEvPKT2_PS2_T3_.kd
    .uniform_work_group_size: 1
    .uses_dynamic_stack: false
    .vgpr_count:     26
    .vgpr_spill_count: 0
    .wavefront_size: 32
    .workgroup_processor_mode: 1
  - .args:
      - .address_space:  global
        .offset:         0
        .size:           8
        .value_kind:     global_buffer
      - .address_space:  global
        .offset:         8
        .size:           8
        .value_kind:     global_buffer
      - .address_space:  global
        .offset:         16
        .size:           8
        .value_kind:     global_buffer
      - .offset:         24
        .size:           1
        .value_kind:     by_value
    .group_segment_fixed_size: 1088
    .kernarg_segment_align: 8
    .kernarg_segment_size: 28
    .language:       OpenCL C
    .language_version:
      - 2
      - 0
    .max_flat_workgroup_size: 256
    .name:           _Z19sort_keys_segmentedILj256ELj4ELj4EhN10test_utils4lessEEvPKT2_PS2_PKjT3_
    .private_segment_fixed_size: 0
    .sgpr_count:     18
    .sgpr_spill_count: 0
    .symbol:         _Z19sort_keys_segmentedILj256ELj4ELj4EhN10test_utils4lessEEvPKT2_PS2_PKjT3_.kd
    .uniform_work_group_size: 1
    .uses_dynamic_stack: false
    .vgpr_count:     22
    .vgpr_spill_count: 0
    .wavefront_size: 32
    .workgroup_processor_mode: 1
  - .args:
      - .address_space:  global
        .offset:         0
        .size:           8
        .value_kind:     global_buffer
      - .address_space:  global
        .offset:         8
        .size:           8
        .value_kind:     global_buffer
      - .address_space:  global
        .offset:         16
        .size:           8
        .value_kind:     global_buffer
      - .offset:         24
        .size:           1
        .value_kind:     by_value
    .group_segment_fixed_size: 1088
    .kernarg_segment_align: 8
    .kernarg_segment_size: 28
    .language:       OpenCL C
    .language_version:
      - 2
      - 0
    .max_flat_workgroup_size: 256
    .name:           _Z20sort_pairs_segmentedILj256ELj4ELj4EhN10test_utils4lessEEvPKT2_PS2_PKjT3_
    .private_segment_fixed_size: 0
    .sgpr_count:     18
    .sgpr_spill_count: 0
    .symbol:         _Z20sort_pairs_segmentedILj256ELj4ELj4EhN10test_utils4lessEEvPKT2_PS2_PKjT3_.kd
    .uniform_work_group_size: 1
    .uses_dynamic_stack: false
    .vgpr_count:     27
    .vgpr_spill_count: 0
    .wavefront_size: 32
    .workgroup_processor_mode: 1
  - .args:
      - .address_space:  global
        .offset:         0
        .size:           8
        .value_kind:     global_buffer
      - .address_space:  global
        .offset:         8
        .size:           8
        .value_kind:     global_buffer
      - .offset:         16
        .size:           1
        .value_kind:     by_value
    .group_segment_fixed_size: 2112
    .kernarg_segment_align: 8
    .kernarg_segment_size: 20
    .language:       OpenCL C
    .language_version:
      - 2
      - 0
    .max_flat_workgroup_size: 256
    .name:           _Z9sort_keysILj256ELj4ELj8EhN10test_utils4lessEEvPKT2_PS2_T3_
    .private_segment_fixed_size: 0
    .sgpr_count:     18
    .sgpr_spill_count: 0
    .symbol:         _Z9sort_keysILj256ELj4ELj8EhN10test_utils4lessEEvPKT2_PS2_T3_.kd
    .uniform_work_group_size: 1
    .uses_dynamic_stack: false
    .vgpr_count:     27
    .vgpr_spill_count: 0
    .wavefront_size: 32
    .workgroup_processor_mode: 1
  - .args:
      - .address_space:  global
        .offset:         0
        .size:           8
        .value_kind:     global_buffer
      - .address_space:  global
        .offset:         8
        .size:           8
        .value_kind:     global_buffer
      - .offset:         16
        .size:           1
        .value_kind:     by_value
    .group_segment_fixed_size: 2112
    .kernarg_segment_align: 8
    .kernarg_segment_size: 20
    .language:       OpenCL C
    .language_version:
      - 2
      - 0
    .max_flat_workgroup_size: 256
    .name:           _Z10sort_pairsILj256ELj4ELj8EhN10test_utils4lessEEvPKT2_PS2_T3_
    .private_segment_fixed_size: 0
    .sgpr_count:     43
    .sgpr_spill_count: 0
    .symbol:         _Z10sort_pairsILj256ELj4ELj8EhN10test_utils4lessEEvPKT2_PS2_T3_.kd
    .uniform_work_group_size: 1
    .uses_dynamic_stack: false
    .vgpr_count:     46
    .vgpr_spill_count: 0
    .wavefront_size: 32
    .workgroup_processor_mode: 1
  - .args:
      - .address_space:  global
        .offset:         0
        .size:           8
        .value_kind:     global_buffer
      - .address_space:  global
        .offset:         8
        .size:           8
        .value_kind:     global_buffer
      - .address_space:  global
        .offset:         16
        .size:           8
        .value_kind:     global_buffer
      - .offset:         24
        .size:           1
        .value_kind:     by_value
    .group_segment_fixed_size: 2112
    .kernarg_segment_align: 8
    .kernarg_segment_size: 28
    .language:       OpenCL C
    .language_version:
      - 2
      - 0
    .max_flat_workgroup_size: 256
    .name:           _Z19sort_keys_segmentedILj256ELj4ELj8EhN10test_utils4lessEEvPKT2_PS2_PKjT3_
    .private_segment_fixed_size: 0
    .sgpr_count:     22
    .sgpr_spill_count: 0
    .symbol:         _Z19sort_keys_segmentedILj256ELj4ELj8EhN10test_utils4lessEEvPKT2_PS2_PKjT3_.kd
    .uniform_work_group_size: 1
    .uses_dynamic_stack: false
    .vgpr_count:     26
    .vgpr_spill_count: 0
    .wavefront_size: 32
    .workgroup_processor_mode: 1
  - .args:
      - .address_space:  global
        .offset:         0
        .size:           8
        .value_kind:     global_buffer
      - .address_space:  global
        .offset:         8
        .size:           8
        .value_kind:     global_buffer
      - .address_space:  global
        .offset:         16
        .size:           8
        .value_kind:     global_buffer
      - .offset:         24
        .size:           1
        .value_kind:     by_value
    .group_segment_fixed_size: 2112
    .kernarg_segment_align: 8
    .kernarg_segment_size: 28
    .language:       OpenCL C
    .language_version:
      - 2
      - 0
    .max_flat_workgroup_size: 256
    .name:           _Z20sort_pairs_segmentedILj256ELj4ELj8EhN10test_utils4lessEEvPKT2_PS2_PKjT3_
    .private_segment_fixed_size: 0
    .sgpr_count:     22
    .sgpr_spill_count: 0
    .symbol:         _Z20sort_pairs_segmentedILj256ELj4ELj8EhN10test_utils4lessEEvPKT2_PS2_PKjT3_.kd
    .uniform_work_group_size: 1
    .uses_dynamic_stack: false
    .vgpr_count:     46
    .vgpr_spill_count: 0
    .wavefront_size: 32
    .workgroup_processor_mode: 1
  - .args:
      - .address_space:  global
        .offset:         0
        .size:           8
        .value_kind:     global_buffer
      - .address_space:  global
        .offset:         8
        .size:           8
        .value_kind:     global_buffer
      - .offset:         16
        .size:           1
        .value_kind:     by_value
    .group_segment_fixed_size: 272
    .kernarg_segment_align: 8
    .kernarg_segment_size: 20
    .language:       OpenCL C
    .language_version:
      - 2
      - 0
    .max_flat_workgroup_size: 256
    .name:           _Z9sort_keysILj256ELj16ELj1EhN10test_utils4lessEEvPKT2_PS2_T3_
    .private_segment_fixed_size: 0
    .sgpr_count:     18
    .sgpr_spill_count: 0
    .symbol:         _Z9sort_keysILj256ELj16ELj1EhN10test_utils4lessEEvPKT2_PS2_T3_.kd
    .uniform_work_group_size: 1
    .uses_dynamic_stack: false
    .vgpr_count:     17
    .vgpr_spill_count: 0
    .wavefront_size: 32
    .workgroup_processor_mode: 1
  - .args:
      - .address_space:  global
        .offset:         0
        .size:           8
        .value_kind:     global_buffer
      - .address_space:  global
        .offset:         8
        .size:           8
        .value_kind:     global_buffer
      - .offset:         16
        .size:           1
        .value_kind:     by_value
    .group_segment_fixed_size: 272
    .kernarg_segment_align: 8
    .kernarg_segment_size: 20
    .language:       OpenCL C
    .language_version:
      - 2
      - 0
    .max_flat_workgroup_size: 256
    .name:           _Z10sort_pairsILj256ELj16ELj1EhN10test_utils4lessEEvPKT2_PS2_T3_
    .private_segment_fixed_size: 0
    .sgpr_count:     18
    .sgpr_spill_count: 0
    .symbol:         _Z10sort_pairsILj256ELj16ELj1EhN10test_utils4lessEEvPKT2_PS2_T3_.kd
    .uniform_work_group_size: 1
    .uses_dynamic_stack: false
    .vgpr_count:     18
    .vgpr_spill_count: 0
    .wavefront_size: 32
    .workgroup_processor_mode: 1
  - .args:
      - .address_space:  global
        .offset:         0
        .size:           8
        .value_kind:     global_buffer
      - .address_space:  global
        .offset:         8
        .size:           8
        .value_kind:     global_buffer
      - .address_space:  global
        .offset:         16
        .size:           8
        .value_kind:     global_buffer
      - .offset:         24
        .size:           1
        .value_kind:     by_value
    .group_segment_fixed_size: 272
    .kernarg_segment_align: 8
    .kernarg_segment_size: 28
    .language:       OpenCL C
    .language_version:
      - 2
      - 0
    .max_flat_workgroup_size: 256
    .name:           _Z19sort_keys_segmentedILj256ELj16ELj1EhN10test_utils4lessEEvPKT2_PS2_PKjT3_
    .private_segment_fixed_size: 0
    .sgpr_count:     18
    .sgpr_spill_count: 0
    .symbol:         _Z19sort_keys_segmentedILj256ELj16ELj1EhN10test_utils4lessEEvPKT2_PS2_PKjT3_.kd
    .uniform_work_group_size: 1
    .uses_dynamic_stack: false
    .vgpr_count:     19
    .vgpr_spill_count: 0
    .wavefront_size: 32
    .workgroup_processor_mode: 1
  - .args:
      - .address_space:  global
        .offset:         0
        .size:           8
        .value_kind:     global_buffer
      - .address_space:  global
        .offset:         8
        .size:           8
        .value_kind:     global_buffer
      - .address_space:  global
        .offset:         16
        .size:           8
        .value_kind:     global_buffer
      - .offset:         24
        .size:           1
        .value_kind:     by_value
    .group_segment_fixed_size: 272
    .kernarg_segment_align: 8
    .kernarg_segment_size: 28
    .language:       OpenCL C
    .language_version:
      - 2
      - 0
    .max_flat_workgroup_size: 256
    .name:           _Z20sort_pairs_segmentedILj256ELj16ELj1EhN10test_utils4lessEEvPKT2_PS2_PKjT3_
    .private_segment_fixed_size: 0
    .sgpr_count:     18
    .sgpr_spill_count: 0
    .symbol:         _Z20sort_pairs_segmentedILj256ELj16ELj1EhN10test_utils4lessEEvPKT2_PS2_PKjT3_.kd
    .uniform_work_group_size: 1
    .uses_dynamic_stack: false
    .vgpr_count:     20
    .vgpr_spill_count: 0
    .wavefront_size: 32
    .workgroup_processor_mode: 1
  - .args:
      - .address_space:  global
        .offset:         0
        .size:           8
        .value_kind:     global_buffer
      - .address_space:  global
        .offset:         8
        .size:           8
        .value_kind:     global_buffer
      - .offset:         16
        .size:           1
        .value_kind:     by_value
    .group_segment_fixed_size: 1040
    .kernarg_segment_align: 8
    .kernarg_segment_size: 20
    .language:       OpenCL C
    .language_version:
      - 2
      - 0
    .max_flat_workgroup_size: 256
    .name:           _Z9sort_keysILj256ELj16ELj4EhN10test_utils4lessEEvPKT2_PS2_T3_
    .private_segment_fixed_size: 0
    .sgpr_count:     18
    .sgpr_spill_count: 0
    .symbol:         _Z9sort_keysILj256ELj16ELj4EhN10test_utils4lessEEvPKT2_PS2_T3_.kd
    .uniform_work_group_size: 1
    .uses_dynamic_stack: false
    .vgpr_count:     23
    .vgpr_spill_count: 0
    .wavefront_size: 32
    .workgroup_processor_mode: 1
  - .args:
      - .address_space:  global
        .offset:         0
        .size:           8
        .value_kind:     global_buffer
      - .address_space:  global
        .offset:         8
        .size:           8
        .value_kind:     global_buffer
      - .offset:         16
        .size:           1
        .value_kind:     by_value
    .group_segment_fixed_size: 1040
    .kernarg_segment_align: 8
    .kernarg_segment_size: 20
    .language:       OpenCL C
    .language_version:
      - 2
      - 0
    .max_flat_workgroup_size: 256
    .name:           _Z10sort_pairsILj256ELj16ELj4EhN10test_utils4lessEEvPKT2_PS2_T3_
    .private_segment_fixed_size: 0
    .sgpr_count:     18
    .sgpr_spill_count: 0
    .symbol:         _Z10sort_pairsILj256ELj16ELj4EhN10test_utils4lessEEvPKT2_PS2_T3_.kd
    .uniform_work_group_size: 1
    .uses_dynamic_stack: false
    .vgpr_count:     29
    .vgpr_spill_count: 0
    .wavefront_size: 32
    .workgroup_processor_mode: 1
  - .args:
      - .address_space:  global
        .offset:         0
        .size:           8
        .value_kind:     global_buffer
      - .address_space:  global
        .offset:         8
        .size:           8
        .value_kind:     global_buffer
      - .address_space:  global
        .offset:         16
        .size:           8
        .value_kind:     global_buffer
      - .offset:         24
        .size:           1
        .value_kind:     by_value
    .group_segment_fixed_size: 1040
    .kernarg_segment_align: 8
    .kernarg_segment_size: 28
    .language:       OpenCL C
    .language_version:
      - 2
      - 0
    .max_flat_workgroup_size: 256
    .name:           _Z19sort_keys_segmentedILj256ELj16ELj4EhN10test_utils4lessEEvPKT2_PS2_PKjT3_
    .private_segment_fixed_size: 0
    .sgpr_count:     18
    .sgpr_spill_count: 0
    .symbol:         _Z19sort_keys_segmentedILj256ELj16ELj4EhN10test_utils4lessEEvPKT2_PS2_PKjT3_.kd
    .uniform_work_group_size: 1
    .uses_dynamic_stack: false
    .vgpr_count:     24
    .vgpr_spill_count: 0
    .wavefront_size: 32
    .workgroup_processor_mode: 1
  - .args:
      - .address_space:  global
        .offset:         0
        .size:           8
        .value_kind:     global_buffer
      - .address_space:  global
        .offset:         8
        .size:           8
        .value_kind:     global_buffer
      - .address_space:  global
        .offset:         16
        .size:           8
        .value_kind:     global_buffer
      - .offset:         24
        .size:           1
        .value_kind:     by_value
    .group_segment_fixed_size: 1040
    .kernarg_segment_align: 8
    .kernarg_segment_size: 28
    .language:       OpenCL C
    .language_version:
      - 2
      - 0
    .max_flat_workgroup_size: 256
    .name:           _Z20sort_pairs_segmentedILj256ELj16ELj4EhN10test_utils4lessEEvPKT2_PS2_PKjT3_
    .private_segment_fixed_size: 0
    .sgpr_count:     18
    .sgpr_spill_count: 0
    .symbol:         _Z20sort_pairs_segmentedILj256ELj16ELj4EhN10test_utils4lessEEvPKT2_PS2_PKjT3_.kd
    .uniform_work_group_size: 1
    .uses_dynamic_stack: false
    .vgpr_count:     31
    .vgpr_spill_count: 0
    .wavefront_size: 32
    .workgroup_processor_mode: 1
  - .args:
      - .address_space:  global
        .offset:         0
        .size:           8
        .value_kind:     global_buffer
      - .address_space:  global
        .offset:         8
        .size:           8
        .value_kind:     global_buffer
      - .offset:         16
        .size:           1
        .value_kind:     by_value
    .group_segment_fixed_size: 2064
    .kernarg_segment_align: 8
    .kernarg_segment_size: 20
    .language:       OpenCL C
    .language_version:
      - 2
      - 0
    .max_flat_workgroup_size: 256
    .name:           _Z9sort_keysILj256ELj16ELj8EhN10test_utils4lessEEvPKT2_PS2_T3_
    .private_segment_fixed_size: 0
    .sgpr_count:     18
    .sgpr_spill_count: 0
    .symbol:         _Z9sort_keysILj256ELj16ELj8EhN10test_utils4lessEEvPKT2_PS2_T3_.kd
    .uniform_work_group_size: 1
    .uses_dynamic_stack: false
    .vgpr_count:     27
    .vgpr_spill_count: 0
    .wavefront_size: 32
    .workgroup_processor_mode: 1
  - .args:
      - .address_space:  global
        .offset:         0
        .size:           8
        .value_kind:     global_buffer
      - .address_space:  global
        .offset:         8
        .size:           8
        .value_kind:     global_buffer
      - .offset:         16
        .size:           1
        .value_kind:     by_value
    .group_segment_fixed_size: 2064
    .kernarg_segment_align: 8
    .kernarg_segment_size: 20
    .language:       OpenCL C
    .language_version:
      - 2
      - 0
    .max_flat_workgroup_size: 256
    .name:           _Z10sort_pairsILj256ELj16ELj8EhN10test_utils4lessEEvPKT2_PS2_T3_
    .private_segment_fixed_size: 0
    .sgpr_count:     43
    .sgpr_spill_count: 0
    .symbol:         _Z10sort_pairsILj256ELj16ELj8EhN10test_utils4lessEEvPKT2_PS2_T3_.kd
    .uniform_work_group_size: 1
    .uses_dynamic_stack: false
    .vgpr_count:     47
    .vgpr_spill_count: 0
    .wavefront_size: 32
    .workgroup_processor_mode: 1
  - .args:
      - .address_space:  global
        .offset:         0
        .size:           8
        .value_kind:     global_buffer
      - .address_space:  global
        .offset:         8
        .size:           8
        .value_kind:     global_buffer
      - .address_space:  global
        .offset:         16
        .size:           8
        .value_kind:     global_buffer
      - .offset:         24
        .size:           1
        .value_kind:     by_value
    .group_segment_fixed_size: 2064
    .kernarg_segment_align: 8
    .kernarg_segment_size: 28
    .language:       OpenCL C
    .language_version:
      - 2
      - 0
    .max_flat_workgroup_size: 256
    .name:           _Z19sort_keys_segmentedILj256ELj16ELj8EhN10test_utils4lessEEvPKT2_PS2_PKjT3_
    .private_segment_fixed_size: 0
    .sgpr_count:     22
    .sgpr_spill_count: 0
    .symbol:         _Z19sort_keys_segmentedILj256ELj16ELj8EhN10test_utils4lessEEvPKT2_PS2_PKjT3_.kd
    .uniform_work_group_size: 1
    .uses_dynamic_stack: false
    .vgpr_count:     28
    .vgpr_spill_count: 0
    .wavefront_size: 32
    .workgroup_processor_mode: 1
  - .args:
      - .address_space:  global
        .offset:         0
        .size:           8
        .value_kind:     global_buffer
      - .address_space:  global
        .offset:         8
        .size:           8
        .value_kind:     global_buffer
      - .address_space:  global
        .offset:         16
        .size:           8
        .value_kind:     global_buffer
      - .offset:         24
        .size:           1
        .value_kind:     by_value
    .group_segment_fixed_size: 2064
    .kernarg_segment_align: 8
    .kernarg_segment_size: 28
    .language:       OpenCL C
    .language_version:
      - 2
      - 0
    .max_flat_workgroup_size: 256
    .name:           _Z20sort_pairs_segmentedILj256ELj16ELj8EhN10test_utils4lessEEvPKT2_PS2_PKjT3_
    .private_segment_fixed_size: 0
    .sgpr_count:     22
    .sgpr_spill_count: 0
    .symbol:         _Z20sort_pairs_segmentedILj256ELj16ELj8EhN10test_utils4lessEEvPKT2_PS2_PKjT3_.kd
    .uniform_work_group_size: 1
    .uses_dynamic_stack: false
    .vgpr_count:     48
    .vgpr_spill_count: 0
    .wavefront_size: 32
    .workgroup_processor_mode: 1
  - .args:
      - .address_space:  global
        .offset:         0
        .size:           8
        .value_kind:     global_buffer
      - .address_space:  global
        .offset:         8
        .size:           8
        .value_kind:     global_buffer
      - .offset:         16
        .size:           1
        .value_kind:     by_value
    .group_segment_fixed_size: 264
    .kernarg_segment_align: 8
    .kernarg_segment_size: 20
    .language:       OpenCL C
    .language_version:
      - 2
      - 0
    .max_flat_workgroup_size: 256
    .name:           _Z9sort_keysILj256ELj32ELj1EhN10test_utils4lessEEvPKT2_PS2_T3_
    .private_segment_fixed_size: 0
    .sgpr_count:     18
    .sgpr_spill_count: 0
    .symbol:         _Z9sort_keysILj256ELj32ELj1EhN10test_utils4lessEEvPKT2_PS2_T3_.kd
    .uniform_work_group_size: 1
    .uses_dynamic_stack: false
    .vgpr_count:     17
    .vgpr_spill_count: 0
    .wavefront_size: 32
    .workgroup_processor_mode: 1
  - .args:
      - .address_space:  global
        .offset:         0
        .size:           8
        .value_kind:     global_buffer
      - .address_space:  global
        .offset:         8
        .size:           8
        .value_kind:     global_buffer
      - .offset:         16
        .size:           1
        .value_kind:     by_value
    .group_segment_fixed_size: 264
    .kernarg_segment_align: 8
    .kernarg_segment_size: 20
    .language:       OpenCL C
    .language_version:
      - 2
      - 0
    .max_flat_workgroup_size: 256
    .name:           _Z10sort_pairsILj256ELj32ELj1EhN10test_utils4lessEEvPKT2_PS2_T3_
    .private_segment_fixed_size: 0
    .sgpr_count:     18
    .sgpr_spill_count: 0
    .symbol:         _Z10sort_pairsILj256ELj32ELj1EhN10test_utils4lessEEvPKT2_PS2_T3_.kd
    .uniform_work_group_size: 1
    .uses_dynamic_stack: false
    .vgpr_count:     17
    .vgpr_spill_count: 0
    .wavefront_size: 32
    .workgroup_processor_mode: 1
  - .args:
      - .address_space:  global
        .offset:         0
        .size:           8
        .value_kind:     global_buffer
      - .address_space:  global
        .offset:         8
        .size:           8
        .value_kind:     global_buffer
      - .address_space:  global
        .offset:         16
        .size:           8
        .value_kind:     global_buffer
      - .offset:         24
        .size:           1
        .value_kind:     by_value
    .group_segment_fixed_size: 264
    .kernarg_segment_align: 8
    .kernarg_segment_size: 28
    .language:       OpenCL C
    .language_version:
      - 2
      - 0
    .max_flat_workgroup_size: 256
    .name:           _Z19sort_keys_segmentedILj256ELj32ELj1EhN10test_utils4lessEEvPKT2_PS2_PKjT3_
    .private_segment_fixed_size: 0
    .sgpr_count:     18
    .sgpr_spill_count: 0
    .symbol:         _Z19sort_keys_segmentedILj256ELj32ELj1EhN10test_utils4lessEEvPKT2_PS2_PKjT3_.kd
    .uniform_work_group_size: 1
    .uses_dynamic_stack: false
    .vgpr_count:     18
    .vgpr_spill_count: 0
    .wavefront_size: 32
    .workgroup_processor_mode: 1
  - .args:
      - .address_space:  global
        .offset:         0
        .size:           8
        .value_kind:     global_buffer
      - .address_space:  global
        .offset:         8
        .size:           8
        .value_kind:     global_buffer
      - .address_space:  global
        .offset:         16
        .size:           8
        .value_kind:     global_buffer
      - .offset:         24
        .size:           1
        .value_kind:     by_value
    .group_segment_fixed_size: 264
    .kernarg_segment_align: 8
    .kernarg_segment_size: 28
    .language:       OpenCL C
    .language_version:
      - 2
      - 0
    .max_flat_workgroup_size: 256
    .name:           _Z20sort_pairs_segmentedILj256ELj32ELj1EhN10test_utils4lessEEvPKT2_PS2_PKjT3_
    .private_segment_fixed_size: 0
    .sgpr_count:     18
    .sgpr_spill_count: 0
    .symbol:         _Z20sort_pairs_segmentedILj256ELj32ELj1EhN10test_utils4lessEEvPKT2_PS2_PKjT3_.kd
    .uniform_work_group_size: 1
    .uses_dynamic_stack: false
    .vgpr_count:     18
    .vgpr_spill_count: 0
    .wavefront_size: 32
    .workgroup_processor_mode: 1
  - .args:
      - .address_space:  global
        .offset:         0
        .size:           8
        .value_kind:     global_buffer
      - .address_space:  global
        .offset:         8
        .size:           8
        .value_kind:     global_buffer
      - .offset:         16
        .size:           1
        .value_kind:     by_value
    .group_segment_fixed_size: 1032
    .kernarg_segment_align: 8
    .kernarg_segment_size: 20
    .language:       OpenCL C
    .language_version:
      - 2
      - 0
    .max_flat_workgroup_size: 256
    .name:           _Z9sort_keysILj256ELj32ELj4EhN10test_utils4lessEEvPKT2_PS2_T3_
    .private_segment_fixed_size: 0
    .sgpr_count:     18
    .sgpr_spill_count: 0
    .symbol:         _Z9sort_keysILj256ELj32ELj4EhN10test_utils4lessEEvPKT2_PS2_T3_.kd
    .uniform_work_group_size: 1
    .uses_dynamic_stack: false
    .vgpr_count:     22
    .vgpr_spill_count: 0
    .wavefront_size: 32
    .workgroup_processor_mode: 1
  - .args:
      - .address_space:  global
        .offset:         0
        .size:           8
        .value_kind:     global_buffer
      - .address_space:  global
        .offset:         8
        .size:           8
        .value_kind:     global_buffer
      - .offset:         16
        .size:           1
        .value_kind:     by_value
    .group_segment_fixed_size: 1032
    .kernarg_segment_align: 8
    .kernarg_segment_size: 20
    .language:       OpenCL C
    .language_version:
      - 2
      - 0
    .max_flat_workgroup_size: 256
    .name:           _Z10sort_pairsILj256ELj32ELj4EhN10test_utils4lessEEvPKT2_PS2_T3_
    .private_segment_fixed_size: 0
    .sgpr_count:     18
    .sgpr_spill_count: 0
    .symbol:         _Z10sort_pairsILj256ELj32ELj4EhN10test_utils4lessEEvPKT2_PS2_T3_.kd
    .uniform_work_group_size: 1
    .uses_dynamic_stack: false
    .vgpr_count:     28
    .vgpr_spill_count: 0
    .wavefront_size: 32
    .workgroup_processor_mode: 1
  - .args:
      - .address_space:  global
        .offset:         0
        .size:           8
        .value_kind:     global_buffer
      - .address_space:  global
        .offset:         8
        .size:           8
        .value_kind:     global_buffer
      - .address_space:  global
        .offset:         16
        .size:           8
        .value_kind:     global_buffer
      - .offset:         24
        .size:           1
        .value_kind:     by_value
    .group_segment_fixed_size: 1032
    .kernarg_segment_align: 8
    .kernarg_segment_size: 28
    .language:       OpenCL C
    .language_version:
      - 2
      - 0
    .max_flat_workgroup_size: 256
    .name:           _Z19sort_keys_segmentedILj256ELj32ELj4EhN10test_utils4lessEEvPKT2_PS2_PKjT3_
    .private_segment_fixed_size: 0
    .sgpr_count:     18
    .sgpr_spill_count: 0
    .symbol:         _Z19sort_keys_segmentedILj256ELj32ELj4EhN10test_utils4lessEEvPKT2_PS2_PKjT3_.kd
    .uniform_work_group_size: 1
    .uses_dynamic_stack: false
    .vgpr_count:     23
    .vgpr_spill_count: 0
    .wavefront_size: 32
    .workgroup_processor_mode: 1
  - .args:
      - .address_space:  global
        .offset:         0
        .size:           8
        .value_kind:     global_buffer
      - .address_space:  global
        .offset:         8
        .size:           8
        .value_kind:     global_buffer
      - .address_space:  global
        .offset:         16
        .size:           8
        .value_kind:     global_buffer
      - .offset:         24
        .size:           1
        .value_kind:     by_value
    .group_segment_fixed_size: 1032
    .kernarg_segment_align: 8
    .kernarg_segment_size: 28
    .language:       OpenCL C
    .language_version:
      - 2
      - 0
    .max_flat_workgroup_size: 256
    .name:           _Z20sort_pairs_segmentedILj256ELj32ELj4EhN10test_utils4lessEEvPKT2_PS2_PKjT3_
    .private_segment_fixed_size: 0
    .sgpr_count:     18
    .sgpr_spill_count: 0
    .symbol:         _Z20sort_pairs_segmentedILj256ELj32ELj4EhN10test_utils4lessEEvPKT2_PS2_PKjT3_.kd
    .uniform_work_group_size: 1
    .uses_dynamic_stack: false
    .vgpr_count:     30
    .vgpr_spill_count: 0
    .wavefront_size: 32
    .workgroup_processor_mode: 1
  - .args:
      - .address_space:  global
        .offset:         0
        .size:           8
        .value_kind:     global_buffer
      - .address_space:  global
        .offset:         8
        .size:           8
        .value_kind:     global_buffer
      - .offset:         16
        .size:           1
        .value_kind:     by_value
    .group_segment_fixed_size: 2056
    .kernarg_segment_align: 8
    .kernarg_segment_size: 20
    .language:       OpenCL C
    .language_version:
      - 2
      - 0
    .max_flat_workgroup_size: 256
    .name:           _Z9sort_keysILj256ELj32ELj8EhN10test_utils4lessEEvPKT2_PS2_T3_
    .private_segment_fixed_size: 0
    .sgpr_count:     18
    .sgpr_spill_count: 0
    .symbol:         _Z9sort_keysILj256ELj32ELj8EhN10test_utils4lessEEvPKT2_PS2_T3_.kd
    .uniform_work_group_size: 1
    .uses_dynamic_stack: false
    .vgpr_count:     27
    .vgpr_spill_count: 0
    .wavefront_size: 32
    .workgroup_processor_mode: 1
  - .args:
      - .address_space:  global
        .offset:         0
        .size:           8
        .value_kind:     global_buffer
      - .address_space:  global
        .offset:         8
        .size:           8
        .value_kind:     global_buffer
      - .offset:         16
        .size:           1
        .value_kind:     by_value
    .group_segment_fixed_size: 2056
    .kernarg_segment_align: 8
    .kernarg_segment_size: 20
    .language:       OpenCL C
    .language_version:
      - 2
      - 0
    .max_flat_workgroup_size: 256
    .name:           _Z10sort_pairsILj256ELj32ELj8EhN10test_utils4lessEEvPKT2_PS2_T3_
    .private_segment_fixed_size: 0
    .sgpr_count:     43
    .sgpr_spill_count: 0
    .symbol:         _Z10sort_pairsILj256ELj32ELj8EhN10test_utils4lessEEvPKT2_PS2_T3_.kd
    .uniform_work_group_size: 1
    .uses_dynamic_stack: false
    .vgpr_count:     46
    .vgpr_spill_count: 0
    .wavefront_size: 32
    .workgroup_processor_mode: 1
  - .args:
      - .address_space:  global
        .offset:         0
        .size:           8
        .value_kind:     global_buffer
      - .address_space:  global
        .offset:         8
        .size:           8
        .value_kind:     global_buffer
      - .address_space:  global
        .offset:         16
        .size:           8
        .value_kind:     global_buffer
      - .offset:         24
        .size:           1
        .value_kind:     by_value
    .group_segment_fixed_size: 2056
    .kernarg_segment_align: 8
    .kernarg_segment_size: 28
    .language:       OpenCL C
    .language_version:
      - 2
      - 0
    .max_flat_workgroup_size: 256
    .name:           _Z19sort_keys_segmentedILj256ELj32ELj8EhN10test_utils4lessEEvPKT2_PS2_PKjT3_
    .private_segment_fixed_size: 0
    .sgpr_count:     22
    .sgpr_spill_count: 0
    .symbol:         _Z19sort_keys_segmentedILj256ELj32ELj8EhN10test_utils4lessEEvPKT2_PS2_PKjT3_.kd
    .uniform_work_group_size: 1
    .uses_dynamic_stack: false
    .vgpr_count:     27
    .vgpr_spill_count: 0
    .wavefront_size: 32
    .workgroup_processor_mode: 1
  - .args:
      - .address_space:  global
        .offset:         0
        .size:           8
        .value_kind:     global_buffer
      - .address_space:  global
        .offset:         8
        .size:           8
        .value_kind:     global_buffer
      - .address_space:  global
        .offset:         16
        .size:           8
        .value_kind:     global_buffer
      - .offset:         24
        .size:           1
        .value_kind:     by_value
    .group_segment_fixed_size: 2056
    .kernarg_segment_align: 8
    .kernarg_segment_size: 28
    .language:       OpenCL C
    .language_version:
      - 2
      - 0
    .max_flat_workgroup_size: 256
    .name:           _Z20sort_pairs_segmentedILj256ELj32ELj8EhN10test_utils4lessEEvPKT2_PS2_PKjT3_
    .private_segment_fixed_size: 0
    .sgpr_count:     22
    .sgpr_spill_count: 0
    .symbol:         _Z20sort_pairs_segmentedILj256ELj32ELj8EhN10test_utils4lessEEvPKT2_PS2_PKjT3_.kd
    .uniform_work_group_size: 1
    .uses_dynamic_stack: false
    .vgpr_count:     47
    .vgpr_spill_count: 0
    .wavefront_size: 32
    .workgroup_processor_mode: 1
  - .args:
      - .address_space:  global
        .offset:         0
        .size:           8
        .value_kind:     global_buffer
      - .address_space:  global
        .offset:         8
        .size:           8
        .value_kind:     global_buffer
      - .offset:         16
        .size:           1
        .value_kind:     by_value
    .group_segment_fixed_size: 0
    .kernarg_segment_align: 8
    .kernarg_segment_size: 20
    .language:       OpenCL C
    .language_version:
      - 2
      - 0
    .max_flat_workgroup_size: 256
    .name:           _Z9sort_keysILj256ELj64ELj1EhN10test_utils4lessEEvPKT2_PS2_T3_
    .private_segment_fixed_size: 0
    .sgpr_count:     0
    .sgpr_spill_count: 0
    .symbol:         _Z9sort_keysILj256ELj64ELj1EhN10test_utils4lessEEvPKT2_PS2_T3_.kd
    .uniform_work_group_size: 1
    .uses_dynamic_stack: false
    .vgpr_count:     0
    .vgpr_spill_count: 0
    .wavefront_size: 32
    .workgroup_processor_mode: 1
  - .args:
      - .address_space:  global
        .offset:         0
        .size:           8
        .value_kind:     global_buffer
      - .address_space:  global
        .offset:         8
        .size:           8
        .value_kind:     global_buffer
      - .offset:         16
        .size:           1
        .value_kind:     by_value
    .group_segment_fixed_size: 0
    .kernarg_segment_align: 8
    .kernarg_segment_size: 20
    .language:       OpenCL C
    .language_version:
      - 2
      - 0
    .max_flat_workgroup_size: 256
    .name:           _Z10sort_pairsILj256ELj64ELj1EhN10test_utils4lessEEvPKT2_PS2_T3_
    .private_segment_fixed_size: 0
    .sgpr_count:     0
    .sgpr_spill_count: 0
    .symbol:         _Z10sort_pairsILj256ELj64ELj1EhN10test_utils4lessEEvPKT2_PS2_T3_.kd
    .uniform_work_group_size: 1
    .uses_dynamic_stack: false
    .vgpr_count:     0
    .vgpr_spill_count: 0
    .wavefront_size: 32
    .workgroup_processor_mode: 1
  - .args:
      - .address_space:  global
        .offset:         0
        .size:           8
        .value_kind:     global_buffer
      - .address_space:  global
        .offset:         8
        .size:           8
        .value_kind:     global_buffer
      - .address_space:  global
        .offset:         16
        .size:           8
        .value_kind:     global_buffer
      - .offset:         24
        .size:           1
        .value_kind:     by_value
    .group_segment_fixed_size: 0
    .kernarg_segment_align: 8
    .kernarg_segment_size: 28
    .language:       OpenCL C
    .language_version:
      - 2
      - 0
    .max_flat_workgroup_size: 256
    .name:           _Z19sort_keys_segmentedILj256ELj64ELj1EhN10test_utils4lessEEvPKT2_PS2_PKjT3_
    .private_segment_fixed_size: 0
    .sgpr_count:     0
    .sgpr_spill_count: 0
    .symbol:         _Z19sort_keys_segmentedILj256ELj64ELj1EhN10test_utils4lessEEvPKT2_PS2_PKjT3_.kd
    .uniform_work_group_size: 1
    .uses_dynamic_stack: false
    .vgpr_count:     0
    .vgpr_spill_count: 0
    .wavefront_size: 32
    .workgroup_processor_mode: 1
  - .args:
      - .address_space:  global
        .offset:         0
        .size:           8
        .value_kind:     global_buffer
      - .address_space:  global
        .offset:         8
        .size:           8
        .value_kind:     global_buffer
      - .address_space:  global
        .offset:         16
        .size:           8
        .value_kind:     global_buffer
      - .offset:         24
        .size:           1
        .value_kind:     by_value
    .group_segment_fixed_size: 0
    .kernarg_segment_align: 8
    .kernarg_segment_size: 28
    .language:       OpenCL C
    .language_version:
      - 2
      - 0
    .max_flat_workgroup_size: 256
    .name:           _Z20sort_pairs_segmentedILj256ELj64ELj1EhN10test_utils4lessEEvPKT2_PS2_PKjT3_
    .private_segment_fixed_size: 0
    .sgpr_count:     0
    .sgpr_spill_count: 0
    .symbol:         _Z20sort_pairs_segmentedILj256ELj64ELj1EhN10test_utils4lessEEvPKT2_PS2_PKjT3_.kd
    .uniform_work_group_size: 1
    .uses_dynamic_stack: false
    .vgpr_count:     0
    .vgpr_spill_count: 0
    .wavefront_size: 32
    .workgroup_processor_mode: 1
  - .args:
      - .address_space:  global
        .offset:         0
        .size:           8
        .value_kind:     global_buffer
      - .address_space:  global
        .offset:         8
        .size:           8
        .value_kind:     global_buffer
      - .offset:         16
        .size:           1
        .value_kind:     by_value
    .group_segment_fixed_size: 0
    .kernarg_segment_align: 8
    .kernarg_segment_size: 20
    .language:       OpenCL C
    .language_version:
      - 2
      - 0
    .max_flat_workgroup_size: 256
    .name:           _Z9sort_keysILj256ELj64ELj4EhN10test_utils4lessEEvPKT2_PS2_T3_
    .private_segment_fixed_size: 0
    .sgpr_count:     0
    .sgpr_spill_count: 0
    .symbol:         _Z9sort_keysILj256ELj64ELj4EhN10test_utils4lessEEvPKT2_PS2_T3_.kd
    .uniform_work_group_size: 1
    .uses_dynamic_stack: false
    .vgpr_count:     0
    .vgpr_spill_count: 0
    .wavefront_size: 32
    .workgroup_processor_mode: 1
  - .args:
      - .address_space:  global
        .offset:         0
        .size:           8
        .value_kind:     global_buffer
      - .address_space:  global
        .offset:         8
        .size:           8
        .value_kind:     global_buffer
      - .offset:         16
        .size:           1
        .value_kind:     by_value
    .group_segment_fixed_size: 0
    .kernarg_segment_align: 8
    .kernarg_segment_size: 20
    .language:       OpenCL C
    .language_version:
      - 2
      - 0
    .max_flat_workgroup_size: 256
    .name:           _Z10sort_pairsILj256ELj64ELj4EhN10test_utils4lessEEvPKT2_PS2_T3_
    .private_segment_fixed_size: 0
    .sgpr_count:     0
    .sgpr_spill_count: 0
    .symbol:         _Z10sort_pairsILj256ELj64ELj4EhN10test_utils4lessEEvPKT2_PS2_T3_.kd
    .uniform_work_group_size: 1
    .uses_dynamic_stack: false
    .vgpr_count:     0
    .vgpr_spill_count: 0
    .wavefront_size: 32
    .workgroup_processor_mode: 1
  - .args:
      - .address_space:  global
        .offset:         0
        .size:           8
        .value_kind:     global_buffer
      - .address_space:  global
        .offset:         8
        .size:           8
        .value_kind:     global_buffer
      - .address_space:  global
        .offset:         16
        .size:           8
        .value_kind:     global_buffer
      - .offset:         24
        .size:           1
        .value_kind:     by_value
    .group_segment_fixed_size: 0
    .kernarg_segment_align: 8
    .kernarg_segment_size: 28
    .language:       OpenCL C
    .language_version:
      - 2
      - 0
    .max_flat_workgroup_size: 256
    .name:           _Z19sort_keys_segmentedILj256ELj64ELj4EhN10test_utils4lessEEvPKT2_PS2_PKjT3_
    .private_segment_fixed_size: 0
    .sgpr_count:     0
    .sgpr_spill_count: 0
    .symbol:         _Z19sort_keys_segmentedILj256ELj64ELj4EhN10test_utils4lessEEvPKT2_PS2_PKjT3_.kd
    .uniform_work_group_size: 1
    .uses_dynamic_stack: false
    .vgpr_count:     0
    .vgpr_spill_count: 0
    .wavefront_size: 32
    .workgroup_processor_mode: 1
  - .args:
      - .address_space:  global
        .offset:         0
        .size:           8
        .value_kind:     global_buffer
      - .address_space:  global
        .offset:         8
        .size:           8
        .value_kind:     global_buffer
      - .address_space:  global
        .offset:         16
        .size:           8
        .value_kind:     global_buffer
      - .offset:         24
        .size:           1
        .value_kind:     by_value
    .group_segment_fixed_size: 0
    .kernarg_segment_align: 8
    .kernarg_segment_size: 28
    .language:       OpenCL C
    .language_version:
      - 2
      - 0
    .max_flat_workgroup_size: 256
    .name:           _Z20sort_pairs_segmentedILj256ELj64ELj4EhN10test_utils4lessEEvPKT2_PS2_PKjT3_
    .private_segment_fixed_size: 0
    .sgpr_count:     0
    .sgpr_spill_count: 0
    .symbol:         _Z20sort_pairs_segmentedILj256ELj64ELj4EhN10test_utils4lessEEvPKT2_PS2_PKjT3_.kd
    .uniform_work_group_size: 1
    .uses_dynamic_stack: false
    .vgpr_count:     0
    .vgpr_spill_count: 0
    .wavefront_size: 32
    .workgroup_processor_mode: 1
  - .args:
      - .address_space:  global
        .offset:         0
        .size:           8
        .value_kind:     global_buffer
      - .address_space:  global
        .offset:         8
        .size:           8
        .value_kind:     global_buffer
      - .offset:         16
        .size:           1
        .value_kind:     by_value
    .group_segment_fixed_size: 0
    .kernarg_segment_align: 8
    .kernarg_segment_size: 20
    .language:       OpenCL C
    .language_version:
      - 2
      - 0
    .max_flat_workgroup_size: 256
    .name:           _Z9sort_keysILj256ELj64ELj8EhN10test_utils4lessEEvPKT2_PS2_T3_
    .private_segment_fixed_size: 0
    .sgpr_count:     0
    .sgpr_spill_count: 0
    .symbol:         _Z9sort_keysILj256ELj64ELj8EhN10test_utils4lessEEvPKT2_PS2_T3_.kd
    .uniform_work_group_size: 1
    .uses_dynamic_stack: false
    .vgpr_count:     0
    .vgpr_spill_count: 0
    .wavefront_size: 32
    .workgroup_processor_mode: 1
  - .args:
      - .address_space:  global
        .offset:         0
        .size:           8
        .value_kind:     global_buffer
      - .address_space:  global
        .offset:         8
        .size:           8
        .value_kind:     global_buffer
      - .offset:         16
        .size:           1
        .value_kind:     by_value
    .group_segment_fixed_size: 0
    .kernarg_segment_align: 8
    .kernarg_segment_size: 20
    .language:       OpenCL C
    .language_version:
      - 2
      - 0
    .max_flat_workgroup_size: 256
    .name:           _Z10sort_pairsILj256ELj64ELj8EhN10test_utils4lessEEvPKT2_PS2_T3_
    .private_segment_fixed_size: 0
    .sgpr_count:     0
    .sgpr_spill_count: 0
    .symbol:         _Z10sort_pairsILj256ELj64ELj8EhN10test_utils4lessEEvPKT2_PS2_T3_.kd
    .uniform_work_group_size: 1
    .uses_dynamic_stack: false
    .vgpr_count:     0
    .vgpr_spill_count: 0
    .wavefront_size: 32
    .workgroup_processor_mode: 1
  - .args:
      - .address_space:  global
        .offset:         0
        .size:           8
        .value_kind:     global_buffer
      - .address_space:  global
        .offset:         8
        .size:           8
        .value_kind:     global_buffer
      - .address_space:  global
        .offset:         16
        .size:           8
        .value_kind:     global_buffer
      - .offset:         24
        .size:           1
        .value_kind:     by_value
    .group_segment_fixed_size: 0
    .kernarg_segment_align: 8
    .kernarg_segment_size: 28
    .language:       OpenCL C
    .language_version:
      - 2
      - 0
    .max_flat_workgroup_size: 256
    .name:           _Z19sort_keys_segmentedILj256ELj64ELj8EhN10test_utils4lessEEvPKT2_PS2_PKjT3_
    .private_segment_fixed_size: 0
    .sgpr_count:     0
    .sgpr_spill_count: 0
    .symbol:         _Z19sort_keys_segmentedILj256ELj64ELj8EhN10test_utils4lessEEvPKT2_PS2_PKjT3_.kd
    .uniform_work_group_size: 1
    .uses_dynamic_stack: false
    .vgpr_count:     0
    .vgpr_spill_count: 0
    .wavefront_size: 32
    .workgroup_processor_mode: 1
  - .args:
      - .address_space:  global
        .offset:         0
        .size:           8
        .value_kind:     global_buffer
      - .address_space:  global
        .offset:         8
        .size:           8
        .value_kind:     global_buffer
      - .address_space:  global
        .offset:         16
        .size:           8
        .value_kind:     global_buffer
      - .offset:         24
        .size:           1
        .value_kind:     by_value
    .group_segment_fixed_size: 0
    .kernarg_segment_align: 8
    .kernarg_segment_size: 28
    .language:       OpenCL C
    .language_version:
      - 2
      - 0
    .max_flat_workgroup_size: 256
    .name:           _Z20sort_pairs_segmentedILj256ELj64ELj8EhN10test_utils4lessEEvPKT2_PS2_PKjT3_
    .private_segment_fixed_size: 0
    .sgpr_count:     0
    .sgpr_spill_count: 0
    .symbol:         _Z20sort_pairs_segmentedILj256ELj64ELj8EhN10test_utils4lessEEvPKT2_PS2_PKjT3_.kd
    .uniform_work_group_size: 1
    .uses_dynamic_stack: false
    .vgpr_count:     0
    .vgpr_spill_count: 0
    .wavefront_size: 32
    .workgroup_processor_mode: 1
  - .args:
      - .address_space:  global
        .offset:         0
        .size:           8
        .value_kind:     global_buffer
      - .address_space:  global
        .offset:         8
        .size:           8
        .value_kind:     global_buffer
      - .offset:         16
        .size:           1
        .value_kind:     by_value
    .group_segment_fixed_size: 2560
    .kernarg_segment_align: 8
    .kernarg_segment_size: 20
    .language:       OpenCL C
    .language_version:
      - 2
      - 0
    .max_flat_workgroup_size: 256
    .name:           _Z9sort_keysILj256ELj4ELj1ExN10test_utils4lessEEvPKT2_PS2_T3_
    .private_segment_fixed_size: 0
    .sgpr_count:     18
    .sgpr_spill_count: 0
    .symbol:         _Z9sort_keysILj256ELj4ELj1ExN10test_utils4lessEEvPKT2_PS2_T3_.kd
    .uniform_work_group_size: 1
    .uses_dynamic_stack: false
    .vgpr_count:     16
    .vgpr_spill_count: 0
    .wavefront_size: 32
    .workgroup_processor_mode: 1
  - .args:
      - .address_space:  global
        .offset:         0
        .size:           8
        .value_kind:     global_buffer
      - .address_space:  global
        .offset:         8
        .size:           8
        .value_kind:     global_buffer
      - .offset:         16
        .size:           1
        .value_kind:     by_value
    .group_segment_fixed_size: 2560
    .kernarg_segment_align: 8
    .kernarg_segment_size: 20
    .language:       OpenCL C
    .language_version:
      - 2
      - 0
    .max_flat_workgroup_size: 256
    .name:           _Z10sort_pairsILj256ELj4ELj1ExN10test_utils4lessEEvPKT2_PS2_T3_
    .private_segment_fixed_size: 0
    .sgpr_count:     18
    .sgpr_spill_count: 0
    .symbol:         _Z10sort_pairsILj256ELj4ELj1ExN10test_utils4lessEEvPKT2_PS2_T3_.kd
    .uniform_work_group_size: 1
    .uses_dynamic_stack: false
    .vgpr_count:     18
    .vgpr_spill_count: 0
    .wavefront_size: 32
    .workgroup_processor_mode: 1
  - .args:
      - .address_space:  global
        .offset:         0
        .size:           8
        .value_kind:     global_buffer
      - .address_space:  global
        .offset:         8
        .size:           8
        .value_kind:     global_buffer
      - .address_space:  global
        .offset:         16
        .size:           8
        .value_kind:     global_buffer
      - .offset:         24
        .size:           1
        .value_kind:     by_value
    .group_segment_fixed_size: 2560
    .kernarg_segment_align: 8
    .kernarg_segment_size: 28
    .language:       OpenCL C
    .language_version:
      - 2
      - 0
    .max_flat_workgroup_size: 256
    .name:           _Z19sort_keys_segmentedILj256ELj4ELj1ExN10test_utils4lessEEvPKT2_PS2_PKjT3_
    .private_segment_fixed_size: 0
    .sgpr_count:     18
    .sgpr_spill_count: 0
    .symbol:         _Z19sort_keys_segmentedILj256ELj4ELj1ExN10test_utils4lessEEvPKT2_PS2_PKjT3_.kd
    .uniform_work_group_size: 1
    .uses_dynamic_stack: false
    .vgpr_count:     20
    .vgpr_spill_count: 0
    .wavefront_size: 32
    .workgroup_processor_mode: 1
  - .args:
      - .address_space:  global
        .offset:         0
        .size:           8
        .value_kind:     global_buffer
      - .address_space:  global
        .offset:         8
        .size:           8
        .value_kind:     global_buffer
      - .address_space:  global
        .offset:         16
        .size:           8
        .value_kind:     global_buffer
      - .offset:         24
        .size:           1
        .value_kind:     by_value
    .group_segment_fixed_size: 2560
    .kernarg_segment_align: 8
    .kernarg_segment_size: 28
    .language:       OpenCL C
    .language_version:
      - 2
      - 0
    .max_flat_workgroup_size: 256
    .name:           _Z20sort_pairs_segmentedILj256ELj4ELj1ExN10test_utils4lessEEvPKT2_PS2_PKjT3_
    .private_segment_fixed_size: 0
    .sgpr_count:     18
    .sgpr_spill_count: 0
    .symbol:         _Z20sort_pairs_segmentedILj256ELj4ELj1ExN10test_utils4lessEEvPKT2_PS2_PKjT3_.kd
    .uniform_work_group_size: 1
    .uses_dynamic_stack: false
    .vgpr_count:     22
    .vgpr_spill_count: 0
    .wavefront_size: 32
    .workgroup_processor_mode: 1
  - .args:
      - .address_space:  global
        .offset:         0
        .size:           8
        .value_kind:     global_buffer
      - .address_space:  global
        .offset:         8
        .size:           8
        .value_kind:     global_buffer
      - .offset:         16
        .size:           1
        .value_kind:     by_value
    .group_segment_fixed_size: 8704
    .kernarg_segment_align: 8
    .kernarg_segment_size: 20
    .language:       OpenCL C
    .language_version:
      - 2
      - 0
    .max_flat_workgroup_size: 256
    .name:           _Z9sort_keysILj256ELj4ELj4ExN10test_utils4lessEEvPKT2_PS2_T3_
    .private_segment_fixed_size: 0
    .sgpr_count:     18
    .sgpr_spill_count: 0
    .symbol:         _Z9sort_keysILj256ELj4ELj4ExN10test_utils4lessEEvPKT2_PS2_T3_.kd
    .uniform_work_group_size: 1
    .uses_dynamic_stack: false
    .vgpr_count:     31
    .vgpr_spill_count: 0
    .wavefront_size: 32
    .workgroup_processor_mode: 1
  - .args:
      - .address_space:  global
        .offset:         0
        .size:           8
        .value_kind:     global_buffer
      - .address_space:  global
        .offset:         8
        .size:           8
        .value_kind:     global_buffer
      - .offset:         16
        .size:           1
        .value_kind:     by_value
    .group_segment_fixed_size: 8704
    .kernarg_segment_align: 8
    .kernarg_segment_size: 20
    .language:       OpenCL C
    .language_version:
      - 2
      - 0
    .max_flat_workgroup_size: 256
    .name:           _Z10sort_pairsILj256ELj4ELj4ExN10test_utils4lessEEvPKT2_PS2_T3_
    .private_segment_fixed_size: 0
    .sgpr_count:     18
    .sgpr_spill_count: 0
    .symbol:         _Z10sort_pairsILj256ELj4ELj4ExN10test_utils4lessEEvPKT2_PS2_T3_.kd
    .uniform_work_group_size: 1
    .uses_dynamic_stack: false
    .vgpr_count:     41
    .vgpr_spill_count: 0
    .wavefront_size: 32
    .workgroup_processor_mode: 1
  - .args:
      - .address_space:  global
        .offset:         0
        .size:           8
        .value_kind:     global_buffer
      - .address_space:  global
        .offset:         8
        .size:           8
        .value_kind:     global_buffer
      - .address_space:  global
        .offset:         16
        .size:           8
        .value_kind:     global_buffer
      - .offset:         24
        .size:           1
        .value_kind:     by_value
    .group_segment_fixed_size: 8704
    .kernarg_segment_align: 8
    .kernarg_segment_size: 28
    .language:       OpenCL C
    .language_version:
      - 2
      - 0
    .max_flat_workgroup_size: 256
    .name:           _Z19sort_keys_segmentedILj256ELj4ELj4ExN10test_utils4lessEEvPKT2_PS2_PKjT3_
    .private_segment_fixed_size: 0
    .sgpr_count:     18
    .sgpr_spill_count: 0
    .symbol:         _Z19sort_keys_segmentedILj256ELj4ELj4ExN10test_utils4lessEEvPKT2_PS2_PKjT3_.kd
    .uniform_work_group_size: 1
    .uses_dynamic_stack: false
    .vgpr_count:     32
    .vgpr_spill_count: 0
    .wavefront_size: 32
    .workgroup_processor_mode: 1
  - .args:
      - .address_space:  global
        .offset:         0
        .size:           8
        .value_kind:     global_buffer
      - .address_space:  global
        .offset:         8
        .size:           8
        .value_kind:     global_buffer
      - .address_space:  global
        .offset:         16
        .size:           8
        .value_kind:     global_buffer
      - .offset:         24
        .size:           1
        .value_kind:     by_value
    .group_segment_fixed_size: 8704
    .kernarg_segment_align: 8
    .kernarg_segment_size: 28
    .language:       OpenCL C
    .language_version:
      - 2
      - 0
    .max_flat_workgroup_size: 256
    .name:           _Z20sort_pairs_segmentedILj256ELj4ELj4ExN10test_utils4lessEEvPKT2_PS2_PKjT3_
    .private_segment_fixed_size: 0
    .sgpr_count:     18
    .sgpr_spill_count: 0
    .symbol:         _Z20sort_pairs_segmentedILj256ELj4ELj4ExN10test_utils4lessEEvPKT2_PS2_PKjT3_.kd
    .uniform_work_group_size: 1
    .uses_dynamic_stack: false
    .vgpr_count:     42
    .vgpr_spill_count: 0
    .wavefront_size: 32
    .workgroup_processor_mode: 1
  - .args:
      - .address_space:  global
        .offset:         0
        .size:           8
        .value_kind:     global_buffer
      - .address_space:  global
        .offset:         8
        .size:           8
        .value_kind:     global_buffer
      - .offset:         16
        .size:           1
        .value_kind:     by_value
    .group_segment_fixed_size: 16896
    .kernarg_segment_align: 8
    .kernarg_segment_size: 20
    .language:       OpenCL C
    .language_version:
      - 2
      - 0
    .max_flat_workgroup_size: 256
    .name:           _Z9sort_keysILj256ELj4ELj8ExN10test_utils4lessEEvPKT2_PS2_T3_
    .private_segment_fixed_size: 0
    .sgpr_count:     18
    .sgpr_spill_count: 0
    .symbol:         _Z9sort_keysILj256ELj4ELj8ExN10test_utils4lessEEvPKT2_PS2_T3_.kd
    .uniform_work_group_size: 1
    .uses_dynamic_stack: false
    .vgpr_count:     42
    .vgpr_spill_count: 0
    .wavefront_size: 32
    .workgroup_processor_mode: 1
  - .args:
      - .address_space:  global
        .offset:         0
        .size:           8
        .value_kind:     global_buffer
      - .address_space:  global
        .offset:         8
        .size:           8
        .value_kind:     global_buffer
      - .offset:         16
        .size:           1
        .value_kind:     by_value
    .group_segment_fixed_size: 16896
    .kernarg_segment_align: 8
    .kernarg_segment_size: 20
    .language:       OpenCL C
    .language_version:
      - 2
      - 0
    .max_flat_workgroup_size: 256
    .name:           _Z10sort_pairsILj256ELj4ELj8ExN10test_utils4lessEEvPKT2_PS2_T3_
    .private_segment_fixed_size: 0
    .sgpr_count:     18
    .sgpr_spill_count: 0
    .symbol:         _Z10sort_pairsILj256ELj4ELj8ExN10test_utils4lessEEvPKT2_PS2_T3_.kd
    .uniform_work_group_size: 1
    .uses_dynamic_stack: false
    .vgpr_count:     70
    .vgpr_spill_count: 0
    .wavefront_size: 32
    .workgroup_processor_mode: 1
  - .args:
      - .address_space:  global
        .offset:         0
        .size:           8
        .value_kind:     global_buffer
      - .address_space:  global
        .offset:         8
        .size:           8
        .value_kind:     global_buffer
      - .address_space:  global
        .offset:         16
        .size:           8
        .value_kind:     global_buffer
      - .offset:         24
        .size:           1
        .value_kind:     by_value
    .group_segment_fixed_size: 16896
    .kernarg_segment_align: 8
    .kernarg_segment_size: 28
    .language:       OpenCL C
    .language_version:
      - 2
      - 0
    .max_flat_workgroup_size: 256
    .name:           _Z19sort_keys_segmentedILj256ELj4ELj8ExN10test_utils4lessEEvPKT2_PS2_PKjT3_
    .private_segment_fixed_size: 0
    .sgpr_count:     22
    .sgpr_spill_count: 0
    .symbol:         _Z19sort_keys_segmentedILj256ELj4ELj8ExN10test_utils4lessEEvPKT2_PS2_PKjT3_.kd
    .uniform_work_group_size: 1
    .uses_dynamic_stack: false
    .vgpr_count:     46
    .vgpr_spill_count: 0
    .wavefront_size: 32
    .workgroup_processor_mode: 1
  - .args:
      - .address_space:  global
        .offset:         0
        .size:           8
        .value_kind:     global_buffer
      - .address_space:  global
        .offset:         8
        .size:           8
        .value_kind:     global_buffer
      - .address_space:  global
        .offset:         16
        .size:           8
        .value_kind:     global_buffer
      - .offset:         24
        .size:           1
        .value_kind:     by_value
    .group_segment_fixed_size: 16896
    .kernarg_segment_align: 8
    .kernarg_segment_size: 28
    .language:       OpenCL C
    .language_version:
      - 2
      - 0
    .max_flat_workgroup_size: 256
    .name:           _Z20sort_pairs_segmentedILj256ELj4ELj8ExN10test_utils4lessEEvPKT2_PS2_PKjT3_
    .private_segment_fixed_size: 0
    .sgpr_count:     22
    .sgpr_spill_count: 0
    .symbol:         _Z20sort_pairs_segmentedILj256ELj4ELj8ExN10test_utils4lessEEvPKT2_PS2_PKjT3_.kd
    .uniform_work_group_size: 1
    .uses_dynamic_stack: false
    .vgpr_count:     73
    .vgpr_spill_count: 0
    .wavefront_size: 32
    .workgroup_processor_mode: 1
  - .args:
      - .address_space:  global
        .offset:         0
        .size:           8
        .value_kind:     global_buffer
      - .address_space:  global
        .offset:         8
        .size:           8
        .value_kind:     global_buffer
      - .offset:         16
        .size:           1
        .value_kind:     by_value
    .group_segment_fixed_size: 2176
    .kernarg_segment_align: 8
    .kernarg_segment_size: 20
    .language:       OpenCL C
    .language_version:
      - 2
      - 0
    .max_flat_workgroup_size: 256
    .name:           _Z9sort_keysILj256ELj16ELj1ExN10test_utils4lessEEvPKT2_PS2_T3_
    .private_segment_fixed_size: 0
    .sgpr_count:     18
    .sgpr_spill_count: 0
    .symbol:         _Z9sort_keysILj256ELj16ELj1ExN10test_utils4lessEEvPKT2_PS2_T3_.kd
    .uniform_work_group_size: 1
    .uses_dynamic_stack: false
    .vgpr_count:     19
    .vgpr_spill_count: 0
    .wavefront_size: 32
    .workgroup_processor_mode: 1
  - .args:
      - .address_space:  global
        .offset:         0
        .size:           8
        .value_kind:     global_buffer
      - .address_space:  global
        .offset:         8
        .size:           8
        .value_kind:     global_buffer
      - .offset:         16
        .size:           1
        .value_kind:     by_value
    .group_segment_fixed_size: 2176
    .kernarg_segment_align: 8
    .kernarg_segment_size: 20
    .language:       OpenCL C
    .language_version:
      - 2
      - 0
    .max_flat_workgroup_size: 256
    .name:           _Z10sort_pairsILj256ELj16ELj1ExN10test_utils4lessEEvPKT2_PS2_T3_
    .private_segment_fixed_size: 0
    .sgpr_count:     18
    .sgpr_spill_count: 0
    .symbol:         _Z10sort_pairsILj256ELj16ELj1ExN10test_utils4lessEEvPKT2_PS2_T3_.kd
    .uniform_work_group_size: 1
    .uses_dynamic_stack: false
    .vgpr_count:     20
    .vgpr_spill_count: 0
    .wavefront_size: 32
    .workgroup_processor_mode: 1
  - .args:
      - .address_space:  global
        .offset:         0
        .size:           8
        .value_kind:     global_buffer
      - .address_space:  global
        .offset:         8
        .size:           8
        .value_kind:     global_buffer
      - .address_space:  global
        .offset:         16
        .size:           8
        .value_kind:     global_buffer
      - .offset:         24
        .size:           1
        .value_kind:     by_value
    .group_segment_fixed_size: 2176
    .kernarg_segment_align: 8
    .kernarg_segment_size: 28
    .language:       OpenCL C
    .language_version:
      - 2
      - 0
    .max_flat_workgroup_size: 256
    .name:           _Z19sort_keys_segmentedILj256ELj16ELj1ExN10test_utils4lessEEvPKT2_PS2_PKjT3_
    .private_segment_fixed_size: 0
    .sgpr_count:     18
    .sgpr_spill_count: 0
    .symbol:         _Z19sort_keys_segmentedILj256ELj16ELj1ExN10test_utils4lessEEvPKT2_PS2_PKjT3_.kd
    .uniform_work_group_size: 1
    .uses_dynamic_stack: false
    .vgpr_count:     22
    .vgpr_spill_count: 0
    .wavefront_size: 32
    .workgroup_processor_mode: 1
  - .args:
      - .address_space:  global
        .offset:         0
        .size:           8
        .value_kind:     global_buffer
      - .address_space:  global
        .offset:         8
        .size:           8
        .value_kind:     global_buffer
      - .address_space:  global
        .offset:         16
        .size:           8
        .value_kind:     global_buffer
      - .offset:         24
        .size:           1
        .value_kind:     by_value
    .group_segment_fixed_size: 2176
    .kernarg_segment_align: 8
    .kernarg_segment_size: 28
    .language:       OpenCL C
    .language_version:
      - 2
      - 0
    .max_flat_workgroup_size: 256
    .name:           _Z20sort_pairs_segmentedILj256ELj16ELj1ExN10test_utils4lessEEvPKT2_PS2_PKjT3_
    .private_segment_fixed_size: 0
    .sgpr_count:     18
    .sgpr_spill_count: 0
    .symbol:         _Z20sort_pairs_segmentedILj256ELj16ELj1ExN10test_utils4lessEEvPKT2_PS2_PKjT3_.kd
    .uniform_work_group_size: 1
    .uses_dynamic_stack: false
    .vgpr_count:     23
    .vgpr_spill_count: 0
    .wavefront_size: 32
    .workgroup_processor_mode: 1
  - .args:
      - .address_space:  global
        .offset:         0
        .size:           8
        .value_kind:     global_buffer
      - .address_space:  global
        .offset:         8
        .size:           8
        .value_kind:     global_buffer
      - .offset:         16
        .size:           1
        .value_kind:     by_value
    .group_segment_fixed_size: 8320
    .kernarg_segment_align: 8
    .kernarg_segment_size: 20
    .language:       OpenCL C
    .language_version:
      - 2
      - 0
    .max_flat_workgroup_size: 256
    .name:           _Z9sort_keysILj256ELj16ELj4ExN10test_utils4lessEEvPKT2_PS2_T3_
    .private_segment_fixed_size: 0
    .sgpr_count:     18
    .sgpr_spill_count: 0
    .symbol:         _Z9sort_keysILj256ELj16ELj4ExN10test_utils4lessEEvPKT2_PS2_T3_.kd
    .uniform_work_group_size: 1
    .uses_dynamic_stack: false
    .vgpr_count:     32
    .vgpr_spill_count: 0
    .wavefront_size: 32
    .workgroup_processor_mode: 1
  - .args:
      - .address_space:  global
        .offset:         0
        .size:           8
        .value_kind:     global_buffer
      - .address_space:  global
        .offset:         8
        .size:           8
        .value_kind:     global_buffer
      - .offset:         16
        .size:           1
        .value_kind:     by_value
    .group_segment_fixed_size: 8320
    .kernarg_segment_align: 8
    .kernarg_segment_size: 20
    .language:       OpenCL C
    .language_version:
      - 2
      - 0
    .max_flat_workgroup_size: 256
    .name:           _Z10sort_pairsILj256ELj16ELj4ExN10test_utils4lessEEvPKT2_PS2_T3_
    .private_segment_fixed_size: 0
    .sgpr_count:     18
    .sgpr_spill_count: 0
    .symbol:         _Z10sort_pairsILj256ELj16ELj4ExN10test_utils4lessEEvPKT2_PS2_T3_.kd
    .uniform_work_group_size: 1
    .uses_dynamic_stack: false
    .vgpr_count:     42
    .vgpr_spill_count: 0
    .wavefront_size: 32
    .workgroup_processor_mode: 1
  - .args:
      - .address_space:  global
        .offset:         0
        .size:           8
        .value_kind:     global_buffer
      - .address_space:  global
        .offset:         8
        .size:           8
        .value_kind:     global_buffer
      - .address_space:  global
        .offset:         16
        .size:           8
        .value_kind:     global_buffer
      - .offset:         24
        .size:           1
        .value_kind:     by_value
    .group_segment_fixed_size: 8320
    .kernarg_segment_align: 8
    .kernarg_segment_size: 28
    .language:       OpenCL C
    .language_version:
      - 2
      - 0
    .max_flat_workgroup_size: 256
    .name:           _Z19sort_keys_segmentedILj256ELj16ELj4ExN10test_utils4lessEEvPKT2_PS2_PKjT3_
    .private_segment_fixed_size: 0
    .sgpr_count:     18
    .sgpr_spill_count: 0
    .symbol:         _Z19sort_keys_segmentedILj256ELj16ELj4ExN10test_utils4lessEEvPKT2_PS2_PKjT3_.kd
    .uniform_work_group_size: 1
    .uses_dynamic_stack: false
    .vgpr_count:     33
    .vgpr_spill_count: 0
    .wavefront_size: 32
    .workgroup_processor_mode: 1
  - .args:
      - .address_space:  global
        .offset:         0
        .size:           8
        .value_kind:     global_buffer
      - .address_space:  global
        .offset:         8
        .size:           8
        .value_kind:     global_buffer
      - .address_space:  global
        .offset:         16
        .size:           8
        .value_kind:     global_buffer
      - .offset:         24
        .size:           1
        .value_kind:     by_value
    .group_segment_fixed_size: 8320
    .kernarg_segment_align: 8
    .kernarg_segment_size: 28
    .language:       OpenCL C
    .language_version:
      - 2
      - 0
    .max_flat_workgroup_size: 256
    .name:           _Z20sort_pairs_segmentedILj256ELj16ELj4ExN10test_utils4lessEEvPKT2_PS2_PKjT3_
    .private_segment_fixed_size: 0
    .sgpr_count:     18
    .sgpr_spill_count: 0
    .symbol:         _Z20sort_pairs_segmentedILj256ELj16ELj4ExN10test_utils4lessEEvPKT2_PS2_PKjT3_.kd
    .uniform_work_group_size: 1
    .uses_dynamic_stack: false
    .vgpr_count:     45
    .vgpr_spill_count: 0
    .wavefront_size: 32
    .workgroup_processor_mode: 1
  - .args:
      - .address_space:  global
        .offset:         0
        .size:           8
        .value_kind:     global_buffer
      - .address_space:  global
        .offset:         8
        .size:           8
        .value_kind:     global_buffer
      - .offset:         16
        .size:           1
        .value_kind:     by_value
    .group_segment_fixed_size: 16512
    .kernarg_segment_align: 8
    .kernarg_segment_size: 20
    .language:       OpenCL C
    .language_version:
      - 2
      - 0
    .max_flat_workgroup_size: 256
    .name:           _Z9sort_keysILj256ELj16ELj8ExN10test_utils4lessEEvPKT2_PS2_T3_
    .private_segment_fixed_size: 0
    .sgpr_count:     18
    .sgpr_spill_count: 0
    .symbol:         _Z9sort_keysILj256ELj16ELj8ExN10test_utils4lessEEvPKT2_PS2_T3_.kd
    .uniform_work_group_size: 1
    .uses_dynamic_stack: false
    .vgpr_count:     43
    .vgpr_spill_count: 0
    .wavefront_size: 32
    .workgroup_processor_mode: 1
  - .args:
      - .address_space:  global
        .offset:         0
        .size:           8
        .value_kind:     global_buffer
      - .address_space:  global
        .offset:         8
        .size:           8
        .value_kind:     global_buffer
      - .offset:         16
        .size:           1
        .value_kind:     by_value
    .group_segment_fixed_size: 16512
    .kernarg_segment_align: 8
    .kernarg_segment_size: 20
    .language:       OpenCL C
    .language_version:
      - 2
      - 0
    .max_flat_workgroup_size: 256
    .name:           _Z10sort_pairsILj256ELj16ELj8ExN10test_utils4lessEEvPKT2_PS2_T3_
    .private_segment_fixed_size: 0
    .sgpr_count:     18
    .sgpr_spill_count: 0
    .symbol:         _Z10sort_pairsILj256ELj16ELj8ExN10test_utils4lessEEvPKT2_PS2_T3_.kd
    .uniform_work_group_size: 1
    .uses_dynamic_stack: false
    .vgpr_count:     71
    .vgpr_spill_count: 0
    .wavefront_size: 32
    .workgroup_processor_mode: 1
  - .args:
      - .address_space:  global
        .offset:         0
        .size:           8
        .value_kind:     global_buffer
      - .address_space:  global
        .offset:         8
        .size:           8
        .value_kind:     global_buffer
      - .address_space:  global
        .offset:         16
        .size:           8
        .value_kind:     global_buffer
      - .offset:         24
        .size:           1
        .value_kind:     by_value
    .group_segment_fixed_size: 16512
    .kernarg_segment_align: 8
    .kernarg_segment_size: 28
    .language:       OpenCL C
    .language_version:
      - 2
      - 0
    .max_flat_workgroup_size: 256
    .name:           _Z19sort_keys_segmentedILj256ELj16ELj8ExN10test_utils4lessEEvPKT2_PS2_PKjT3_
    .private_segment_fixed_size: 0
    .sgpr_count:     22
    .sgpr_spill_count: 0
    .symbol:         _Z19sort_keys_segmentedILj256ELj16ELj8ExN10test_utils4lessEEvPKT2_PS2_PKjT3_.kd
    .uniform_work_group_size: 1
    .uses_dynamic_stack: false
    .vgpr_count:     46
    .vgpr_spill_count: 0
    .wavefront_size: 32
    .workgroup_processor_mode: 1
  - .args:
      - .address_space:  global
        .offset:         0
        .size:           8
        .value_kind:     global_buffer
      - .address_space:  global
        .offset:         8
        .size:           8
        .value_kind:     global_buffer
      - .address_space:  global
        .offset:         16
        .size:           8
        .value_kind:     global_buffer
      - .offset:         24
        .size:           1
        .value_kind:     by_value
    .group_segment_fixed_size: 16512
    .kernarg_segment_align: 8
    .kernarg_segment_size: 28
    .language:       OpenCL C
    .language_version:
      - 2
      - 0
    .max_flat_workgroup_size: 256
    .name:           _Z20sort_pairs_segmentedILj256ELj16ELj8ExN10test_utils4lessEEvPKT2_PS2_PKjT3_
    .private_segment_fixed_size: 0
    .sgpr_count:     22
    .sgpr_spill_count: 0
    .symbol:         _Z20sort_pairs_segmentedILj256ELj16ELj8ExN10test_utils4lessEEvPKT2_PS2_PKjT3_.kd
    .uniform_work_group_size: 1
    .uses_dynamic_stack: false
    .vgpr_count:     74
    .vgpr_spill_count: 0
    .wavefront_size: 32
    .workgroup_processor_mode: 1
  - .args:
      - .address_space:  global
        .offset:         0
        .size:           8
        .value_kind:     global_buffer
      - .address_space:  global
        .offset:         8
        .size:           8
        .value_kind:     global_buffer
      - .offset:         16
        .size:           1
        .value_kind:     by_value
    .group_segment_fixed_size: 2112
    .kernarg_segment_align: 8
    .kernarg_segment_size: 20
    .language:       OpenCL C
    .language_version:
      - 2
      - 0
    .max_flat_workgroup_size: 256
    .name:           _Z9sort_keysILj256ELj32ELj1ExN10test_utils4lessEEvPKT2_PS2_T3_
    .private_segment_fixed_size: 0
    .sgpr_count:     18
    .sgpr_spill_count: 0
    .symbol:         _Z9sort_keysILj256ELj32ELj1ExN10test_utils4lessEEvPKT2_PS2_T3_.kd
    .uniform_work_group_size: 1
    .uses_dynamic_stack: false
    .vgpr_count:     19
    .vgpr_spill_count: 0
    .wavefront_size: 32
    .workgroup_processor_mode: 1
  - .args:
      - .address_space:  global
        .offset:         0
        .size:           8
        .value_kind:     global_buffer
      - .address_space:  global
        .offset:         8
        .size:           8
        .value_kind:     global_buffer
      - .offset:         16
        .size:           1
        .value_kind:     by_value
    .group_segment_fixed_size: 2112
    .kernarg_segment_align: 8
    .kernarg_segment_size: 20
    .language:       OpenCL C
    .language_version:
      - 2
      - 0
    .max_flat_workgroup_size: 256
    .name:           _Z10sort_pairsILj256ELj32ELj1ExN10test_utils4lessEEvPKT2_PS2_T3_
    .private_segment_fixed_size: 0
    .sgpr_count:     18
    .sgpr_spill_count: 0
    .symbol:         _Z10sort_pairsILj256ELj32ELj1ExN10test_utils4lessEEvPKT2_PS2_T3_.kd
    .uniform_work_group_size: 1
    .uses_dynamic_stack: false
    .vgpr_count:     20
    .vgpr_spill_count: 0
    .wavefront_size: 32
    .workgroup_processor_mode: 1
  - .args:
      - .address_space:  global
        .offset:         0
        .size:           8
        .value_kind:     global_buffer
      - .address_space:  global
        .offset:         8
        .size:           8
        .value_kind:     global_buffer
      - .address_space:  global
        .offset:         16
        .size:           8
        .value_kind:     global_buffer
      - .offset:         24
        .size:           1
        .value_kind:     by_value
    .group_segment_fixed_size: 2112
    .kernarg_segment_align: 8
    .kernarg_segment_size: 28
    .language:       OpenCL C
    .language_version:
      - 2
      - 0
    .max_flat_workgroup_size: 256
    .name:           _Z19sort_keys_segmentedILj256ELj32ELj1ExN10test_utils4lessEEvPKT2_PS2_PKjT3_
    .private_segment_fixed_size: 0
    .sgpr_count:     18
    .sgpr_spill_count: 0
    .symbol:         _Z19sort_keys_segmentedILj256ELj32ELj1ExN10test_utils4lessEEvPKT2_PS2_PKjT3_.kd
    .uniform_work_group_size: 1
    .uses_dynamic_stack: false
    .vgpr_count:     21
    .vgpr_spill_count: 0
    .wavefront_size: 32
    .workgroup_processor_mode: 1
  - .args:
      - .address_space:  global
        .offset:         0
        .size:           8
        .value_kind:     global_buffer
      - .address_space:  global
        .offset:         8
        .size:           8
        .value_kind:     global_buffer
      - .address_space:  global
        .offset:         16
        .size:           8
        .value_kind:     global_buffer
      - .offset:         24
        .size:           1
        .value_kind:     by_value
    .group_segment_fixed_size: 2112
    .kernarg_segment_align: 8
    .kernarg_segment_size: 28
    .language:       OpenCL C
    .language_version:
      - 2
      - 0
    .max_flat_workgroup_size: 256
    .name:           _Z20sort_pairs_segmentedILj256ELj32ELj1ExN10test_utils4lessEEvPKT2_PS2_PKjT3_
    .private_segment_fixed_size: 0
    .sgpr_count:     18
    .sgpr_spill_count: 0
    .symbol:         _Z20sort_pairs_segmentedILj256ELj32ELj1ExN10test_utils4lessEEvPKT2_PS2_PKjT3_.kd
    .uniform_work_group_size: 1
    .uses_dynamic_stack: false
    .vgpr_count:     22
    .vgpr_spill_count: 0
    .wavefront_size: 32
    .workgroup_processor_mode: 1
  - .args:
      - .address_space:  global
        .offset:         0
        .size:           8
        .value_kind:     global_buffer
      - .address_space:  global
        .offset:         8
        .size:           8
        .value_kind:     global_buffer
      - .offset:         16
        .size:           1
        .value_kind:     by_value
    .group_segment_fixed_size: 8256
    .kernarg_segment_align: 8
    .kernarg_segment_size: 20
    .language:       OpenCL C
    .language_version:
      - 2
      - 0
    .max_flat_workgroup_size: 256
    .name:           _Z9sort_keysILj256ELj32ELj4ExN10test_utils4lessEEvPKT2_PS2_T3_
    .private_segment_fixed_size: 0
    .sgpr_count:     18
    .sgpr_spill_count: 0
    .symbol:         _Z9sort_keysILj256ELj32ELj4ExN10test_utils4lessEEvPKT2_PS2_T3_.kd
    .uniform_work_group_size: 1
    .uses_dynamic_stack: false
    .vgpr_count:     32
    .vgpr_spill_count: 0
    .wavefront_size: 32
    .workgroup_processor_mode: 1
  - .args:
      - .address_space:  global
        .offset:         0
        .size:           8
        .value_kind:     global_buffer
      - .address_space:  global
        .offset:         8
        .size:           8
        .value_kind:     global_buffer
      - .offset:         16
        .size:           1
        .value_kind:     by_value
    .group_segment_fixed_size: 8256
    .kernarg_segment_align: 8
    .kernarg_segment_size: 20
    .language:       OpenCL C
    .language_version:
      - 2
      - 0
    .max_flat_workgroup_size: 256
    .name:           _Z10sort_pairsILj256ELj32ELj4ExN10test_utils4lessEEvPKT2_PS2_T3_
    .private_segment_fixed_size: 0
    .sgpr_count:     18
    .sgpr_spill_count: 0
    .symbol:         _Z10sort_pairsILj256ELj32ELj4ExN10test_utils4lessEEvPKT2_PS2_T3_.kd
    .uniform_work_group_size: 1
    .uses_dynamic_stack: false
    .vgpr_count:     41
    .vgpr_spill_count: 0
    .wavefront_size: 32
    .workgroup_processor_mode: 1
  - .args:
      - .address_space:  global
        .offset:         0
        .size:           8
        .value_kind:     global_buffer
      - .address_space:  global
        .offset:         8
        .size:           8
        .value_kind:     global_buffer
      - .address_space:  global
        .offset:         16
        .size:           8
        .value_kind:     global_buffer
      - .offset:         24
        .size:           1
        .value_kind:     by_value
    .group_segment_fixed_size: 8256
    .kernarg_segment_align: 8
    .kernarg_segment_size: 28
    .language:       OpenCL C
    .language_version:
      - 2
      - 0
    .max_flat_workgroup_size: 256
    .name:           _Z19sort_keys_segmentedILj256ELj32ELj4ExN10test_utils4lessEEvPKT2_PS2_PKjT3_
    .private_segment_fixed_size: 0
    .sgpr_count:     18
    .sgpr_spill_count: 0
    .symbol:         _Z19sort_keys_segmentedILj256ELj32ELj4ExN10test_utils4lessEEvPKT2_PS2_PKjT3_.kd
    .uniform_work_group_size: 1
    .uses_dynamic_stack: false
    .vgpr_count:     32
    .vgpr_spill_count: 0
    .wavefront_size: 32
    .workgroup_processor_mode: 1
  - .args:
      - .address_space:  global
        .offset:         0
        .size:           8
        .value_kind:     global_buffer
      - .address_space:  global
        .offset:         8
        .size:           8
        .value_kind:     global_buffer
      - .address_space:  global
        .offset:         16
        .size:           8
        .value_kind:     global_buffer
      - .offset:         24
        .size:           1
        .value_kind:     by_value
    .group_segment_fixed_size: 8256
    .kernarg_segment_align: 8
    .kernarg_segment_size: 28
    .language:       OpenCL C
    .language_version:
      - 2
      - 0
    .max_flat_workgroup_size: 256
    .name:           _Z20sort_pairs_segmentedILj256ELj32ELj4ExN10test_utils4lessEEvPKT2_PS2_PKjT3_
    .private_segment_fixed_size: 0
    .sgpr_count:     18
    .sgpr_spill_count: 0
    .symbol:         _Z20sort_pairs_segmentedILj256ELj32ELj4ExN10test_utils4lessEEvPKT2_PS2_PKjT3_.kd
    .uniform_work_group_size: 1
    .uses_dynamic_stack: false
    .vgpr_count:     44
    .vgpr_spill_count: 0
    .wavefront_size: 32
    .workgroup_processor_mode: 1
  - .args:
      - .address_space:  global
        .offset:         0
        .size:           8
        .value_kind:     global_buffer
      - .address_space:  global
        .offset:         8
        .size:           8
        .value_kind:     global_buffer
      - .offset:         16
        .size:           1
        .value_kind:     by_value
    .group_segment_fixed_size: 16448
    .kernarg_segment_align: 8
    .kernarg_segment_size: 20
    .language:       OpenCL C
    .language_version:
      - 2
      - 0
    .max_flat_workgroup_size: 256
    .name:           _Z9sort_keysILj256ELj32ELj8ExN10test_utils4lessEEvPKT2_PS2_T3_
    .private_segment_fixed_size: 0
    .sgpr_count:     18
    .sgpr_spill_count: 0
    .symbol:         _Z9sort_keysILj256ELj32ELj8ExN10test_utils4lessEEvPKT2_PS2_T3_.kd
    .uniform_work_group_size: 1
    .uses_dynamic_stack: false
    .vgpr_count:     42
    .vgpr_spill_count: 0
    .wavefront_size: 32
    .workgroup_processor_mode: 1
  - .args:
      - .address_space:  global
        .offset:         0
        .size:           8
        .value_kind:     global_buffer
      - .address_space:  global
        .offset:         8
        .size:           8
        .value_kind:     global_buffer
      - .offset:         16
        .size:           1
        .value_kind:     by_value
    .group_segment_fixed_size: 16448
    .kernarg_segment_align: 8
    .kernarg_segment_size: 20
    .language:       OpenCL C
    .language_version:
      - 2
      - 0
    .max_flat_workgroup_size: 256
    .name:           _Z10sort_pairsILj256ELj32ELj8ExN10test_utils4lessEEvPKT2_PS2_T3_
    .private_segment_fixed_size: 0
    .sgpr_count:     18
    .sgpr_spill_count: 0
    .symbol:         _Z10sort_pairsILj256ELj32ELj8ExN10test_utils4lessEEvPKT2_PS2_T3_.kd
    .uniform_work_group_size: 1
    .uses_dynamic_stack: false
    .vgpr_count:     70
    .vgpr_spill_count: 0
    .wavefront_size: 32
    .workgroup_processor_mode: 1
  - .args:
      - .address_space:  global
        .offset:         0
        .size:           8
        .value_kind:     global_buffer
      - .address_space:  global
        .offset:         8
        .size:           8
        .value_kind:     global_buffer
      - .address_space:  global
        .offset:         16
        .size:           8
        .value_kind:     global_buffer
      - .offset:         24
        .size:           1
        .value_kind:     by_value
    .group_segment_fixed_size: 16448
    .kernarg_segment_align: 8
    .kernarg_segment_size: 28
    .language:       OpenCL C
    .language_version:
      - 2
      - 0
    .max_flat_workgroup_size: 256
    .name:           _Z19sort_keys_segmentedILj256ELj32ELj8ExN10test_utils4lessEEvPKT2_PS2_PKjT3_
    .private_segment_fixed_size: 0
    .sgpr_count:     22
    .sgpr_spill_count: 0
    .symbol:         _Z19sort_keys_segmentedILj256ELj32ELj8ExN10test_utils4lessEEvPKT2_PS2_PKjT3_.kd
    .uniform_work_group_size: 1
    .uses_dynamic_stack: false
    .vgpr_count:     46
    .vgpr_spill_count: 0
    .wavefront_size: 32
    .workgroup_processor_mode: 1
  - .args:
      - .address_space:  global
        .offset:         0
        .size:           8
        .value_kind:     global_buffer
      - .address_space:  global
        .offset:         8
        .size:           8
        .value_kind:     global_buffer
      - .address_space:  global
        .offset:         16
        .size:           8
        .value_kind:     global_buffer
      - .offset:         24
        .size:           1
        .value_kind:     by_value
    .group_segment_fixed_size: 16448
    .kernarg_segment_align: 8
    .kernarg_segment_size: 28
    .language:       OpenCL C
    .language_version:
      - 2
      - 0
    .max_flat_workgroup_size: 256
    .name:           _Z20sort_pairs_segmentedILj256ELj32ELj8ExN10test_utils4lessEEvPKT2_PS2_PKjT3_
    .private_segment_fixed_size: 0
    .sgpr_count:     22
    .sgpr_spill_count: 0
    .symbol:         _Z20sort_pairs_segmentedILj256ELj32ELj8ExN10test_utils4lessEEvPKT2_PS2_PKjT3_.kd
    .uniform_work_group_size: 1
    .uses_dynamic_stack: false
    .vgpr_count:     73
    .vgpr_spill_count: 0
    .wavefront_size: 32
    .workgroup_processor_mode: 1
  - .args:
      - .address_space:  global
        .offset:         0
        .size:           8
        .value_kind:     global_buffer
      - .address_space:  global
        .offset:         8
        .size:           8
        .value_kind:     global_buffer
      - .offset:         16
        .size:           1
        .value_kind:     by_value
    .group_segment_fixed_size: 0
    .kernarg_segment_align: 8
    .kernarg_segment_size: 20
    .language:       OpenCL C
    .language_version:
      - 2
      - 0
    .max_flat_workgroup_size: 256
    .name:           _Z9sort_keysILj256ELj64ELj1ExN10test_utils4lessEEvPKT2_PS2_T3_
    .private_segment_fixed_size: 0
    .sgpr_count:     0
    .sgpr_spill_count: 0
    .symbol:         _Z9sort_keysILj256ELj64ELj1ExN10test_utils4lessEEvPKT2_PS2_T3_.kd
    .uniform_work_group_size: 1
    .uses_dynamic_stack: false
    .vgpr_count:     0
    .vgpr_spill_count: 0
    .wavefront_size: 32
    .workgroup_processor_mode: 1
  - .args:
      - .address_space:  global
        .offset:         0
        .size:           8
        .value_kind:     global_buffer
      - .address_space:  global
        .offset:         8
        .size:           8
        .value_kind:     global_buffer
      - .offset:         16
        .size:           1
        .value_kind:     by_value
    .group_segment_fixed_size: 0
    .kernarg_segment_align: 8
    .kernarg_segment_size: 20
    .language:       OpenCL C
    .language_version:
      - 2
      - 0
    .max_flat_workgroup_size: 256
    .name:           _Z10sort_pairsILj256ELj64ELj1ExN10test_utils4lessEEvPKT2_PS2_T3_
    .private_segment_fixed_size: 0
    .sgpr_count:     0
    .sgpr_spill_count: 0
    .symbol:         _Z10sort_pairsILj256ELj64ELj1ExN10test_utils4lessEEvPKT2_PS2_T3_.kd
    .uniform_work_group_size: 1
    .uses_dynamic_stack: false
    .vgpr_count:     0
    .vgpr_spill_count: 0
    .wavefront_size: 32
    .workgroup_processor_mode: 1
  - .args:
      - .address_space:  global
        .offset:         0
        .size:           8
        .value_kind:     global_buffer
      - .address_space:  global
        .offset:         8
        .size:           8
        .value_kind:     global_buffer
      - .address_space:  global
        .offset:         16
        .size:           8
        .value_kind:     global_buffer
      - .offset:         24
        .size:           1
        .value_kind:     by_value
    .group_segment_fixed_size: 0
    .kernarg_segment_align: 8
    .kernarg_segment_size: 28
    .language:       OpenCL C
    .language_version:
      - 2
      - 0
    .max_flat_workgroup_size: 256
    .name:           _Z19sort_keys_segmentedILj256ELj64ELj1ExN10test_utils4lessEEvPKT2_PS2_PKjT3_
    .private_segment_fixed_size: 0
    .sgpr_count:     0
    .sgpr_spill_count: 0
    .symbol:         _Z19sort_keys_segmentedILj256ELj64ELj1ExN10test_utils4lessEEvPKT2_PS2_PKjT3_.kd
    .uniform_work_group_size: 1
    .uses_dynamic_stack: false
    .vgpr_count:     0
    .vgpr_spill_count: 0
    .wavefront_size: 32
    .workgroup_processor_mode: 1
  - .args:
      - .address_space:  global
        .offset:         0
        .size:           8
        .value_kind:     global_buffer
      - .address_space:  global
        .offset:         8
        .size:           8
        .value_kind:     global_buffer
      - .address_space:  global
        .offset:         16
        .size:           8
        .value_kind:     global_buffer
      - .offset:         24
        .size:           1
        .value_kind:     by_value
    .group_segment_fixed_size: 0
    .kernarg_segment_align: 8
    .kernarg_segment_size: 28
    .language:       OpenCL C
    .language_version:
      - 2
      - 0
    .max_flat_workgroup_size: 256
    .name:           _Z20sort_pairs_segmentedILj256ELj64ELj1ExN10test_utils4lessEEvPKT2_PS2_PKjT3_
    .private_segment_fixed_size: 0
    .sgpr_count:     0
    .sgpr_spill_count: 0
    .symbol:         _Z20sort_pairs_segmentedILj256ELj64ELj1ExN10test_utils4lessEEvPKT2_PS2_PKjT3_.kd
    .uniform_work_group_size: 1
    .uses_dynamic_stack: false
    .vgpr_count:     0
    .vgpr_spill_count: 0
    .wavefront_size: 32
    .workgroup_processor_mode: 1
  - .args:
      - .address_space:  global
        .offset:         0
        .size:           8
        .value_kind:     global_buffer
      - .address_space:  global
        .offset:         8
        .size:           8
        .value_kind:     global_buffer
      - .offset:         16
        .size:           1
        .value_kind:     by_value
    .group_segment_fixed_size: 0
    .kernarg_segment_align: 8
    .kernarg_segment_size: 20
    .language:       OpenCL C
    .language_version:
      - 2
      - 0
    .max_flat_workgroup_size: 256
    .name:           _Z9sort_keysILj256ELj64ELj4ExN10test_utils4lessEEvPKT2_PS2_T3_
    .private_segment_fixed_size: 0
    .sgpr_count:     0
    .sgpr_spill_count: 0
    .symbol:         _Z9sort_keysILj256ELj64ELj4ExN10test_utils4lessEEvPKT2_PS2_T3_.kd
    .uniform_work_group_size: 1
    .uses_dynamic_stack: false
    .vgpr_count:     0
    .vgpr_spill_count: 0
    .wavefront_size: 32
    .workgroup_processor_mode: 1
  - .args:
      - .address_space:  global
        .offset:         0
        .size:           8
        .value_kind:     global_buffer
      - .address_space:  global
        .offset:         8
        .size:           8
        .value_kind:     global_buffer
      - .offset:         16
        .size:           1
        .value_kind:     by_value
    .group_segment_fixed_size: 0
    .kernarg_segment_align: 8
    .kernarg_segment_size: 20
    .language:       OpenCL C
    .language_version:
      - 2
      - 0
    .max_flat_workgroup_size: 256
    .name:           _Z10sort_pairsILj256ELj64ELj4ExN10test_utils4lessEEvPKT2_PS2_T3_
    .private_segment_fixed_size: 0
    .sgpr_count:     0
    .sgpr_spill_count: 0
    .symbol:         _Z10sort_pairsILj256ELj64ELj4ExN10test_utils4lessEEvPKT2_PS2_T3_.kd
    .uniform_work_group_size: 1
    .uses_dynamic_stack: false
    .vgpr_count:     0
    .vgpr_spill_count: 0
    .wavefront_size: 32
    .workgroup_processor_mode: 1
  - .args:
      - .address_space:  global
        .offset:         0
        .size:           8
        .value_kind:     global_buffer
      - .address_space:  global
        .offset:         8
        .size:           8
        .value_kind:     global_buffer
      - .address_space:  global
        .offset:         16
        .size:           8
        .value_kind:     global_buffer
      - .offset:         24
        .size:           1
        .value_kind:     by_value
    .group_segment_fixed_size: 0
    .kernarg_segment_align: 8
    .kernarg_segment_size: 28
    .language:       OpenCL C
    .language_version:
      - 2
      - 0
    .max_flat_workgroup_size: 256
    .name:           _Z19sort_keys_segmentedILj256ELj64ELj4ExN10test_utils4lessEEvPKT2_PS2_PKjT3_
    .private_segment_fixed_size: 0
    .sgpr_count:     0
    .sgpr_spill_count: 0
    .symbol:         _Z19sort_keys_segmentedILj256ELj64ELj4ExN10test_utils4lessEEvPKT2_PS2_PKjT3_.kd
    .uniform_work_group_size: 1
    .uses_dynamic_stack: false
    .vgpr_count:     0
    .vgpr_spill_count: 0
    .wavefront_size: 32
    .workgroup_processor_mode: 1
  - .args:
      - .address_space:  global
        .offset:         0
        .size:           8
        .value_kind:     global_buffer
      - .address_space:  global
        .offset:         8
        .size:           8
        .value_kind:     global_buffer
      - .address_space:  global
        .offset:         16
        .size:           8
        .value_kind:     global_buffer
      - .offset:         24
        .size:           1
        .value_kind:     by_value
    .group_segment_fixed_size: 0
    .kernarg_segment_align: 8
    .kernarg_segment_size: 28
    .language:       OpenCL C
    .language_version:
      - 2
      - 0
    .max_flat_workgroup_size: 256
    .name:           _Z20sort_pairs_segmentedILj256ELj64ELj4ExN10test_utils4lessEEvPKT2_PS2_PKjT3_
    .private_segment_fixed_size: 0
    .sgpr_count:     0
    .sgpr_spill_count: 0
    .symbol:         _Z20sort_pairs_segmentedILj256ELj64ELj4ExN10test_utils4lessEEvPKT2_PS2_PKjT3_.kd
    .uniform_work_group_size: 1
    .uses_dynamic_stack: false
    .vgpr_count:     0
    .vgpr_spill_count: 0
    .wavefront_size: 32
    .workgroup_processor_mode: 1
  - .args:
      - .address_space:  global
        .offset:         0
        .size:           8
        .value_kind:     global_buffer
      - .address_space:  global
        .offset:         8
        .size:           8
        .value_kind:     global_buffer
      - .offset:         16
        .size:           1
        .value_kind:     by_value
    .group_segment_fixed_size: 0
    .kernarg_segment_align: 8
    .kernarg_segment_size: 20
    .language:       OpenCL C
    .language_version:
      - 2
      - 0
    .max_flat_workgroup_size: 256
    .name:           _Z9sort_keysILj256ELj64ELj8ExN10test_utils4lessEEvPKT2_PS2_T3_
    .private_segment_fixed_size: 0
    .sgpr_count:     0
    .sgpr_spill_count: 0
    .symbol:         _Z9sort_keysILj256ELj64ELj8ExN10test_utils4lessEEvPKT2_PS2_T3_.kd
    .uniform_work_group_size: 1
    .uses_dynamic_stack: false
    .vgpr_count:     0
    .vgpr_spill_count: 0
    .wavefront_size: 32
    .workgroup_processor_mode: 1
  - .args:
      - .address_space:  global
        .offset:         0
        .size:           8
        .value_kind:     global_buffer
      - .address_space:  global
        .offset:         8
        .size:           8
        .value_kind:     global_buffer
      - .offset:         16
        .size:           1
        .value_kind:     by_value
    .group_segment_fixed_size: 0
    .kernarg_segment_align: 8
    .kernarg_segment_size: 20
    .language:       OpenCL C
    .language_version:
      - 2
      - 0
    .max_flat_workgroup_size: 256
    .name:           _Z10sort_pairsILj256ELj64ELj8ExN10test_utils4lessEEvPKT2_PS2_T3_
    .private_segment_fixed_size: 0
    .sgpr_count:     0
    .sgpr_spill_count: 0
    .symbol:         _Z10sort_pairsILj256ELj64ELj8ExN10test_utils4lessEEvPKT2_PS2_T3_.kd
    .uniform_work_group_size: 1
    .uses_dynamic_stack: false
    .vgpr_count:     0
    .vgpr_spill_count: 0
    .wavefront_size: 32
    .workgroup_processor_mode: 1
  - .args:
      - .address_space:  global
        .offset:         0
        .size:           8
        .value_kind:     global_buffer
      - .address_space:  global
        .offset:         8
        .size:           8
        .value_kind:     global_buffer
      - .address_space:  global
        .offset:         16
        .size:           8
        .value_kind:     global_buffer
      - .offset:         24
        .size:           1
        .value_kind:     by_value
    .group_segment_fixed_size: 0
    .kernarg_segment_align: 8
    .kernarg_segment_size: 28
    .language:       OpenCL C
    .language_version:
      - 2
      - 0
    .max_flat_workgroup_size: 256
    .name:           _Z19sort_keys_segmentedILj256ELj64ELj8ExN10test_utils4lessEEvPKT2_PS2_PKjT3_
    .private_segment_fixed_size: 0
    .sgpr_count:     0
    .sgpr_spill_count: 0
    .symbol:         _Z19sort_keys_segmentedILj256ELj64ELj8ExN10test_utils4lessEEvPKT2_PS2_PKjT3_.kd
    .uniform_work_group_size: 1
    .uses_dynamic_stack: false
    .vgpr_count:     0
    .vgpr_spill_count: 0
    .wavefront_size: 32
    .workgroup_processor_mode: 1
  - .args:
      - .address_space:  global
        .offset:         0
        .size:           8
        .value_kind:     global_buffer
      - .address_space:  global
        .offset:         8
        .size:           8
        .value_kind:     global_buffer
      - .address_space:  global
        .offset:         16
        .size:           8
        .value_kind:     global_buffer
      - .offset:         24
        .size:           1
        .value_kind:     by_value
    .group_segment_fixed_size: 0
    .kernarg_segment_align: 8
    .kernarg_segment_size: 28
    .language:       OpenCL C
    .language_version:
      - 2
      - 0
    .max_flat_workgroup_size: 256
    .name:           _Z20sort_pairs_segmentedILj256ELj64ELj8ExN10test_utils4lessEEvPKT2_PS2_PKjT3_
    .private_segment_fixed_size: 0
    .sgpr_count:     0
    .sgpr_spill_count: 0
    .symbol:         _Z20sort_pairs_segmentedILj256ELj64ELj8ExN10test_utils4lessEEvPKT2_PS2_PKjT3_.kd
    .uniform_work_group_size: 1
    .uses_dynamic_stack: false
    .vgpr_count:     0
    .vgpr_spill_count: 0
    .wavefront_size: 32
    .workgroup_processor_mode: 1
amdhsa.target:   amdgcn-amd-amdhsa--gfx1100
amdhsa.version:
  - 1
  - 2
...

	.end_amdgpu_metadata
